;; amdgpu-corpus repo=vllm-project/vllm kind=compiled arch=gfx1100 opt=O3
	.text
	.amdgcn_target "amdgcn-amd-amdhsa--gfx1100"
	.amdhsa_code_object_version 6
	.protected	_ZN4vllm36cp_gather_and_upconvert_fp8_kv_cacheEPKhP14__hip_bfloat16PKiS5_iiillll ; -- Begin function _ZN4vllm36cp_gather_and_upconvert_fp8_kv_cacheEPKhP14__hip_bfloat16PKiS5_iiillll
	.globl	_ZN4vllm36cp_gather_and_upconvert_fp8_kv_cacheEPKhP14__hip_bfloat16PKiS5_iiillll
	.p2align	8
	.type	_ZN4vllm36cp_gather_and_upconvert_fp8_kv_cacheEPKhP14__hip_bfloat16PKiS5_iiillll,@function
_ZN4vllm36cp_gather_and_upconvert_fp8_kv_cacheEPKhP14__hip_bfloat16PKiS5_iiillll: ; @_ZN4vllm36cp_gather_and_upconvert_fp8_kv_cacheEPKhP14__hip_bfloat16PKiS5_iiillll
; %bb.0:
	s_clause 0x1
	s_load_b32 s2, s[0:1], 0x5c
	s_load_b128 s[16:19], s[0:1], 0x20
	s_waitcnt lgkmcnt(0)
	s_and_b32 s2, s2, 0xffff
	s_delay_alu instid0(SALU_CYCLE_1) | instskip(SKIP_1) | instid1(VALU_DEP_1)
	v_mad_u64_u32 v[1:2], null, s15, s2, v[0:1]
	s_mov_b32 s2, exec_lo
	v_lshrrev_b32_e32 v8, 5, v1
	s_delay_alu instid0(VALU_DEP_1)
	v_cmpx_gt_i32_e64 s18, v8
	s_cbranch_execz .LBB0_198
; %bb.1:
	s_clause 0x1
	s_load_b128 s[8:11], s[0:1], 0x8
	s_load_b64 s[2:3], s[0:1], 0x18
	v_mov_b32_e32 v5, 0
	s_cmp_lt_i32 s16, 2
	s_cbranch_scc1 .LBB0_5
; %bb.2:
	s_add_i32 s4, s16, -1
	v_dual_mov_b32 v5, 0 :: v_dual_mov_b32 v2, 0
	v_mov_b32_e32 v3, s4
	s_mov_b32 s4, 0
	.p2align	6
.LBB0_3:                                ; =>This Inner Loop Header: Depth=1
	s_delay_alu instid0(VALU_DEP_1) | instskip(NEXT) | instid1(VALU_DEP_1)
	v_add3_u32 v1, v3, v5, 1
	v_lshrrev_b32_e32 v1, 1, v1
	s_delay_alu instid0(VALU_DEP_1) | instskip(SKIP_1) | instid1(VALU_DEP_1)
	v_lshlrev_b64 v[6:7], 2, v[1:2]
	s_waitcnt lgkmcnt(0)
	v_add_co_u32 v6, vcc_lo, s2, v6
	s_delay_alu instid0(VALU_DEP_2) | instskip(SKIP_4) | instid1(VALU_DEP_2)
	v_add_co_ci_u32_e32 v7, vcc_lo, s3, v7, vcc_lo
	global_load_b32 v4, v[6:7], off
	v_add_nc_u32_e32 v6, -1, v1
	s_waitcnt vmcnt(0)
	v_cmp_gt_i32_e32 vcc_lo, v4, v8
	v_cndmask_b32_e32 v3, v3, v6, vcc_lo
	v_cndmask_b32_e32 v5, v1, v5, vcc_lo
	s_delay_alu instid0(VALU_DEP_1) | instskip(SKIP_1) | instid1(SALU_CYCLE_1)
	v_cmp_ge_i32_e32 vcc_lo, v5, v3
	s_or_b32 s4, vcc_lo, s4
	s_and_not1_b32 exec_lo, exec_lo, s4
	s_cbranch_execnz .LBB0_3
; %bb.4:
	s_or_b32 exec_lo, exec_lo, s4
.LBB0_5:
	v_mov_b32_e32 v6, 0
	s_abs_i32 s14, s17
	s_load_b64 s[12:13], s[0:1], 0x0
	s_delay_alu instid0(VALU_DEP_1) | instskip(SKIP_1) | instid1(VALU_DEP_1)
	v_lshlrev_b64 v[1:2], 2, v[5:6]
	s_waitcnt lgkmcnt(0)
	v_add_co_u32 v1, vcc_lo, s2, v1
	s_delay_alu instid0(VALU_DEP_2) | instskip(SKIP_3) | instid1(VALU_DEP_1)
	v_add_co_ci_u32_e32 v2, vcc_lo, s3, v2, vcc_lo
	s_sub_i32 s2, 0, s14
	global_load_b32 v1, v[1:2], off
	v_cvt_f32_u32_e32 v2, s14
	v_rcp_iflag_f32_e32 v2, v2
	s_waitcnt_depctr 0xfff
	v_mul_f32_e32 v2, 0x4f7ffffe, v2
	s_delay_alu instid0(VALU_DEP_1) | instskip(NEXT) | instid1(VALU_DEP_1)
	v_cvt_u32_f32_e32 v2, v2
	v_mul_lo_u32 v3, s2, v2
	s_load_b256 s[0:7], s[0:1], 0x30
	s_waitcnt vmcnt(0)
	v_sub_nc_u32_e32 v7, v8, v1
	s_delay_alu instid0(VALU_DEP_2) | instskip(NEXT) | instid1(VALU_DEP_2)
	v_mul_hi_u32 v1, v2, v3
	v_sub_nc_u32_e32 v3, 0, v7
	s_delay_alu instid0(VALU_DEP_2) | instskip(NEXT) | instid1(VALU_DEP_2)
	v_add_nc_u32_e32 v1, v2, v1
	v_max_i32_e32 v2, v7, v3
	s_delay_alu instid0(VALU_DEP_1) | instskip(NEXT) | instid1(VALU_DEP_1)
	v_mul_hi_u32 v3, v2, v1
	v_add_nc_u32_e32 v9, 1, v3
	v_mul_lo_u32 v1, v3, s14
	s_delay_alu instid0(VALU_DEP_1) | instskip(SKIP_3) | instid1(VALU_DEP_2)
	v_sub_nc_u32_e32 v4, v2, v1
	s_waitcnt lgkmcnt(0)
	v_mad_u64_u32 v[1:2], null, v5, s0, 0
	s_mov_b32 s0, exec_lo
	v_subrev_nc_u32_e32 v10, s14, v4
	v_cmp_le_u32_e32 vcc_lo, s14, v4
	s_delay_alu instid0(VALU_DEP_2) | instskip(SKIP_1) | instid1(VALU_DEP_2)
	v_dual_cndmask_b32 v3, v3, v9 :: v_dual_cndmask_b32 v4, v4, v10
	v_xor_b32_e32 v9, s17, v7
	v_add_nc_u32_e32 v10, 1, v3
	s_delay_alu instid0(VALU_DEP_3) | instskip(NEXT) | instid1(VALU_DEP_3)
	v_cmp_le_u32_e32 vcc_lo, s14, v4
	v_ashrrev_i32_e32 v9, 31, v9
	s_delay_alu instid0(VALU_DEP_3) | instskip(SKIP_1) | instid1(VALU_DEP_2)
	v_cndmask_b32_e32 v10, v3, v10, vcc_lo
	v_mad_u64_u32 v[3:4], null, v5, s1, v[2:3]
	v_xor_b32_e32 v2, v10, v9
	s_delay_alu instid0(VALU_DEP_1) | instskip(NEXT) | instid1(VALU_DEP_3)
	v_sub_nc_u32_e32 v4, v2, v9
	v_mov_b32_e32 v2, v3
	s_delay_alu instid0(VALU_DEP_2) | instskip(NEXT) | instid1(VALU_DEP_2)
	v_ashrrev_i32_e32 v5, 31, v4
	v_lshlrev_b64 v[1:2], 2, v[1:2]
	s_delay_alu instid0(VALU_DEP_2) | instskip(SKIP_1) | instid1(VALU_DEP_3)
	v_lshlrev_b64 v[9:10], 2, v[4:5]
	v_mul_lo_u32 v4, v4, s17
	v_add_co_u32 v1, vcc_lo, s10, v1
	s_delay_alu instid0(VALU_DEP_4) | instskip(NEXT) | instid1(VALU_DEP_2)
	v_add_co_ci_u32_e32 v2, vcc_lo, s11, v2, vcc_lo
	v_add_co_u32 v1, vcc_lo, v1, v9
	s_delay_alu instid0(VALU_DEP_2)
	v_add_co_ci_u32_e32 v2, vcc_lo, v2, v10, vcc_lo
	v_sub_nc_u32_e32 v4, v7, v4
	global_load_b32 v3, v[1:2], off
	s_waitcnt vmcnt(0)
	v_ashrrev_i32_e32 v5, 31, v3
	v_mul_lo_u32 v9, v3, s3
	v_mad_u64_u32 v[1:2], null, v3, s2, s[12:13]
	s_delay_alu instid0(VALU_DEP_3) | instskip(SKIP_1) | instid1(VALU_DEP_2)
	v_mul_lo_u32 v3, v5, s2
	v_ashrrev_i32_e32 v5, 31, v4
	v_add3_u32 v2, v3, v2, v9
	s_delay_alu instid0(VALU_DEP_2) | instskip(SKIP_2) | instid1(VALU_DEP_4)
	v_mul_lo_u32 v3, v5, s4
	v_and_b32_e32 v9, 31, v0
	v_lshrrev_b32_e32 v0, 1, v0
	v_mad_u64_u32 v[10:11], null, v4, s4, v[1:2]
	v_mul_lo_u32 v1, v4, s5
	s_delay_alu instid0(VALU_DEP_4) | instskip(NEXT) | instid1(VALU_DEP_1)
	v_lshlrev_b32_e32 v2, 4, v9
	v_add_co_u32 v4, vcc_lo, v10, v2
	s_delay_alu instid0(VALU_DEP_3) | instskip(SKIP_1) | instid1(VALU_DEP_2)
	v_add3_u32 v7, v3, v11, v1
	v_and_b32_e32 v11, 12, v0
	v_add_co_ci_u32_e32 v5, vcc_lo, 0, v7, vcc_lo
	s_delay_alu instid0(VALU_DEP_2)
	v_add_co_u32 v10, vcc_lo, v10, v11
	v_add_co_ci_u32_e32 v11, vcc_lo, 0, v7, vcc_lo
	s_clause 0x1
	global_load_b128 v[0:3], v[4:5], off
	global_load_b32 v10, v[10:11], off offset:512
	s_waitcnt vmcnt(1)
	v_and_b32_e32 v7, 0xff, v0
	s_delay_alu instid0(VALU_DEP_1)
	v_cmpx_ne_u16_e32 0, v7
	s_cbranch_execz .LBB0_13
; %bb.6:
	v_bfrev_b32_e32 v6, 1
	s_mov_b32 s1, exec_lo
	v_cmpx_ne_u16_e32 0x80, v7
	s_cbranch_execz .LBB0_12
; %bb.7:
	v_and_b32_e32 v12, 0x7f, v0
	v_mov_b32_e32 v6, 0x7f800001
	s_mov_b32 s2, exec_lo
	s_delay_alu instid0(VALU_DEP_2)
	v_cmpx_ne_u32_e32 0x7f, v12
	s_cbranch_execz .LBB0_11
; %bb.8:
	v_dual_mov_b32 v7, 0 :: v_dual_and_b32 v6, 7, v0
	v_lshrrev_b32_e32 v11, 3, v12
	s_mov_b32 s3, exec_lo
	v_cmpx_gt_u32_e32 8, v12
; %bb.9:
	s_delay_alu instid0(VALU_DEP_3) | instskip(NEXT) | instid1(VALU_DEP_1)
	v_clz_i32_u32_e32 v11, v6
	v_min_u32_e32 v11, 32, v11
	s_delay_alu instid0(VALU_DEP_1) | instskip(SKIP_1) | instid1(VALU_DEP_2)
	v_subrev_nc_u32_e32 v12, 28, v11
	v_sub_nc_u32_e32 v11, 29, v11
	v_lshlrev_b64 v[6:7], v12, v[6:7]
	s_delay_alu instid0(VALU_DEP_1)
	v_and_b32_e32 v6, 7, v6
; %bb.10:
	s_or_b32 exec_lo, exec_lo, s3
	v_lshlrev_b32_e32 v7, 24, v0
	s_delay_alu instid0(VALU_DEP_2) | instskip(SKIP_1) | instid1(VALU_DEP_3)
	v_lshlrev_b32_e32 v6, 20, v6
	v_lshl_add_u32 v11, v11, 23, 0x3c000000
	v_and_b32_e32 v7, 0x80000000, v7
	s_delay_alu instid0(VALU_DEP_1)
	v_or3_b32 v6, v6, v7, v11
.LBB0_11:
	s_or_b32 exec_lo, exec_lo, s2
.LBB0_12:
	s_delay_alu instid0(SALU_CYCLE_1)
	s_or_b32 exec_lo, exec_lo, s1
.LBB0_13:
	s_delay_alu instid0(SALU_CYCLE_1) | instskip(SKIP_3) | instid1(VALU_DEP_1)
	s_or_b32 exec_lo, exec_lo, s0
	s_waitcnt vmcnt(0)
	v_mul_f32_e32 v6, v10, v6
	s_mov_b32 s0, exec_lo
                                        ; implicit-def: $vgpr11
	v_and_b32_e32 v7, 0x7f800000, v6
	s_delay_alu instid0(VALU_DEP_1)
	v_cmpx_ne_u32_e32 0x7f800000, v7
	s_xor_b32 s0, exec_lo, s0
; %bb.14:
	v_bfe_u32 v7, v6, 16, 1
	s_delay_alu instid0(VALU_DEP_1)
	v_add3_u32 v11, v6, v7, 0x7fff
                                        ; implicit-def: $vgpr6
; %bb.15:
	s_and_not1_saveexec_b32 s0, s0
; %bb.16:
	v_and_b32_e32 v7, 0xffff, v6
	v_or_b32_e32 v11, 0x10000, v6
	s_delay_alu instid0(VALU_DEP_2) | instskip(NEXT) | instid1(VALU_DEP_2)
	v_cmp_eq_u32_e32 vcc_lo, 0, v7
	v_cndmask_b32_e32 v11, v11, v6, vcc_lo
; %bb.17:
	s_or_b32 exec_lo, exec_lo, s0
	v_lshrrev_b16 v7, 8, v0
	v_mov_b32_e32 v6, 0
	s_mov_b32 s0, exec_lo
	s_delay_alu instid0(VALU_DEP_2)
	v_cmpx_ne_u16_e32 0, v7
	s_cbranch_execz .LBB0_25
; %bb.18:
	v_bfrev_b32_e32 v6, 1
	s_mov_b32 s1, exec_lo
	v_cmpx_ne_u16_e32 0x80, v7
	s_cbranch_execz .LBB0_24
; %bb.19:
	v_and_b32_e32 v7, 0xffff, v7
	v_mov_b32_e32 v6, 0x7f800001
	s_mov_b32 s2, exec_lo
	s_delay_alu instid0(VALU_DEP_2) | instskip(NEXT) | instid1(VALU_DEP_1)
	v_and_b32_e32 v13, 0x7f, v7
	v_cmpx_ne_u32_e32 0x7f, v13
	s_cbranch_execz .LBB0_23
; %bb.20:
	v_dual_mov_b32 v7, 0 :: v_dual_and_b32 v6, 7, v7
	v_lshrrev_b32_e32 v12, 3, v13
	s_mov_b32 s3, exec_lo
	v_cmpx_gt_u32_e32 8, v13
; %bb.21:
	s_delay_alu instid0(VALU_DEP_3) | instskip(NEXT) | instid1(VALU_DEP_1)
	v_clz_i32_u32_e32 v12, v6
	v_min_u32_e32 v12, 32, v12
	s_delay_alu instid0(VALU_DEP_1) | instskip(SKIP_1) | instid1(VALU_DEP_2)
	v_subrev_nc_u32_e32 v13, 28, v12
	v_sub_nc_u32_e32 v12, 29, v12
	v_lshlrev_b64 v[6:7], v13, v[6:7]
	s_delay_alu instid0(VALU_DEP_1)
	v_and_b32_e32 v6, 7, v6
; %bb.22:
	s_or_b32 exec_lo, exec_lo, s3
	v_lshlrev_b32_e32 v7, 16, v0
	s_delay_alu instid0(VALU_DEP_2) | instskip(SKIP_1) | instid1(VALU_DEP_3)
	v_lshlrev_b32_e32 v6, 20, v6
	v_lshl_add_u32 v12, v12, 23, 0x3c000000
	v_and_b32_e32 v7, 0x80000000, v7
	s_delay_alu instid0(VALU_DEP_1)
	v_or3_b32 v6, v6, v7, v12
.LBB0_23:
	s_or_b32 exec_lo, exec_lo, s2
.LBB0_24:
	s_delay_alu instid0(SALU_CYCLE_1)
	s_or_b32 exec_lo, exec_lo, s1
.LBB0_25:
	s_delay_alu instid0(SALU_CYCLE_1) | instskip(NEXT) | instid1(VALU_DEP_1)
	s_or_b32 exec_lo, exec_lo, s0
	v_mul_f32_e32 v6, v10, v6
	s_mov_b32 s0, exec_lo
                                        ; implicit-def: $vgpr12
	s_delay_alu instid0(VALU_DEP_1) | instskip(NEXT) | instid1(VALU_DEP_1)
	v_and_b32_e32 v7, 0x7f800000, v6
	v_cmpx_ne_u32_e32 0x7f800000, v7
	s_xor_b32 s0, exec_lo, s0
; %bb.26:
	v_bfe_u32 v7, v6, 16, 1
	s_delay_alu instid0(VALU_DEP_1)
	v_add3_u32 v12, v6, v7, 0x7fff
                                        ; implicit-def: $vgpr6
; %bb.27:
	s_and_not1_saveexec_b32 s0, s0
; %bb.28:
	v_and_b32_e32 v7, 0xffff, v6
	v_or_b32_e32 v12, 0x10000, v6
	s_delay_alu instid0(VALU_DEP_2) | instskip(NEXT) | instid1(VALU_DEP_2)
	v_cmp_eq_u32_e32 vcc_lo, 0, v7
	v_cndmask_b32_e32 v12, v12, v6, vcc_lo
; %bb.29:
	s_or_b32 exec_lo, exec_lo, s0
	v_lshrrev_b32_e32 v13, 16, v0
	s_mov_b32 s0, exec_lo
	s_delay_alu instid0(VALU_DEP_1) | instskip(NEXT) | instid1(VALU_DEP_1)
	v_dual_mov_b32 v6, 0 :: v_dual_and_b32 v7, 0xff, v13
	v_cmpx_ne_u16_e32 0, v7
	s_cbranch_execz .LBB0_37
; %bb.30:
	v_bfrev_b32_e32 v6, 1
	s_mov_b32 s1, exec_lo
	v_cmpx_ne_u16_e32 0x80, v7
	s_cbranch_execz .LBB0_36
; %bb.31:
	v_bfe_u32 v15, v0, 16, 7
	v_mov_b32_e32 v6, 0x7f800001
	s_mov_b32 s2, exec_lo
	s_delay_alu instid0(VALU_DEP_2)
	v_cmpx_ne_u32_e32 0x7f, v15
	s_cbranch_execz .LBB0_35
; %bb.32:
	v_dual_mov_b32 v7, 0 :: v_dual_and_b32 v6, 7, v13
	v_lshrrev_b32_e32 v14, 3, v15
	s_mov_b32 s3, exec_lo
	v_cmpx_gt_u32_e32 8, v15
; %bb.33:
	s_delay_alu instid0(VALU_DEP_3) | instskip(NEXT) | instid1(VALU_DEP_1)
	v_clz_i32_u32_e32 v14, v6
	v_min_u32_e32 v14, 32, v14
	s_delay_alu instid0(VALU_DEP_1) | instskip(SKIP_1) | instid1(VALU_DEP_2)
	v_subrev_nc_u32_e32 v15, 28, v14
	v_sub_nc_u32_e32 v14, 29, v14
	v_lshlrev_b64 v[6:7], v15, v[6:7]
	s_delay_alu instid0(VALU_DEP_1)
	v_and_b32_e32 v6, 7, v6
; %bb.34:
	s_or_b32 exec_lo, exec_lo, s3
	v_lshlrev_b32_e32 v7, 24, v13
	s_delay_alu instid0(VALU_DEP_2) | instskip(SKIP_1) | instid1(VALU_DEP_3)
	v_lshlrev_b32_e32 v6, 20, v6
	v_lshl_add_u32 v13, v14, 23, 0x3c000000
	v_and_b32_e32 v7, 0x80000000, v7
	s_delay_alu instid0(VALU_DEP_1)
	v_or3_b32 v6, v6, v7, v13
.LBB0_35:
	s_or_b32 exec_lo, exec_lo, s2
.LBB0_36:
	s_delay_alu instid0(SALU_CYCLE_1)
	s_or_b32 exec_lo, exec_lo, s1
.LBB0_37:
	s_delay_alu instid0(SALU_CYCLE_1) | instskip(NEXT) | instid1(VALU_DEP_1)
	s_or_b32 exec_lo, exec_lo, s0
	v_mul_f32_e32 v6, v10, v6
	s_mov_b32 s0, exec_lo
                                        ; implicit-def: $vgpr13
	s_delay_alu instid0(VALU_DEP_1) | instskip(NEXT) | instid1(VALU_DEP_1)
	v_and_b32_e32 v7, 0x7f800000, v6
	v_cmpx_ne_u32_e32 0x7f800000, v7
	s_xor_b32 s0, exec_lo, s0
; %bb.38:
	v_bfe_u32 v7, v6, 16, 1
	s_delay_alu instid0(VALU_DEP_1)
	v_add3_u32 v13, v6, v7, 0x7fff
                                        ; implicit-def: $vgpr6
; %bb.39:
	s_and_not1_saveexec_b32 s0, s0
; %bb.40:
	v_and_b32_e32 v7, 0xffff, v6
	v_or_b32_e32 v13, 0x10000, v6
	s_delay_alu instid0(VALU_DEP_2) | instskip(NEXT) | instid1(VALU_DEP_2)
	v_cmp_eq_u32_e32 vcc_lo, 0, v7
	v_cndmask_b32_e32 v13, v13, v6, vcc_lo
; %bb.41:
	s_or_b32 exec_lo, exec_lo, s0
	v_mov_b32_e32 v6, 0
	s_mov_b32 s0, exec_lo
	v_cmpx_lt_u32_e32 0xffffff, v0
	s_cbranch_execz .LBB0_49
; %bb.42:
	v_lshrrev_b32_e32 v14, 24, v0
	v_bfrev_b32_e32 v6, 1
	s_mov_b32 s1, exec_lo
	s_delay_alu instid0(VALU_DEP_2)
	v_cmpx_ne_u32_e32 0x80, v14
	s_cbranch_execz .LBB0_48
; %bb.43:
	v_bfe_u32 v15, v0, 24, 7
	v_mov_b32_e32 v6, 0x7f800001
	s_mov_b32 s2, exec_lo
	s_delay_alu instid0(VALU_DEP_2)
	v_cmpx_ne_u32_e32 0x7f, v15
	s_cbranch_execz .LBB0_47
; %bb.44:
	v_dual_mov_b32 v7, 0 :: v_dual_and_b32 v6, 7, v14
	v_lshrrev_b32_e32 v0, 3, v15
	s_mov_b32 s3, exec_lo
	v_cmpx_gt_u32_e32 8, v15
; %bb.45:
	s_delay_alu instid0(VALU_DEP_3) | instskip(NEXT) | instid1(VALU_DEP_1)
	v_clz_i32_u32_e32 v0, v6
	v_min_u32_e32 v0, 32, v0
	s_delay_alu instid0(VALU_DEP_1) | instskip(SKIP_1) | instid1(VALU_DEP_2)
	v_subrev_nc_u32_e32 v15, 28, v0
	v_sub_nc_u32_e32 v0, 29, v0
	v_lshlrev_b64 v[6:7], v15, v[6:7]
	s_delay_alu instid0(VALU_DEP_1)
	v_and_b32_e32 v6, 7, v6
; %bb.46:
	s_or_b32 exec_lo, exec_lo, s3
	v_lshlrev_b32_e32 v7, 24, v14
	s_delay_alu instid0(VALU_DEP_2) | instskip(SKIP_1) | instid1(VALU_DEP_3)
	v_lshlrev_b32_e32 v6, 20, v6
	v_lshl_add_u32 v0, v0, 23, 0x3c000000
	v_and_b32_e32 v7, 0x80000000, v7
	s_delay_alu instid0(VALU_DEP_1)
	v_or3_b32 v6, v6, v7, v0
.LBB0_47:
	s_or_b32 exec_lo, exec_lo, s2
.LBB0_48:
	s_delay_alu instid0(SALU_CYCLE_1)
	s_or_b32 exec_lo, exec_lo, s1
.LBB0_49:
	s_delay_alu instid0(SALU_CYCLE_1) | instskip(NEXT) | instid1(VALU_DEP_1)
	s_or_b32 exec_lo, exec_lo, s0
	v_mul_f32_e32 v0, v10, v6
	s_mov_b32 s0, exec_lo
                                        ; implicit-def: $vgpr14
	s_delay_alu instid0(VALU_DEP_1) | instskip(NEXT) | instid1(VALU_DEP_1)
	v_and_b32_e32 v6, 0x7f800000, v0
	v_cmpx_ne_u32_e32 0x7f800000, v6
	s_xor_b32 s0, exec_lo, s0
; %bb.50:
	v_bfe_u32 v6, v0, 16, 1
	s_delay_alu instid0(VALU_DEP_1)
	v_add3_u32 v14, v0, v6, 0x7fff
                                        ; implicit-def: $vgpr0
; %bb.51:
	s_and_not1_saveexec_b32 s0, s0
; %bb.52:
	v_and_b32_e32 v6, 0xffff, v0
	v_or_b32_e32 v7, 0x10000, v0
	s_delay_alu instid0(VALU_DEP_2) | instskip(NEXT) | instid1(VALU_DEP_2)
	v_cmp_eq_u32_e32 vcc_lo, 0, v6
	v_cndmask_b32_e32 v14, v7, v0, vcc_lo
; %bb.53:
	s_or_b32 exec_lo, exec_lo, s0
	v_and_b32_e32 v6, 0xff, v1
	v_mov_b32_e32 v0, 0
	s_mov_b32 s0, exec_lo
	s_delay_alu instid0(VALU_DEP_2)
	v_cmpx_ne_u16_e32 0, v6
	s_cbranch_execz .LBB0_61
; %bb.54:
	v_bfrev_b32_e32 v0, 1
	s_mov_b32 s1, exec_lo
	v_cmpx_ne_u16_e32 0x80, v6
	s_cbranch_execz .LBB0_60
; %bb.55:
	v_and_b32_e32 v15, 0x7f, v1
	v_mov_b32_e32 v0, 0x7f800001
	s_mov_b32 s2, exec_lo
	s_delay_alu instid0(VALU_DEP_2)
	v_cmpx_ne_u32_e32 0x7f, v15
	s_cbranch_execz .LBB0_59
; %bb.56:
	v_dual_mov_b32 v7, 0 :: v_dual_and_b32 v6, 7, v1
	v_lshrrev_b32_e32 v0, 3, v15
	s_mov_b32 s3, exec_lo
	v_cmpx_gt_u32_e32 8, v15
; %bb.57:
	s_delay_alu instid0(VALU_DEP_3) | instskip(NEXT) | instid1(VALU_DEP_1)
	v_clz_i32_u32_e32 v0, v6
	v_min_u32_e32 v0, 32, v0
	s_delay_alu instid0(VALU_DEP_1) | instskip(SKIP_1) | instid1(VALU_DEP_2)
	v_subrev_nc_u32_e32 v15, 28, v0
	v_sub_nc_u32_e32 v0, 29, v0
	v_lshlrev_b64 v[6:7], v15, v[6:7]
	s_delay_alu instid0(VALU_DEP_1)
	v_and_b32_e32 v6, 7, v6
; %bb.58:
	s_or_b32 exec_lo, exec_lo, s3
	v_lshlrev_b32_e32 v7, 24, v1
	s_delay_alu instid0(VALU_DEP_2) | instskip(SKIP_1) | instid1(VALU_DEP_3)
	v_lshlrev_b32_e32 v6, 20, v6
	v_lshl_add_u32 v0, v0, 23, 0x3c000000
	v_and_b32_e32 v7, 0x80000000, v7
	s_delay_alu instid0(VALU_DEP_1)
	v_or3_b32 v0, v6, v7, v0
.LBB0_59:
	s_or_b32 exec_lo, exec_lo, s2
.LBB0_60:
	s_delay_alu instid0(SALU_CYCLE_1)
	s_or_b32 exec_lo, exec_lo, s1
.LBB0_61:
	s_delay_alu instid0(SALU_CYCLE_1) | instskip(NEXT) | instid1(VALU_DEP_1)
	s_or_b32 exec_lo, exec_lo, s0
	v_mul_f32_e32 v0, v10, v0
	s_mov_b32 s0, exec_lo
                                        ; implicit-def: $vgpr15
	s_delay_alu instid0(VALU_DEP_1) | instskip(NEXT) | instid1(VALU_DEP_1)
	v_and_b32_e32 v6, 0x7f800000, v0
	v_cmpx_ne_u32_e32 0x7f800000, v6
	s_xor_b32 s0, exec_lo, s0
; %bb.62:
	v_bfe_u32 v6, v0, 16, 1
	s_delay_alu instid0(VALU_DEP_1)
	v_add3_u32 v15, v0, v6, 0x7fff
                                        ; implicit-def: $vgpr0
; %bb.63:
	s_and_not1_saveexec_b32 s0, s0
; %bb.64:
	v_and_b32_e32 v6, 0xffff, v0
	v_or_b32_e32 v7, 0x10000, v0
	s_delay_alu instid0(VALU_DEP_2) | instskip(NEXT) | instid1(VALU_DEP_2)
	v_cmp_eq_u32_e32 vcc_lo, 0, v6
	v_cndmask_b32_e32 v15, v7, v0, vcc_lo
; %bb.65:
	s_or_b32 exec_lo, exec_lo, s0
	v_lshrrev_b16 v6, 8, v1
	v_mov_b32_e32 v0, 0
	s_mov_b32 s0, exec_lo
	s_delay_alu instid0(VALU_DEP_2)
	v_cmpx_ne_u16_e32 0, v6
	s_cbranch_execz .LBB0_73
; %bb.66:
	v_bfrev_b32_e32 v0, 1
	s_mov_b32 s1, exec_lo
	v_cmpx_ne_u16_e32 0x80, v6
	s_cbranch_execz .LBB0_72
; %bb.67:
	v_and_b32_e32 v6, 0xffff, v6
	v_mov_b32_e32 v0, 0x7f800001
	s_mov_b32 s2, exec_lo
	s_delay_alu instid0(VALU_DEP_2) | instskip(NEXT) | instid1(VALU_DEP_1)
	v_and_b32_e32 v16, 0x7f, v6
	v_cmpx_ne_u32_e32 0x7f, v16
	s_cbranch_execz .LBB0_71
; %bb.68:
	v_dual_mov_b32 v7, 0 :: v_dual_and_b32 v6, 7, v6
	v_lshrrev_b32_e32 v0, 3, v16
	s_mov_b32 s3, exec_lo
	v_cmpx_gt_u32_e32 8, v16
; %bb.69:
	s_delay_alu instid0(VALU_DEP_3) | instskip(NEXT) | instid1(VALU_DEP_1)
	v_clz_i32_u32_e32 v0, v6
	v_min_u32_e32 v0, 32, v0
	s_delay_alu instid0(VALU_DEP_1) | instskip(SKIP_1) | instid1(VALU_DEP_2)
	v_subrev_nc_u32_e32 v16, 28, v0
	v_sub_nc_u32_e32 v0, 29, v0
	v_lshlrev_b64 v[6:7], v16, v[6:7]
	s_delay_alu instid0(VALU_DEP_1)
	v_and_b32_e32 v6, 7, v6
; %bb.70:
	s_or_b32 exec_lo, exec_lo, s3
	v_lshlrev_b32_e32 v7, 16, v1
	s_delay_alu instid0(VALU_DEP_2) | instskip(SKIP_1) | instid1(VALU_DEP_3)
	v_lshlrev_b32_e32 v6, 20, v6
	v_lshl_add_u32 v0, v0, 23, 0x3c000000
	v_and_b32_e32 v7, 0x80000000, v7
	s_delay_alu instid0(VALU_DEP_1)
	v_or3_b32 v0, v6, v7, v0
.LBB0_71:
	s_or_b32 exec_lo, exec_lo, s2
.LBB0_72:
	s_delay_alu instid0(SALU_CYCLE_1)
	s_or_b32 exec_lo, exec_lo, s1
.LBB0_73:
	s_delay_alu instid0(SALU_CYCLE_1) | instskip(NEXT) | instid1(VALU_DEP_1)
	s_or_b32 exec_lo, exec_lo, s0
	v_mul_f32_e32 v0, v10, v0
	s_mov_b32 s0, exec_lo
                                        ; implicit-def: $vgpr16
	s_delay_alu instid0(VALU_DEP_1) | instskip(NEXT) | instid1(VALU_DEP_1)
	v_and_b32_e32 v6, 0x7f800000, v0
	v_cmpx_ne_u32_e32 0x7f800000, v6
	s_xor_b32 s0, exec_lo, s0
; %bb.74:
	v_bfe_u32 v6, v0, 16, 1
	s_delay_alu instid0(VALU_DEP_1)
	v_add3_u32 v16, v0, v6, 0x7fff
                                        ; implicit-def: $vgpr0
; %bb.75:
	s_and_not1_saveexec_b32 s0, s0
; %bb.76:
	v_and_b32_e32 v6, 0xffff, v0
	v_or_b32_e32 v7, 0x10000, v0
	s_delay_alu instid0(VALU_DEP_2) | instskip(NEXT) | instid1(VALU_DEP_2)
	v_cmp_eq_u32_e32 vcc_lo, 0, v6
	v_cndmask_b32_e32 v16, v7, v0, vcc_lo
; %bb.77:
	s_or_b32 exec_lo, exec_lo, s0
	v_lshrrev_b32_e32 v0, 16, v1
	s_mov_b32 s0, exec_lo
	s_delay_alu instid0(VALU_DEP_1) | instskip(NEXT) | instid1(VALU_DEP_1)
	v_dual_mov_b32 v6, 0 :: v_dual_and_b32 v7, 0xff, v0
	v_cmpx_ne_u16_e32 0, v7
	s_cbranch_execz .LBB0_85
; %bb.78:
	v_bfrev_b32_e32 v6, 1
	s_mov_b32 s1, exec_lo
	v_cmpx_ne_u16_e32 0x80, v7
	s_cbranch_execz .LBB0_84
; %bb.79:
	v_bfe_u32 v18, v1, 16, 7
	v_mov_b32_e32 v6, 0x7f800001
	s_mov_b32 s2, exec_lo
	s_delay_alu instid0(VALU_DEP_2)
	v_cmpx_ne_u32_e32 0x7f, v18
	s_cbranch_execz .LBB0_83
; %bb.80:
	v_dual_mov_b32 v7, 0 :: v_dual_and_b32 v6, 7, v0
	v_lshrrev_b32_e32 v17, 3, v18
	s_mov_b32 s3, exec_lo
	v_cmpx_gt_u32_e32 8, v18
; %bb.81:
	s_delay_alu instid0(VALU_DEP_3) | instskip(NEXT) | instid1(VALU_DEP_1)
	v_clz_i32_u32_e32 v17, v6
	v_min_u32_e32 v17, 32, v17
	s_delay_alu instid0(VALU_DEP_1) | instskip(SKIP_1) | instid1(VALU_DEP_2)
	v_subrev_nc_u32_e32 v18, 28, v17
	v_sub_nc_u32_e32 v17, 29, v17
	v_lshlrev_b64 v[6:7], v18, v[6:7]
	s_delay_alu instid0(VALU_DEP_1)
	v_and_b32_e32 v6, 7, v6
; %bb.82:
	s_or_b32 exec_lo, exec_lo, s3
	v_lshlrev_b32_e32 v0, 24, v0
	s_delay_alu instid0(VALU_DEP_2) | instskip(SKIP_1) | instid1(VALU_DEP_3)
	v_lshlrev_b32_e32 v6, 20, v6
	v_lshl_add_u32 v7, v17, 23, 0x3c000000
	v_and_b32_e32 v0, 0x80000000, v0
	s_delay_alu instid0(VALU_DEP_1)
	v_or3_b32 v6, v6, v0, v7
.LBB0_83:
	s_or_b32 exec_lo, exec_lo, s2
.LBB0_84:
	s_delay_alu instid0(SALU_CYCLE_1)
	s_or_b32 exec_lo, exec_lo, s1
.LBB0_85:
	s_delay_alu instid0(SALU_CYCLE_1) | instskip(NEXT) | instid1(VALU_DEP_1)
	s_or_b32 exec_lo, exec_lo, s0
	v_mul_f32_e32 v0, v10, v6
	s_delay_alu instid0(VALU_DEP_1) | instskip(NEXT) | instid1(VALU_DEP_1)
	v_and_b32_e32 v6, 0x7f800000, v0
	v_cmp_ne_u32_e32 vcc_lo, 0x7f800000, v6
                                        ; implicit-def: $vgpr6
	s_and_saveexec_b32 s0, vcc_lo
	s_delay_alu instid0(SALU_CYCLE_1)
	s_xor_b32 s0, exec_lo, s0
; %bb.86:
	v_bfe_u32 v6, v0, 16, 1
	s_delay_alu instid0(VALU_DEP_1)
	v_add3_u32 v6, v0, v6, 0x7fff
                                        ; implicit-def: $vgpr0
; %bb.87:
	s_and_not1_saveexec_b32 s0, s0
; %bb.88:
	v_and_b32_e32 v6, 0xffff, v0
	v_or_b32_e32 v7, 0x10000, v0
	s_delay_alu instid0(VALU_DEP_2) | instskip(NEXT) | instid1(VALU_DEP_2)
	v_cmp_eq_u32_e32 vcc_lo, 0, v6
	v_cndmask_b32_e32 v6, v7, v0, vcc_lo
; %bb.89:
	s_or_b32 exec_lo, exec_lo, s0
	v_mov_b32_e32 v0, 0
	s_mov_b32 s0, exec_lo
	v_cmpx_lt_u32_e32 0xffffff, v1
	s_cbranch_execz .LBB0_97
; %bb.90:
	v_lshrrev_b32_e32 v7, 24, v1
	v_bfrev_b32_e32 v0, 1
	s_mov_b32 s1, exec_lo
	s_delay_alu instid0(VALU_DEP_2)
	v_cmpx_ne_u32_e32 0x80, v7
	s_cbranch_execz .LBB0_96
; %bb.91:
	v_bfe_u32 v18, v1, 24, 7
	v_mov_b32_e32 v0, 0x7f800001
	s_mov_b32 s2, exec_lo
	s_delay_alu instid0(VALU_DEP_2)
	v_cmpx_ne_u32_e32 0x7f, v18
	s_cbranch_execz .LBB0_95
; %bb.92:
	v_dual_mov_b32 v1, 0 :: v_dual_and_b32 v0, 7, v7
	v_lshrrev_b32_e32 v17, 3, v18
	s_mov_b32 s3, exec_lo
	v_cmpx_gt_u32_e32 8, v18
; %bb.93:
	s_delay_alu instid0(VALU_DEP_3) | instskip(NEXT) | instid1(VALU_DEP_1)
	v_clz_i32_u32_e32 v17, v0
	v_min_u32_e32 v17, 32, v17
	s_delay_alu instid0(VALU_DEP_1) | instskip(SKIP_1) | instid1(VALU_DEP_2)
	v_subrev_nc_u32_e32 v18, 28, v17
	v_sub_nc_u32_e32 v17, 29, v17
	v_lshlrev_b64 v[0:1], v18, v[0:1]
	s_delay_alu instid0(VALU_DEP_1)
	v_and_b32_e32 v0, 7, v0
; %bb.94:
	s_or_b32 exec_lo, exec_lo, s3
	v_lshlrev_b32_e32 v1, 24, v7
	s_delay_alu instid0(VALU_DEP_2) | instskip(SKIP_1) | instid1(VALU_DEP_3)
	v_lshlrev_b32_e32 v0, 20, v0
	v_lshl_add_u32 v7, v17, 23, 0x3c000000
	v_and_b32_e32 v1, 0x80000000, v1
	s_delay_alu instid0(VALU_DEP_1)
	v_or3_b32 v0, v0, v1, v7
.LBB0_95:
	s_or_b32 exec_lo, exec_lo, s2
.LBB0_96:
	s_delay_alu instid0(SALU_CYCLE_1)
	s_or_b32 exec_lo, exec_lo, s1
.LBB0_97:
	s_delay_alu instid0(SALU_CYCLE_1) | instskip(NEXT) | instid1(VALU_DEP_1)
	s_or_b32 exec_lo, exec_lo, s0
	v_mul_f32_e32 v0, v10, v0
	s_mov_b32 s0, exec_lo
                                        ; implicit-def: $vgpr7
	s_delay_alu instid0(VALU_DEP_1) | instskip(NEXT) | instid1(VALU_DEP_1)
	v_and_b32_e32 v1, 0x7f800000, v0
	v_cmpx_ne_u32_e32 0x7f800000, v1
	s_xor_b32 s0, exec_lo, s0
; %bb.98:
	v_bfe_u32 v1, v0, 16, 1
	s_delay_alu instid0(VALU_DEP_1)
	v_add3_u32 v7, v0, v1, 0x7fff
                                        ; implicit-def: $vgpr0
; %bb.99:
	s_and_not1_saveexec_b32 s0, s0
; %bb.100:
	v_and_b32_e32 v1, 0xffff, v0
	v_or_b32_e32 v7, 0x10000, v0
	s_delay_alu instid0(VALU_DEP_2) | instskip(NEXT) | instid1(VALU_DEP_2)
	v_cmp_eq_u32_e32 vcc_lo, 0, v1
	v_cndmask_b32_e32 v7, v7, v0, vcc_lo
; %bb.101:
	s_or_b32 exec_lo, exec_lo, s0
	v_dual_mov_b32 v0, 0 :: v_dual_and_b32 v1, 0xff, v2
	s_mov_b32 s0, exec_lo
	s_delay_alu instid0(VALU_DEP_1)
	v_cmpx_ne_u16_e32 0, v1
	s_cbranch_execz .LBB0_109
; %bb.102:
	v_bfrev_b32_e32 v0, 1
	s_mov_b32 s1, exec_lo
	v_cmpx_ne_u16_e32 0x80, v1
	s_cbranch_execz .LBB0_108
; %bb.103:
	v_and_b32_e32 v18, 0x7f, v2
	v_mov_b32_e32 v0, 0x7f800001
	s_mov_b32 s2, exec_lo
	s_delay_alu instid0(VALU_DEP_2)
	v_cmpx_ne_u32_e32 0x7f, v18
	s_cbranch_execz .LBB0_107
; %bb.104:
	v_dual_mov_b32 v1, 0 :: v_dual_and_b32 v0, 7, v2
	v_lshrrev_b32_e32 v17, 3, v18
	s_mov_b32 s3, exec_lo
	v_cmpx_gt_u32_e32 8, v18
; %bb.105:
	s_delay_alu instid0(VALU_DEP_3) | instskip(NEXT) | instid1(VALU_DEP_1)
	v_clz_i32_u32_e32 v17, v0
	v_min_u32_e32 v17, 32, v17
	s_delay_alu instid0(VALU_DEP_1) | instskip(SKIP_1) | instid1(VALU_DEP_2)
	v_subrev_nc_u32_e32 v18, 28, v17
	v_sub_nc_u32_e32 v17, 29, v17
	v_lshlrev_b64 v[0:1], v18, v[0:1]
	s_delay_alu instid0(VALU_DEP_1)
	v_and_b32_e32 v0, 7, v0
; %bb.106:
	s_or_b32 exec_lo, exec_lo, s3
	v_lshlrev_b32_e32 v1, 24, v2
	s_delay_alu instid0(VALU_DEP_2) | instskip(SKIP_1) | instid1(VALU_DEP_3)
	v_lshlrev_b32_e32 v0, 20, v0
	v_lshl_add_u32 v17, v17, 23, 0x3c000000
	v_and_b32_e32 v1, 0x80000000, v1
	s_delay_alu instid0(VALU_DEP_1)
	v_or3_b32 v0, v0, v1, v17
.LBB0_107:
	s_or_b32 exec_lo, exec_lo, s2
.LBB0_108:
	s_delay_alu instid0(SALU_CYCLE_1)
	s_or_b32 exec_lo, exec_lo, s1
.LBB0_109:
	s_delay_alu instid0(SALU_CYCLE_1) | instskip(NEXT) | instid1(VALU_DEP_1)
	s_or_b32 exec_lo, exec_lo, s0
	v_mul_f32_e32 v0, v10, v0
	s_mov_b32 s0, exec_lo
                                        ; implicit-def: $vgpr17
	s_delay_alu instid0(VALU_DEP_1) | instskip(NEXT) | instid1(VALU_DEP_1)
	v_and_b32_e32 v1, 0x7f800000, v0
	v_cmpx_ne_u32_e32 0x7f800000, v1
	s_xor_b32 s0, exec_lo, s0
; %bb.110:
	v_bfe_u32 v1, v0, 16, 1
	s_delay_alu instid0(VALU_DEP_1)
	v_add3_u32 v17, v0, v1, 0x7fff
                                        ; implicit-def: $vgpr0
; %bb.111:
	s_and_not1_saveexec_b32 s0, s0
; %bb.112:
	v_and_b32_e32 v1, 0xffff, v0
	v_or_b32_e32 v17, 0x10000, v0
	s_delay_alu instid0(VALU_DEP_2) | instskip(NEXT) | instid1(VALU_DEP_2)
	v_cmp_eq_u32_e32 vcc_lo, 0, v1
	v_cndmask_b32_e32 v17, v17, v0, vcc_lo
; %bb.113:
	s_or_b32 exec_lo, exec_lo, s0
	v_lshrrev_b16 v1, 8, v2
	v_mov_b32_e32 v0, 0
	s_mov_b32 s0, exec_lo
	s_delay_alu instid0(VALU_DEP_2)
	v_cmpx_ne_u16_e32 0, v1
	s_cbranch_execz .LBB0_121
; %bb.114:
	v_bfrev_b32_e32 v0, 1
	s_mov_b32 s1, exec_lo
	v_cmpx_ne_u16_e32 0x80, v1
	s_cbranch_execz .LBB0_120
; %bb.115:
	v_and_b32_e32 v1, 0xffff, v1
	v_mov_b32_e32 v0, 0x7f800001
	s_mov_b32 s2, exec_lo
	s_delay_alu instid0(VALU_DEP_2) | instskip(NEXT) | instid1(VALU_DEP_1)
	v_and_b32_e32 v19, 0x7f, v1
	v_cmpx_ne_u32_e32 0x7f, v19
	s_cbranch_execz .LBB0_119
; %bb.116:
	v_dual_mov_b32 v1, 0 :: v_dual_and_b32 v0, 7, v1
	v_lshrrev_b32_e32 v18, 3, v19
	s_mov_b32 s3, exec_lo
	v_cmpx_gt_u32_e32 8, v19
; %bb.117:
	s_delay_alu instid0(VALU_DEP_3) | instskip(NEXT) | instid1(VALU_DEP_1)
	v_clz_i32_u32_e32 v18, v0
	v_min_u32_e32 v18, 32, v18
	s_delay_alu instid0(VALU_DEP_1) | instskip(SKIP_1) | instid1(VALU_DEP_2)
	v_subrev_nc_u32_e32 v19, 28, v18
	v_sub_nc_u32_e32 v18, 29, v18
	v_lshlrev_b64 v[0:1], v19, v[0:1]
	s_delay_alu instid0(VALU_DEP_1)
	v_and_b32_e32 v0, 7, v0
; %bb.118:
	s_or_b32 exec_lo, exec_lo, s3
	v_lshlrev_b32_e32 v1, 16, v2
	s_delay_alu instid0(VALU_DEP_2) | instskip(SKIP_1) | instid1(VALU_DEP_3)
	v_lshlrev_b32_e32 v0, 20, v0
	v_lshl_add_u32 v18, v18, 23, 0x3c000000
	v_and_b32_e32 v1, 0x80000000, v1
	s_delay_alu instid0(VALU_DEP_1)
	v_or3_b32 v0, v0, v1, v18
.LBB0_119:
	s_or_b32 exec_lo, exec_lo, s2
.LBB0_120:
	s_delay_alu instid0(SALU_CYCLE_1)
	s_or_b32 exec_lo, exec_lo, s1
.LBB0_121:
	s_delay_alu instid0(SALU_CYCLE_1) | instskip(NEXT) | instid1(VALU_DEP_1)
	s_or_b32 exec_lo, exec_lo, s0
	v_mul_f32_e32 v0, v10, v0
	s_mov_b32 s0, exec_lo
                                        ; implicit-def: $vgpr18
	s_delay_alu instid0(VALU_DEP_1) | instskip(NEXT) | instid1(VALU_DEP_1)
	v_and_b32_e32 v1, 0x7f800000, v0
	v_cmpx_ne_u32_e32 0x7f800000, v1
	s_xor_b32 s0, exec_lo, s0
; %bb.122:
	v_bfe_u32 v1, v0, 16, 1
	s_delay_alu instid0(VALU_DEP_1)
	v_add3_u32 v18, v0, v1, 0x7fff
                                        ; implicit-def: $vgpr0
; %bb.123:
	s_and_not1_saveexec_b32 s0, s0
; %bb.124:
	v_and_b32_e32 v1, 0xffff, v0
	v_or_b32_e32 v18, 0x10000, v0
	s_delay_alu instid0(VALU_DEP_2) | instskip(NEXT) | instid1(VALU_DEP_2)
	v_cmp_eq_u32_e32 vcc_lo, 0, v1
	v_cndmask_b32_e32 v18, v18, v0, vcc_lo
; %bb.125:
	s_or_b32 exec_lo, exec_lo, s0
	v_lshrrev_b32_e32 v19, 16, v2
	s_mov_b32 s0, exec_lo
	s_delay_alu instid0(VALU_DEP_1) | instskip(NEXT) | instid1(VALU_DEP_1)
	v_dual_mov_b32 v0, 0 :: v_dual_and_b32 v1, 0xff, v19
	v_cmpx_ne_u16_e32 0, v1
	s_cbranch_execz .LBB0_133
; %bb.126:
	v_bfrev_b32_e32 v0, 1
	s_mov_b32 s1, exec_lo
	v_cmpx_ne_u16_e32 0x80, v1
	s_cbranch_execz .LBB0_132
; %bb.127:
	v_bfe_u32 v21, v2, 16, 7
	v_mov_b32_e32 v0, 0x7f800001
	s_mov_b32 s2, exec_lo
	s_delay_alu instid0(VALU_DEP_2)
	v_cmpx_ne_u32_e32 0x7f, v21
	s_cbranch_execz .LBB0_131
; %bb.128:
	v_dual_mov_b32 v1, 0 :: v_dual_and_b32 v0, 7, v19
	v_lshrrev_b32_e32 v20, 3, v21
	s_mov_b32 s3, exec_lo
	v_cmpx_gt_u32_e32 8, v21
; %bb.129:
	s_delay_alu instid0(VALU_DEP_3) | instskip(NEXT) | instid1(VALU_DEP_1)
	v_clz_i32_u32_e32 v20, v0
	v_min_u32_e32 v20, 32, v20
	s_delay_alu instid0(VALU_DEP_1) | instskip(SKIP_1) | instid1(VALU_DEP_2)
	v_subrev_nc_u32_e32 v21, 28, v20
	v_sub_nc_u32_e32 v20, 29, v20
	v_lshlrev_b64 v[0:1], v21, v[0:1]
	s_delay_alu instid0(VALU_DEP_1)
	v_and_b32_e32 v0, 7, v0
; %bb.130:
	s_or_b32 exec_lo, exec_lo, s3
	v_lshlrev_b32_e32 v1, 24, v19
	s_delay_alu instid0(VALU_DEP_2) | instskip(SKIP_1) | instid1(VALU_DEP_3)
	v_lshlrev_b32_e32 v0, 20, v0
	v_lshl_add_u32 v19, v20, 23, 0x3c000000
	v_and_b32_e32 v1, 0x80000000, v1
	s_delay_alu instid0(VALU_DEP_1)
	v_or3_b32 v0, v0, v1, v19
.LBB0_131:
	s_or_b32 exec_lo, exec_lo, s2
.LBB0_132:
	s_delay_alu instid0(SALU_CYCLE_1)
	s_or_b32 exec_lo, exec_lo, s1
.LBB0_133:
	s_delay_alu instid0(SALU_CYCLE_1) | instskip(NEXT) | instid1(VALU_DEP_1)
	s_or_b32 exec_lo, exec_lo, s0
	v_mul_f32_e32 v0, v10, v0
	s_mov_b32 s0, exec_lo
                                        ; implicit-def: $vgpr19
	s_delay_alu instid0(VALU_DEP_1) | instskip(NEXT) | instid1(VALU_DEP_1)
	v_and_b32_e32 v1, 0x7f800000, v0
	v_cmpx_ne_u32_e32 0x7f800000, v1
	s_xor_b32 s0, exec_lo, s0
; %bb.134:
	v_bfe_u32 v1, v0, 16, 1
	s_delay_alu instid0(VALU_DEP_1)
	v_add3_u32 v19, v0, v1, 0x7fff
                                        ; implicit-def: $vgpr0
; %bb.135:
	s_and_not1_saveexec_b32 s0, s0
; %bb.136:
	v_and_b32_e32 v1, 0xffff, v0
	v_or_b32_e32 v19, 0x10000, v0
	s_delay_alu instid0(VALU_DEP_2) | instskip(NEXT) | instid1(VALU_DEP_2)
	v_cmp_eq_u32_e32 vcc_lo, 0, v1
	v_cndmask_b32_e32 v19, v19, v0, vcc_lo
; %bb.137:
	s_or_b32 exec_lo, exec_lo, s0
	v_mov_b32_e32 v0, 0
	s_mov_b32 s0, exec_lo
	v_cmpx_lt_u32_e32 0xffffff, v2
	s_cbranch_execz .LBB0_145
; %bb.138:
	v_lshrrev_b32_e32 v20, 24, v2
	v_bfrev_b32_e32 v0, 1
	s_mov_b32 s1, exec_lo
	s_delay_alu instid0(VALU_DEP_2)
	v_cmpx_ne_u32_e32 0x80, v20
	s_cbranch_execz .LBB0_144
; %bb.139:
	v_bfe_u32 v21, v2, 24, 7
	v_mov_b32_e32 v0, 0x7f800001
	s_mov_b32 s2, exec_lo
	s_delay_alu instid0(VALU_DEP_2)
	v_cmpx_ne_u32_e32 0x7f, v21
	s_cbranch_execz .LBB0_143
; %bb.140:
	v_dual_mov_b32 v1, 0 :: v_dual_and_b32 v0, 7, v20
	v_lshrrev_b32_e32 v2, 3, v21
	s_mov_b32 s3, exec_lo
	v_cmpx_gt_u32_e32 8, v21
; %bb.141:
	s_delay_alu instid0(VALU_DEP_3) | instskip(NEXT) | instid1(VALU_DEP_1)
	v_clz_i32_u32_e32 v2, v0
	v_min_u32_e32 v2, 32, v2
	s_delay_alu instid0(VALU_DEP_1) | instskip(SKIP_1) | instid1(VALU_DEP_2)
	v_subrev_nc_u32_e32 v21, 28, v2
	v_sub_nc_u32_e32 v2, 29, v2
	v_lshlrev_b64 v[0:1], v21, v[0:1]
	s_delay_alu instid0(VALU_DEP_1)
	v_and_b32_e32 v0, 7, v0
; %bb.142:
	s_or_b32 exec_lo, exec_lo, s3
	v_lshlrev_b32_e32 v1, 24, v20
	s_delay_alu instid0(VALU_DEP_2) | instskip(SKIP_1) | instid1(VALU_DEP_3)
	v_lshlrev_b32_e32 v0, 20, v0
	v_lshl_add_u32 v2, v2, 23, 0x3c000000
	v_and_b32_e32 v1, 0x80000000, v1
	s_delay_alu instid0(VALU_DEP_1)
	v_or3_b32 v0, v0, v1, v2
.LBB0_143:
	s_or_b32 exec_lo, exec_lo, s2
.LBB0_144:
	s_delay_alu instid0(SALU_CYCLE_1)
	s_or_b32 exec_lo, exec_lo, s1
.LBB0_145:
	s_delay_alu instid0(SALU_CYCLE_1) | instskip(NEXT) | instid1(VALU_DEP_1)
	s_or_b32 exec_lo, exec_lo, s0
	v_mul_f32_e32 v0, v10, v0
	s_mov_b32 s0, exec_lo
                                        ; implicit-def: $vgpr2
	s_delay_alu instid0(VALU_DEP_1) | instskip(NEXT) | instid1(VALU_DEP_1)
	v_and_b32_e32 v1, 0x7f800000, v0
	v_cmpx_ne_u32_e32 0x7f800000, v1
	s_xor_b32 s0, exec_lo, s0
; %bb.146:
	v_bfe_u32 v1, v0, 16, 1
	s_delay_alu instid0(VALU_DEP_1)
	v_add3_u32 v2, v0, v1, 0x7fff
                                        ; implicit-def: $vgpr0
; %bb.147:
	s_and_not1_saveexec_b32 s0, s0
; %bb.148:
	v_and_b32_e32 v1, 0xffff, v0
	v_or_b32_e32 v2, 0x10000, v0
	s_delay_alu instid0(VALU_DEP_2) | instskip(NEXT) | instid1(VALU_DEP_2)
	v_cmp_eq_u32_e32 vcc_lo, 0, v1
	v_cndmask_b32_e32 v2, v2, v0, vcc_lo
; %bb.149:
	s_or_b32 exec_lo, exec_lo, s0
	v_dual_mov_b32 v0, 0 :: v_dual_and_b32 v1, 0xff, v3
	s_mov_b32 s0, exec_lo
	s_delay_alu instid0(VALU_DEP_1)
	v_cmpx_ne_u16_e32 0, v1
	s_cbranch_execz .LBB0_157
; %bb.150:
	v_bfrev_b32_e32 v0, 1
	s_mov_b32 s1, exec_lo
	v_cmpx_ne_u16_e32 0x80, v1
	s_cbranch_execz .LBB0_156
; %bb.151:
	v_and_b32_e32 v21, 0x7f, v3
	v_mov_b32_e32 v0, 0x7f800001
	s_mov_b32 s2, exec_lo
	s_delay_alu instid0(VALU_DEP_2)
	v_cmpx_ne_u32_e32 0x7f, v21
	s_cbranch_execz .LBB0_155
; %bb.152:
	v_dual_mov_b32 v1, 0 :: v_dual_and_b32 v0, 7, v3
	v_lshrrev_b32_e32 v20, 3, v21
	s_mov_b32 s3, exec_lo
	v_cmpx_gt_u32_e32 8, v21
; %bb.153:
	s_delay_alu instid0(VALU_DEP_3) | instskip(NEXT) | instid1(VALU_DEP_1)
	v_clz_i32_u32_e32 v20, v0
	v_min_u32_e32 v20, 32, v20
	s_delay_alu instid0(VALU_DEP_1) | instskip(SKIP_1) | instid1(VALU_DEP_2)
	v_subrev_nc_u32_e32 v21, 28, v20
	v_sub_nc_u32_e32 v20, 29, v20
	v_lshlrev_b64 v[0:1], v21, v[0:1]
	s_delay_alu instid0(VALU_DEP_1)
	v_and_b32_e32 v0, 7, v0
; %bb.154:
	s_or_b32 exec_lo, exec_lo, s3
	v_lshlrev_b32_e32 v1, 24, v3
	s_delay_alu instid0(VALU_DEP_2) | instskip(SKIP_1) | instid1(VALU_DEP_3)
	v_lshlrev_b32_e32 v0, 20, v0
	v_lshl_add_u32 v20, v20, 23, 0x3c000000
	v_and_b32_e32 v1, 0x80000000, v1
	s_delay_alu instid0(VALU_DEP_1)
	v_or3_b32 v0, v0, v1, v20
.LBB0_155:
	s_or_b32 exec_lo, exec_lo, s2
.LBB0_156:
	s_delay_alu instid0(SALU_CYCLE_1)
	s_or_b32 exec_lo, exec_lo, s1
.LBB0_157:
	s_delay_alu instid0(SALU_CYCLE_1) | instskip(NEXT) | instid1(VALU_DEP_1)
	s_or_b32 exec_lo, exec_lo, s0
	v_mul_f32_e32 v0, v10, v0
	s_mov_b32 s0, exec_lo
                                        ; implicit-def: $vgpr20
	s_delay_alu instid0(VALU_DEP_1) | instskip(NEXT) | instid1(VALU_DEP_1)
	v_and_b32_e32 v1, 0x7f800000, v0
	v_cmpx_ne_u32_e32 0x7f800000, v1
	s_xor_b32 s0, exec_lo, s0
; %bb.158:
	v_bfe_u32 v1, v0, 16, 1
	s_delay_alu instid0(VALU_DEP_1)
	v_add3_u32 v20, v0, v1, 0x7fff
                                        ; implicit-def: $vgpr0
; %bb.159:
	s_and_not1_saveexec_b32 s0, s0
; %bb.160:
	v_and_b32_e32 v1, 0xffff, v0
	v_or_b32_e32 v20, 0x10000, v0
	s_delay_alu instid0(VALU_DEP_2) | instskip(NEXT) | instid1(VALU_DEP_2)
	v_cmp_eq_u32_e32 vcc_lo, 0, v1
	v_cndmask_b32_e32 v20, v20, v0, vcc_lo
; %bb.161:
	s_or_b32 exec_lo, exec_lo, s0
	v_lshrrev_b16 v1, 8, v3
	v_mov_b32_e32 v0, 0
	s_mov_b32 s0, exec_lo
	s_delay_alu instid0(VALU_DEP_2)
	v_cmpx_ne_u16_e32 0, v1
	s_cbranch_execz .LBB0_169
; %bb.162:
	v_bfrev_b32_e32 v0, 1
	s_mov_b32 s1, exec_lo
	v_cmpx_ne_u16_e32 0x80, v1
	s_cbranch_execz .LBB0_168
; %bb.163:
	v_and_b32_e32 v1, 0xffff, v1
	v_mov_b32_e32 v0, 0x7f800001
	s_mov_b32 s2, exec_lo
	s_delay_alu instid0(VALU_DEP_2) | instskip(NEXT) | instid1(VALU_DEP_1)
	v_and_b32_e32 v22, 0x7f, v1
	v_cmpx_ne_u32_e32 0x7f, v22
	s_cbranch_execz .LBB0_167
; %bb.164:
	v_dual_mov_b32 v1, 0 :: v_dual_and_b32 v0, 7, v1
	v_lshrrev_b32_e32 v21, 3, v22
	s_mov_b32 s3, exec_lo
	v_cmpx_gt_u32_e32 8, v22
; %bb.165:
	s_delay_alu instid0(VALU_DEP_3) | instskip(NEXT) | instid1(VALU_DEP_1)
	v_clz_i32_u32_e32 v21, v0
	v_min_u32_e32 v21, 32, v21
	s_delay_alu instid0(VALU_DEP_1) | instskip(SKIP_1) | instid1(VALU_DEP_2)
	v_subrev_nc_u32_e32 v22, 28, v21
	v_sub_nc_u32_e32 v21, 29, v21
	v_lshlrev_b64 v[0:1], v22, v[0:1]
	s_delay_alu instid0(VALU_DEP_1)
	v_and_b32_e32 v0, 7, v0
; %bb.166:
	s_or_b32 exec_lo, exec_lo, s3
	v_lshlrev_b32_e32 v1, 16, v3
	s_delay_alu instid0(VALU_DEP_2) | instskip(SKIP_1) | instid1(VALU_DEP_3)
	v_lshlrev_b32_e32 v0, 20, v0
	v_lshl_add_u32 v21, v21, 23, 0x3c000000
	v_and_b32_e32 v1, 0x80000000, v1
	s_delay_alu instid0(VALU_DEP_1)
	v_or3_b32 v0, v0, v1, v21
.LBB0_167:
	s_or_b32 exec_lo, exec_lo, s2
.LBB0_168:
	s_delay_alu instid0(SALU_CYCLE_1)
	s_or_b32 exec_lo, exec_lo, s1
.LBB0_169:
	s_delay_alu instid0(SALU_CYCLE_1) | instskip(NEXT) | instid1(VALU_DEP_1)
	s_or_b32 exec_lo, exec_lo, s0
	v_mul_f32_e32 v0, v10, v0
	s_mov_b32 s0, exec_lo
                                        ; implicit-def: $vgpr21
	s_delay_alu instid0(VALU_DEP_1) | instskip(NEXT) | instid1(VALU_DEP_1)
	v_and_b32_e32 v1, 0x7f800000, v0
	v_cmpx_ne_u32_e32 0x7f800000, v1
	s_xor_b32 s0, exec_lo, s0
; %bb.170:
	v_bfe_u32 v1, v0, 16, 1
	s_delay_alu instid0(VALU_DEP_1)
	v_add3_u32 v21, v0, v1, 0x7fff
                                        ; implicit-def: $vgpr0
; %bb.171:
	s_and_not1_saveexec_b32 s0, s0
; %bb.172:
	v_and_b32_e32 v1, 0xffff, v0
	v_or_b32_e32 v21, 0x10000, v0
	s_delay_alu instid0(VALU_DEP_2) | instskip(NEXT) | instid1(VALU_DEP_2)
	v_cmp_eq_u32_e32 vcc_lo, 0, v1
	v_cndmask_b32_e32 v21, v21, v0, vcc_lo
; %bb.173:
	s_or_b32 exec_lo, exec_lo, s0
	v_lshrrev_b32_e32 v22, 16, v3
	s_mov_b32 s0, exec_lo
	s_delay_alu instid0(VALU_DEP_1) | instskip(NEXT) | instid1(VALU_DEP_1)
	v_dual_mov_b32 v0, 0 :: v_dual_and_b32 v1, 0xff, v22
	v_cmpx_ne_u16_e32 0, v1
	s_cbranch_execz .LBB0_181
; %bb.174:
	v_bfrev_b32_e32 v0, 1
	s_mov_b32 s1, exec_lo
	v_cmpx_ne_u16_e32 0x80, v1
	s_cbranch_execz .LBB0_180
; %bb.175:
	v_bfe_u32 v24, v3, 16, 7
	v_mov_b32_e32 v0, 0x7f800001
	s_mov_b32 s2, exec_lo
	s_delay_alu instid0(VALU_DEP_2)
	v_cmpx_ne_u32_e32 0x7f, v24
	s_cbranch_execz .LBB0_179
; %bb.176:
	v_dual_mov_b32 v1, 0 :: v_dual_and_b32 v0, 7, v22
	v_lshrrev_b32_e32 v23, 3, v24
	s_mov_b32 s3, exec_lo
	v_cmpx_gt_u32_e32 8, v24
; %bb.177:
	s_delay_alu instid0(VALU_DEP_3) | instskip(NEXT) | instid1(VALU_DEP_1)
	v_clz_i32_u32_e32 v23, v0
	v_min_u32_e32 v23, 32, v23
	s_delay_alu instid0(VALU_DEP_1) | instskip(SKIP_1) | instid1(VALU_DEP_2)
	v_subrev_nc_u32_e32 v24, 28, v23
	v_sub_nc_u32_e32 v23, 29, v23
	v_lshlrev_b64 v[0:1], v24, v[0:1]
	s_delay_alu instid0(VALU_DEP_1)
	v_and_b32_e32 v0, 7, v0
; %bb.178:
	s_or_b32 exec_lo, exec_lo, s3
	v_lshlrev_b32_e32 v1, 24, v22
	s_delay_alu instid0(VALU_DEP_2) | instskip(SKIP_1) | instid1(VALU_DEP_3)
	v_lshlrev_b32_e32 v0, 20, v0
	v_lshl_add_u32 v22, v23, 23, 0x3c000000
	v_and_b32_e32 v1, 0x80000000, v1
	s_delay_alu instid0(VALU_DEP_1)
	v_or3_b32 v0, v0, v1, v22
.LBB0_179:
	s_or_b32 exec_lo, exec_lo, s2
.LBB0_180:
	s_delay_alu instid0(SALU_CYCLE_1)
	s_or_b32 exec_lo, exec_lo, s1
.LBB0_181:
	s_delay_alu instid0(SALU_CYCLE_1) | instskip(NEXT) | instid1(VALU_DEP_1)
	s_or_b32 exec_lo, exec_lo, s0
	v_mul_f32_e32 v0, v10, v0
	s_mov_b32 s0, exec_lo
                                        ; implicit-def: $vgpr22
	s_delay_alu instid0(VALU_DEP_1) | instskip(NEXT) | instid1(VALU_DEP_1)
	v_and_b32_e32 v1, 0x7f800000, v0
	v_cmpx_ne_u32_e32 0x7f800000, v1
	s_xor_b32 s0, exec_lo, s0
; %bb.182:
	v_bfe_u32 v1, v0, 16, 1
	s_delay_alu instid0(VALU_DEP_1)
	v_add3_u32 v22, v0, v1, 0x7fff
                                        ; implicit-def: $vgpr0
; %bb.183:
	s_and_not1_saveexec_b32 s0, s0
; %bb.184:
	v_and_b32_e32 v1, 0xffff, v0
	v_or_b32_e32 v22, 0x10000, v0
	s_delay_alu instid0(VALU_DEP_2) | instskip(NEXT) | instid1(VALU_DEP_2)
	v_cmp_eq_u32_e32 vcc_lo, 0, v1
	v_cndmask_b32_e32 v22, v22, v0, vcc_lo
; %bb.185:
	s_or_b32 exec_lo, exec_lo, s0
	v_mov_b32_e32 v0, 0
	s_mov_b32 s0, exec_lo
	v_cmpx_lt_u32_e32 0xffffff, v3
	s_cbranch_execz .LBB0_193
; %bb.186:
	v_lshrrev_b32_e32 v23, 24, v3
	v_bfrev_b32_e32 v0, 1
	s_mov_b32 s1, exec_lo
	s_delay_alu instid0(VALU_DEP_2)
	v_cmpx_ne_u32_e32 0x80, v23
	s_cbranch_execz .LBB0_192
; %bb.187:
	v_bfe_u32 v24, v3, 24, 7
	v_mov_b32_e32 v0, 0x7f800001
	s_mov_b32 s2, exec_lo
	s_delay_alu instid0(VALU_DEP_2)
	v_cmpx_ne_u32_e32 0x7f, v24
	s_cbranch_execz .LBB0_191
; %bb.188:
	v_dual_mov_b32 v1, 0 :: v_dual_and_b32 v0, 7, v23
	v_lshrrev_b32_e32 v3, 3, v24
	s_mov_b32 s3, exec_lo
	v_cmpx_gt_u32_e32 8, v24
; %bb.189:
	s_delay_alu instid0(VALU_DEP_3) | instskip(NEXT) | instid1(VALU_DEP_1)
	v_clz_i32_u32_e32 v3, v0
	v_min_u32_e32 v3, 32, v3
	s_delay_alu instid0(VALU_DEP_1) | instskip(SKIP_1) | instid1(VALU_DEP_2)
	v_subrev_nc_u32_e32 v24, 28, v3
	v_sub_nc_u32_e32 v3, 29, v3
	v_lshlrev_b64 v[0:1], v24, v[0:1]
	s_delay_alu instid0(VALU_DEP_1)
	v_and_b32_e32 v0, 7, v0
; %bb.190:
	s_or_b32 exec_lo, exec_lo, s3
	v_lshlrev_b32_e32 v1, 24, v23
	s_delay_alu instid0(VALU_DEP_2) | instskip(SKIP_1) | instid1(VALU_DEP_3)
	v_lshlrev_b32_e32 v0, 20, v0
	v_lshl_add_u32 v3, v3, 23, 0x3c000000
	v_and_b32_e32 v1, 0x80000000, v1
	s_delay_alu instid0(VALU_DEP_1)
	v_or3_b32 v0, v0, v1, v3
.LBB0_191:
	s_or_b32 exec_lo, exec_lo, s2
.LBB0_192:
	s_delay_alu instid0(SALU_CYCLE_1)
	s_or_b32 exec_lo, exec_lo, s1
.LBB0_193:
	s_delay_alu instid0(SALU_CYCLE_1) | instskip(NEXT) | instid1(VALU_DEP_1)
	s_or_b32 exec_lo, exec_lo, s0
	v_mul_f32_e32 v1, v10, v0
	s_delay_alu instid0(VALU_DEP_1) | instskip(NEXT) | instid1(VALU_DEP_1)
	v_and_b32_e32 v0, 0x7f800000, v1
	v_cmp_ne_u32_e32 vcc_lo, 0x7f800000, v0
                                        ; implicit-def: $vgpr0
	s_and_saveexec_b32 s0, vcc_lo
	s_delay_alu instid0(SALU_CYCLE_1)
	s_xor_b32 s0, exec_lo, s0
; %bb.194:
	v_bfe_u32 v0, v1, 16, 1
	s_delay_alu instid0(VALU_DEP_1)
	v_add3_u32 v0, v1, v0, 0x7fff
                                        ; implicit-def: $vgpr1
; %bb.195:
	s_and_not1_saveexec_b32 s0, s0
; %bb.196:
	v_and_b32_e32 v0, 0xffff, v1
	v_or_b32_e32 v3, 0x10000, v1
	s_delay_alu instid0(VALU_DEP_2) | instskip(NEXT) | instid1(VALU_DEP_2)
	v_cmp_eq_u32_e32 vcc_lo, 0, v0
	v_cndmask_b32_e32 v0, v3, v1, vcc_lo
; %bb.197:
	s_or_b32 exec_lo, exec_lo, s0
	v_mul_i32_i24_e32 v1, -12, v9
	v_mul_hi_i32_i24_e32 v10, -12, v9
	v_perm_b32 v6, v7, v6, 0x7060302
	v_perm_b32 v7, v18, v17, 0x7060302
	s_delay_alu instid0(VALU_DEP_4) | instskip(NEXT) | instid1(VALU_DEP_4)
	v_add_co_u32 v3, vcc_lo, v4, v1
	v_add_co_ci_u32_e32 v4, vcc_lo, v5, v10, vcc_lo
	v_perm_b32 v10, v0, v22, 0x7060302
	v_lshlrev_b32_e32 v0, 2, v9
	global_load_b32 v25, v[3:4], off offset:528
	v_mad_u64_u32 v[3:4], null, v8, s6, 0
	s_delay_alu instid0(VALU_DEP_1) | instskip(NEXT) | instid1(VALU_DEP_1)
	v_mov_b32_e32 v1, v4
	v_mad_u64_u32 v[4:5], null, v8, s7, v[1:2]
	v_lshlrev_b32_e32 v1, 5, v9
	v_perm_b32 v5, v16, v15, 0x7060302
	v_perm_b32 v9, v21, v20, 0x7060302
	;; [unrolled: 1-line block ×3, first 2 shown]
	v_lshlrev_b64 v[3:4], 1, v[3:4]
	s_delay_alu instid0(VALU_DEP_1) | instskip(NEXT) | instid1(VALU_DEP_2)
	v_add_co_u32 v26, vcc_lo, s8, v3
	v_add_co_ci_u32_e32 v27, vcc_lo, s9, v4, vcc_lo
	v_perm_b32 v4, v14, v13, 0x7060302
	s_delay_alu instid0(VALU_DEP_3) | instskip(NEXT) | instid1(VALU_DEP_3)
	v_add_co_u32 v23, vcc_lo, v26, v1
	v_add_co_ci_u32_e32 v24, vcc_lo, 0, v27, vcc_lo
	v_perm_b32 v3, v12, v11, 0x7060302
	v_add_co_u32 v0, vcc_lo, v26, v0
	v_add_co_ci_u32_e32 v1, vcc_lo, 0, v27, vcc_lo
	s_clause 0x1
	global_store_b128 v[23:24], v[3:6], off
	global_store_b128 v[23:24], v[7:10], off offset:16
	s_waitcnt vmcnt(0)
	global_store_b32 v[0:1], v25, off offset:1024
.LBB0_198:
	s_nop 0
	s_sendmsg sendmsg(MSG_DEALLOC_VGPRS)
	s_endpgm
	.section	.rodata,"a",@progbits
	.p2align	6, 0x0
	.amdhsa_kernel _ZN4vllm36cp_gather_and_upconvert_fp8_kv_cacheEPKhP14__hip_bfloat16PKiS5_iiillll
		.amdhsa_group_segment_fixed_size 0
		.amdhsa_private_segment_fixed_size 0
		.amdhsa_kernarg_size 336
		.amdhsa_user_sgpr_count 15
		.amdhsa_user_sgpr_dispatch_ptr 0
		.amdhsa_user_sgpr_queue_ptr 0
		.amdhsa_user_sgpr_kernarg_segment_ptr 1
		.amdhsa_user_sgpr_dispatch_id 0
		.amdhsa_user_sgpr_private_segment_size 0
		.amdhsa_wavefront_size32 1
		.amdhsa_uses_dynamic_stack 0
		.amdhsa_enable_private_segment 0
		.amdhsa_system_sgpr_workgroup_id_x 1
		.amdhsa_system_sgpr_workgroup_id_y 0
		.amdhsa_system_sgpr_workgroup_id_z 0
		.amdhsa_system_sgpr_workgroup_info 0
		.amdhsa_system_vgpr_workitem_id 0
		.amdhsa_next_free_vgpr 28
		.amdhsa_next_free_sgpr 20
		.amdhsa_reserve_vcc 1
		.amdhsa_float_round_mode_32 0
		.amdhsa_float_round_mode_16_64 0
		.amdhsa_float_denorm_mode_32 3
		.amdhsa_float_denorm_mode_16_64 3
		.amdhsa_dx10_clamp 1
		.amdhsa_ieee_mode 1
		.amdhsa_fp16_overflow 0
		.amdhsa_workgroup_processor_mode 1
		.amdhsa_memory_ordered 1
		.amdhsa_forward_progress 0
		.amdhsa_shared_vgpr_count 0
		.amdhsa_exception_fp_ieee_invalid_op 0
		.amdhsa_exception_fp_denorm_src 0
		.amdhsa_exception_fp_ieee_div_zero 0
		.amdhsa_exception_fp_ieee_overflow 0
		.amdhsa_exception_fp_ieee_underflow 0
		.amdhsa_exception_fp_ieee_inexact 0
		.amdhsa_exception_int_div_zero 0
	.end_amdhsa_kernel
	.text
.Lfunc_end0:
	.size	_ZN4vllm36cp_gather_and_upconvert_fp8_kv_cacheEPKhP14__hip_bfloat16PKiS5_iiillll, .Lfunc_end0-_ZN4vllm36cp_gather_and_upconvert_fp8_kv_cacheEPKhP14__hip_bfloat16PKiS5_iiillll
                                        ; -- End function
	.section	.AMDGPU.csdata,"",@progbits
; Kernel info:
; codeLenInByte = 5892
; NumSgprs: 22
; NumVgprs: 28
; ScratchSize: 0
; MemoryBound: 0
; FloatMode: 240
; IeeeMode: 1
; LDSByteSize: 0 bytes/workgroup (compile time only)
; SGPRBlocks: 2
; VGPRBlocks: 3
; NumSGPRsForWavesPerEU: 22
; NumVGPRsForWavesPerEU: 28
; Occupancy: 16
; WaveLimiterHint : 1
; COMPUTE_PGM_RSRC2:SCRATCH_EN: 0
; COMPUTE_PGM_RSRC2:USER_SGPR: 15
; COMPUTE_PGM_RSRC2:TRAP_HANDLER: 0
; COMPUTE_PGM_RSRC2:TGID_X_EN: 1
; COMPUTE_PGM_RSRC2:TGID_Y_EN: 0
; COMPUTE_PGM_RSRC2:TGID_Z_EN: 0
; COMPUTE_PGM_RSRC2:TIDIG_COMP_CNT: 0
	.section	.text._ZN4vllm24reshape_and_cache_kernelIffLNS_18Fp8KVCacheDataTypeE0EEEvPKT_S4_PT0_S6_PKliiiiiiPKfSA_,"axG",@progbits,_ZN4vllm24reshape_and_cache_kernelIffLNS_18Fp8KVCacheDataTypeE0EEEvPKT_S4_PT0_S6_PKliiiiiiPKfSA_,comdat
	.protected	_ZN4vllm24reshape_and_cache_kernelIffLNS_18Fp8KVCacheDataTypeE0EEEvPKT_S4_PT0_S6_PKliiiiiiPKfSA_ ; -- Begin function _ZN4vllm24reshape_and_cache_kernelIffLNS_18Fp8KVCacheDataTypeE0EEEvPKT_S4_PT0_S6_PKliiiiiiPKfSA_
	.globl	_ZN4vllm24reshape_and_cache_kernelIffLNS_18Fp8KVCacheDataTypeE0EEEvPKT_S4_PT0_S6_PKliiiiiiPKfSA_
	.p2align	8
	.type	_ZN4vllm24reshape_and_cache_kernelIffLNS_18Fp8KVCacheDataTypeE0EEEvPKT_S4_PT0_S6_PKliiiiiiPKfSA_,@function
_ZN4vllm24reshape_and_cache_kernelIffLNS_18Fp8KVCacheDataTypeE0EEEvPKT_S4_PT0_S6_PKliiiiiiPKfSA_: ; @_ZN4vllm24reshape_and_cache_kernelIffLNS_18Fp8KVCacheDataTypeE0EEEvPKT_S4_PT0_S6_PKliiiiiiPKfSA_
; %bb.0:
	s_load_b64 s[2:3], s[0:1], 0x20
	s_mov_b32 s10, s15
	s_mov_b32 s11, 0
	s_delay_alu instid0(SALU_CYCLE_1)
	s_lshl_b64 s[4:5], s[10:11], 3
	s_waitcnt lgkmcnt(0)
	s_add_u32 s2, s2, s4
	s_addc_u32 s3, s3, s5
	s_load_b64 s[12:13], s[2:3], 0x0
	s_waitcnt lgkmcnt(0)
	v_cmp_lt_i64_e64 s2, s[12:13], 0
	s_delay_alu instid0(VALU_DEP_1)
	s_and_b32 vcc_lo, exec_lo, s2
	s_cbranch_vccnz .LBB1_27
; %bb.1:
	s_clause 0x1
	s_load_b64 s[8:9], s[0:1], 0x38
	s_load_b128 s[4:7], s[0:1], 0x28
	s_waitcnt lgkmcnt(0)
	s_abs_i32 s2, s9
	s_abs_i32 s14, s7
	v_cvt_f32_u32_e32 v1, s2
	s_sub_i32 s11, 0, s2
	s_delay_alu instid0(VALU_DEP_1) | instskip(SKIP_2) | instid1(VALU_DEP_1)
	v_rcp_iflag_f32_e32 v1, v1
	s_waitcnt_depctr 0xfff
	v_mul_f32_e32 v1, 0x4f7ffffe, v1
	v_cvt_u32_f32_e32 v1, v1
	s_delay_alu instid0(VALU_DEP_1) | instskip(NEXT) | instid1(VALU_DEP_1)
	v_readfirstlane_b32 s3, v1
	s_mul_i32 s11, s11, s3
	s_delay_alu instid0(SALU_CYCLE_1) | instskip(NEXT) | instid1(SALU_CYCLE_1)
	s_mul_hi_u32 s11, s3, s11
	s_add_i32 s3, s3, s11
	s_xor_b32 s11, s7, s9
	s_mul_hi_u32 s3, s14, s3
	s_ashr_i32 s11, s11, 31
	s_mul_i32 s15, s3, s2
	s_delay_alu instid0(SALU_CYCLE_1)
	s_sub_i32 s14, s14, s15
	s_add_i32 s15, s3, 1
	s_sub_i32 s16, s14, s2
	s_cmp_ge_u32 s14, s2
	s_cselect_b32 s3, s15, s3
	s_cselect_b32 s14, s16, s14
	s_add_i32 s15, s3, 1
	s_cmp_ge_u32 s14, s2
	s_cselect_b32 s2, s15, s3
	s_delay_alu instid0(SALU_CYCLE_1) | instskip(NEXT) | instid1(SALU_CYCLE_1)
	s_xor_b32 s2, s2, s11
	s_sub_i32 s11, s2, s11
	s_mov_b32 s2, exec_lo
	s_mul_i32 s16, s11, s6
	s_delay_alu instid0(SALU_CYCLE_1)
	v_cmpx_gt_i32_e64 s16, v0
	s_cbranch_execz .LBB1_27
; %bb.2:
	s_load_b64 s[18:19], s[0:1], 0x0
	s_ashr_i32 s15, s8, 31
	s_mov_b32 s14, s8
	s_delay_alu instid0(SALU_CYCLE_1) | instskip(SKIP_1) | instid1(SALU_CYCLE_1)
	s_or_b64 s[2:3], s[12:13], s[14:15]
	s_mov_b32 s2, 0
	s_cmp_lg_u64 s[2:3], 0
	s_cbranch_scc0 .LBB1_28
; %bb.3:
	s_add_u32 s22, s14, s15
	s_mov_b32 s20, s15
	s_mov_b32 s21, s15
	s_addc_u32 s23, s15, s15
	s_delay_alu instid0(SALU_CYCLE_1) | instskip(NEXT) | instid1(SALU_CYCLE_1)
	s_xor_b64 s[22:23], s[22:23], s[20:21]
	v_cvt_f32_u32_e32 v1, s22
	v_cvt_f32_u32_e32 v2, s23
	s_sub_u32 s24, 0, s22
	s_subb_u32 s25, 0, s23
	s_delay_alu instid0(VALU_DEP_1) | instskip(NEXT) | instid1(VALU_DEP_1)
	v_fmamk_f32 v1, v2, 0x4f800000, v1
	v_rcp_f32_e32 v1, v1
	s_waitcnt_depctr 0xfff
	v_mul_f32_e32 v1, 0x5f7ffffc, v1
	s_delay_alu instid0(VALU_DEP_1) | instskip(NEXT) | instid1(VALU_DEP_1)
	v_mul_f32_e32 v2, 0x2f800000, v1
	v_trunc_f32_e32 v2, v2
	s_delay_alu instid0(VALU_DEP_1) | instskip(SKIP_1) | instid1(VALU_DEP_2)
	v_fmamk_f32 v1, v2, 0xcf800000, v1
	v_cvt_u32_f32_e32 v2, v2
	v_cvt_u32_f32_e32 v1, v1
	s_delay_alu instid0(VALU_DEP_2) | instskip(NEXT) | instid1(VALU_DEP_2)
	v_readfirstlane_b32 s3, v2
	v_readfirstlane_b32 s17, v1
	s_delay_alu instid0(VALU_DEP_2) | instskip(NEXT) | instid1(VALU_DEP_1)
	s_mul_i32 s26, s24, s3
	s_mul_hi_u32 s28, s24, s17
	s_mul_i32 s27, s25, s17
	s_add_i32 s26, s28, s26
	s_mul_i32 s29, s24, s17
	s_add_i32 s26, s26, s27
	s_mul_hi_u32 s28, s17, s29
	s_mul_hi_u32 s30, s3, s29
	s_mul_i32 s27, s3, s29
	s_mul_hi_u32 s29, s17, s26
	s_mul_i32 s17, s17, s26
	s_mul_hi_u32 s31, s3, s26
	s_add_u32 s17, s28, s17
	s_addc_u32 s28, 0, s29
	s_add_u32 s17, s17, s27
	s_mul_i32 s26, s3, s26
	s_addc_u32 s17, s28, s30
	s_addc_u32 s27, s31, 0
	s_add_u32 s17, s17, s26
	s_addc_u32 s26, 0, s27
	v_add_co_u32 v1, s17, v1, s17
	s_delay_alu instid0(VALU_DEP_1) | instskip(SKIP_1) | instid1(VALU_DEP_1)
	s_cmp_lg_u32 s17, 0
	s_addc_u32 s3, s3, s26
	v_readfirstlane_b32 s17, v1
	s_mul_i32 s26, s24, s3
	s_delay_alu instid0(VALU_DEP_1)
	s_mul_hi_u32 s27, s24, s17
	s_mul_i32 s25, s25, s17
	s_add_i32 s26, s27, s26
	s_mul_i32 s24, s24, s17
	s_add_i32 s26, s26, s25
	s_mul_hi_u32 s27, s3, s24
	s_mul_i32 s28, s3, s24
	s_mul_hi_u32 s24, s17, s24
	s_mul_hi_u32 s29, s17, s26
	s_mul_i32 s17, s17, s26
	s_mul_hi_u32 s25, s3, s26
	s_add_u32 s17, s24, s17
	s_addc_u32 s24, 0, s29
	s_add_u32 s17, s17, s28
	s_mul_i32 s26, s3, s26
	s_addc_u32 s17, s24, s27
	s_addc_u32 s24, s25, 0
	s_add_u32 s17, s17, s26
	s_addc_u32 s24, 0, s24
	v_add_co_u32 v1, s17, v1, s17
	s_delay_alu instid0(VALU_DEP_1) | instskip(SKIP_2) | instid1(VALU_DEP_1)
	s_cmp_lg_u32 s17, 0
	s_addc_u32 s3, s3, s24
	s_ashr_i32 s24, s13, 31
	v_readfirstlane_b32 s17, v1
	s_add_u32 s26, s12, s24
	s_mov_b32 s25, s24
	s_addc_u32 s27, s13, s24
	s_delay_alu instid0(SALU_CYCLE_1) | instskip(NEXT) | instid1(SALU_CYCLE_1)
	s_xor_b64 s[26:27], s[26:27], s[24:25]
	s_mul_i32 s29, s26, s3
	s_mul_hi_u32 s30, s26, s17
	s_mul_hi_u32 s28, s26, s3
	;; [unrolled: 1-line block ×3, first 2 shown]
	s_mul_i32 s17, s27, s17
	s_add_u32 s29, s30, s29
	s_addc_u32 s28, 0, s28
	s_mul_hi_u32 s31, s27, s3
	s_add_u32 s17, s29, s17
	s_mul_i32 s3, s27, s3
	s_addc_u32 s17, s28, s33
	s_addc_u32 s28, s31, 0
	s_add_u32 s3, s17, s3
	s_addc_u32 s17, 0, s28
	s_mul_i32 s31, s22, s3
	s_mul_hi_u32 s28, s22, s3
	s_mul_i32 s30, s22, s17
	v_sub_co_u32 v1, s26, s26, s31
	s_mul_i32 s29, s23, s3
	s_add_i32 s28, s28, s30
	s_delay_alu instid0(SALU_CYCLE_1) | instskip(NEXT) | instid1(VALU_DEP_1)
	s_add_i32 s28, s28, s29
	v_sub_co_u32 v2, s30, v1, s22
	s_sub_i32 s29, s27, s28
	s_cmp_lg_u32 s26, 0
	s_subb_u32 s29, s29, s23
	s_cmp_lg_u32 s30, 0
	v_readfirstlane_b32 s30, v2
	s_subb_u32 s29, s29, 0
	s_delay_alu instid0(SALU_CYCLE_1) | instskip(SKIP_1) | instid1(VALU_DEP_1)
	s_cmp_ge_u32 s29, s23
	s_cselect_b32 s31, -1, 0
	s_cmp_ge_u32 s30, s22
	s_cselect_b32 s30, -1, 0
	s_cmp_eq_u32 s29, s23
	s_cselect_b32 s29, s30, s31
	s_add_u32 s30, s3, 1
	s_addc_u32 s31, s17, 0
	s_add_u32 s33, s3, 2
	s_addc_u32 s34, s17, 0
	s_cmp_lg_u32 s29, 0
	s_cselect_b32 s29, s33, s30
	s_cselect_b32 s30, s34, s31
	s_cmp_lg_u32 s26, 0
	v_readfirstlane_b32 s26, v1
	s_subb_u32 s27, s27, s28
	s_delay_alu instid0(SALU_CYCLE_1) | instskip(SKIP_1) | instid1(VALU_DEP_1)
	s_cmp_ge_u32 s27, s23
	s_cselect_b32 s28, -1, 0
	s_cmp_ge_u32 s26, s22
	s_cselect_b32 s22, -1, 0
	s_cmp_eq_u32 s27, s23
	s_cselect_b32 s22, s22, s28
	s_delay_alu instid0(SALU_CYCLE_1) | instskip(SKIP_3) | instid1(SALU_CYCLE_1)
	s_cmp_lg_u32 s22, 0
	s_cselect_b32 s23, s30, s17
	s_cselect_b32 s22, s29, s3
	s_xor_b64 s[20:21], s[24:25], s[20:21]
	s_xor_b64 s[22:23], s[22:23], s[20:21]
	s_delay_alu instid0(SALU_CYCLE_1)
	s_sub_u32 s20, s22, s20
	s_subb_u32 s21, s23, s21
	s_load_b64 s[22:23], s[0:1], 0x10
	s_and_not1_b32 vcc_lo, exec_lo, s2
	s_cbranch_vccnz .LBB1_5
.LBB1_4:
	v_cvt_f32_u32_e32 v1, s14
	s_sub_i32 s3, 0, s14
	s_mov_b32 s21, 0
	s_delay_alu instid0(VALU_DEP_1) | instskip(SKIP_2) | instid1(VALU_DEP_1)
	v_rcp_iflag_f32_e32 v1, v1
	s_waitcnt_depctr 0xfff
	v_mul_f32_e32 v1, 0x4f7ffffe, v1
	v_cvt_u32_f32_e32 v1, v1
	s_delay_alu instid0(VALU_DEP_1) | instskip(NEXT) | instid1(VALU_DEP_1)
	v_readfirstlane_b32 s2, v1
	s_mul_i32 s3, s3, s2
	s_delay_alu instid0(SALU_CYCLE_1) | instskip(NEXT) | instid1(SALU_CYCLE_1)
	s_mul_hi_u32 s3, s2, s3
	s_add_i32 s2, s2, s3
	s_delay_alu instid0(SALU_CYCLE_1) | instskip(NEXT) | instid1(SALU_CYCLE_1)
	s_mul_hi_u32 s2, s12, s2
	s_mul_i32 s3, s2, s14
	s_add_i32 s17, s2, 1
	s_sub_i32 s3, s12, s3
	s_delay_alu instid0(SALU_CYCLE_1)
	s_sub_i32 s20, s3, s14
	s_cmp_ge_u32 s3, s14
	s_cselect_b32 s2, s17, s2
	s_cselect_b32 s3, s20, s3
	s_add_i32 s17, s2, 1
	s_cmp_ge_u32 s3, s14
	s_cselect_b32 s20, s17, s2
.LBB1_5:
	s_abs_i32 s2, s11
	s_mul_hi_i32 s17, s11, s6
	v_cvt_f32_u32_e32 v1, s2
	s_sub_i32 s3, 0, s2
	v_mov_b32_e32 v12, 0
	s_delay_alu instid0(VALU_DEP_2) | instskip(SKIP_2) | instid1(VALU_DEP_1)
	v_rcp_iflag_f32_e32 v1, v1
	s_waitcnt_depctr 0xfff
	v_mul_f32_e32 v1, 0x4f7ffffe, v1
	v_cvt_u32_f32_e32 v1, v1
	s_delay_alu instid0(VALU_DEP_1) | instskip(SKIP_1) | instid1(SALU_CYCLE_1)
	v_mul_lo_u32 v2, s3, v1
	s_ashr_i32 s3, s4, 31
	s_mul_i32 s3, s3, s10
	s_delay_alu instid0(VALU_DEP_1) | instskip(NEXT) | instid1(VALU_DEP_1)
	v_mul_hi_u32 v2, v1, v2
	v_add_nc_u32_e32 v1, v1, v2
	s_delay_alu instid0(VALU_DEP_1) | instskip(NEXT) | instid1(VALU_DEP_1)
	v_mul_hi_u32 v1, v0, v1
	v_mul_lo_u32 v2, v1, s2
	v_add_nc_u32_e32 v3, 1, v1
	s_delay_alu instid0(VALU_DEP_2) | instskip(NEXT) | instid1(VALU_DEP_1)
	v_sub_nc_u32_e32 v2, v0, v2
	v_subrev_nc_u32_e32 v4, s2, v2
	v_cmp_le_u32_e32 vcc_lo, s2, v2
	s_delay_alu instid0(VALU_DEP_2) | instskip(NEXT) | instid1(VALU_DEP_1)
	v_dual_cndmask_b32 v1, v1, v3 :: v_dual_cndmask_b32 v2, v2, v4
	v_add_nc_u32_e32 v3, 1, v1
	s_delay_alu instid0(VALU_DEP_2) | instskip(SKIP_1) | instid1(VALU_DEP_2)
	v_cmp_le_u32_e32 vcc_lo, s2, v2
	s_ashr_i32 s2, s11, 31
	v_cndmask_b32_e32 v1, v1, v3, vcc_lo
	s_delay_alu instid0(VALU_DEP_1) | instskip(NEXT) | instid1(VALU_DEP_1)
	v_xor_b32_e32 v1, s2, v1
	v_subrev_nc_u32_e32 v1, s2, v1
	s_mul_i32 s2, s4, s10
	s_delay_alu instid0(VALU_DEP_1) | instskip(NEXT) | instid1(VALU_DEP_1)
	v_mul_lo_u32 v6, v1, s11
	v_sub_nc_u32_e32 v7, v0, v6
	v_mul_lo_u32 v0, v1, s7
	s_mul_hi_u32 s7, s4, s10
	s_mov_b32 s4, s9
	s_add_i32 s3, s7, s3
	v_mul_lo_u32 v4, v7, s9
	s_lshl_b64 s[24:25], s[2:3], 2
	s_waitcnt lgkmcnt(0)
	s_add_u32 s2, s18, s24
	v_ashrrev_i32_e32 v1, 31, v0
	s_addc_u32 s3, s19, s25
	s_delay_alu instid0(VALU_DEP_2) | instskip(NEXT) | instid1(VALU_DEP_2)
	v_ashrrev_i32_e32 v5, 31, v4
	v_lshlrev_b64 v[0:1], 2, v[0:1]
	s_delay_alu instid0(VALU_DEP_2) | instskip(NEXT) | instid1(VALU_DEP_2)
	v_lshlrev_b64 v[2:3], 2, v[4:5]
	v_add_co_u32 v5, vcc_lo, s2, v0
	s_delay_alu instid0(VALU_DEP_3) | instskip(SKIP_1) | instid1(VALU_DEP_2)
	v_add_co_ci_u32_e32 v8, vcc_lo, s3, v1, vcc_lo
	s_mul_i32 s2, s9, s8
	v_add_co_u32 v9, vcc_lo, v5, v2
	v_mul_lo_u32 v5, s2, v6
	v_mul_lo_u32 v7, s2, v7
	v_add_co_ci_u32_e32 v10, vcc_lo, v8, v3, vcc_lo
	s_delay_alu instid0(VALU_DEP_4) | instskip(SKIP_3) | instid1(VALU_DEP_4)
	v_and_b32_e32 v11, 15, v9
	s_and_b32 s2, s9, 3
	s_ashr_i32 s3, s9, 31
	s_cmp_lg_u32 s2, 0
	v_ashrrev_i32_e32 v6, 31, v5
	v_cmp_ne_u64_e32 vcc_lo, 0, v[11:12]
	v_ashrrev_i32_e32 v8, 31, v7
	s_cselect_b32 s2, -1, 0
	s_delay_alu instid0(SALU_CYCLE_1) | instskip(NEXT) | instid1(SALU_CYCLE_1)
	s_or_b32 s2, s2, vcc_lo
	s_and_saveexec_b32 s6, s2
	s_delay_alu instid0(SALU_CYCLE_1)
	s_xor_b32 s6, exec_lo, s6
	s_cbranch_execz .LBB1_16
; %bb.6:
	v_sub_nc_u32_e32 v11, 0, v9
	s_mov_b32 s7, exec_lo
	s_delay_alu instid0(VALU_DEP_1) | instskip(NEXT) | instid1(VALU_DEP_1)
	v_bfe_u32 v11, v11, 2, 2
	v_min_i32_e32 v11, s9, v11
	s_delay_alu instid0(VALU_DEP_1)
	v_cmpx_lt_i32_e32 0, v11
	s_cbranch_execz .LBB1_9
; %bb.7:
	s_lshl_b64 s[26:27], s[16:17], 2
	v_lshlrev_b64 v[12:13], 2, v[5:6]
	s_add_u32 s2, s26, -4
	s_addc_u32 s11, s27, -1
	s_mul_hi_u32 s26, s20, s2
	s_mul_i32 s11, s20, s11
	s_mul_i32 s27, s21, s2
	s_mul_i32 s2, s20, s2
	s_add_i32 s11, s26, s11
	s_mul_i32 s26, s2, s15
	s_mul_hi_u32 s28, s2, s14
	s_add_i32 s11, s11, s27
	s_add_i32 s28, s28, s26
	s_mul_i32 s11, s11, s14
	s_mul_i32 s2, s2, s14
	s_lshl_b64 s[26:27], s[12:13], 2
	s_add_i32 s28, s28, s11
	s_add_u32 s2, s2, s26
	s_addc_u32 s11, s28, s27
	v_mad_u64_u32 v[14:15], null, s2, s4, v[12:13]
	v_lshlrev_b64 v[12:13], 2, v[7:8]
	s_mul_i32 s2, s2, s3
	s_mul_i32 s11, s11, s4
	v_mov_b32_e32 v16, v11
	s_delay_alu instid0(VALU_DEP_3) | instskip(NEXT) | instid1(VALU_DEP_3)
	v_add3_u32 v15, s2, s11, v15
	v_add_co_u32 v12, vcc_lo, v14, v12
	s_mov_b32 s11, 0
	s_delay_alu instid0(VALU_DEP_2) | instskip(SKIP_1) | instid1(VALU_DEP_3)
	v_add_co_ci_u32_e32 v13, vcc_lo, v15, v13, vcc_lo
	v_mov_b32_e32 v15, v10
	v_add_co_u32 v12, vcc_lo, s22, v12
	s_delay_alu instid0(VALU_DEP_3)
	v_add_co_ci_u32_e32 v13, vcc_lo, s23, v13, vcc_lo
	v_mov_b32_e32 v14, v9
.LBB1_8:                                ; =>This Inner Loop Header: Depth=1
	global_load_b32 v17, v[14:15], off
	v_add_nc_u32_e32 v16, -1, v16
	v_add_co_u32 v14, vcc_lo, v14, 4
	v_add_co_ci_u32_e32 v15, vcc_lo, 0, v15, vcc_lo
	s_delay_alu instid0(VALU_DEP_3) | instskip(SKIP_4) | instid1(VALU_DEP_1)
	v_cmp_eq_u32_e32 vcc_lo, 0, v16
	s_or_b32 s11, vcc_lo, s11
	s_waitcnt vmcnt(0)
	global_store_b32 v[12:13], v17, off
	v_add_co_u32 v12, s2, v12, 4
	v_add_co_ci_u32_e64 v13, s2, 0, v13, s2
	s_and_not1_b32 exec_lo, exec_lo, s11
	s_cbranch_execnz .LBB1_8
.LBB1_9:
	s_or_b32 exec_lo, exec_lo, s7
	v_sub_nc_u32_e32 v15, s9, v11
	s_mov_b32 s7, exec_lo
	s_delay_alu instid0(VALU_DEP_1) | instskip(NEXT) | instid1(VALU_DEP_1)
	v_ashrrev_i32_e32 v12, 31, v15
	v_lshrrev_b32_e32 v12, 30, v12
	s_delay_alu instid0(VALU_DEP_1) | instskip(SKIP_1) | instid1(VALU_DEP_2)
	v_add_nc_u32_e32 v13, v15, v12
	v_ashrrev_i32_e32 v12, 31, v11
	v_ashrrev_i32_e32 v16, 2, v13
	v_cmpx_lt_i32_e32 3, v15
	s_cbranch_execz .LBB1_12
; %bb.10:
	s_lshl_b64 s[26:27], s[16:17], 2
	v_lshlrev_b64 v[13:14], 2, v[5:6]
	s_add_u32 s2, s26, -4
	s_addc_u32 s11, s27, -1
	s_mul_hi_u32 s26, s20, s2
	s_mul_i32 s11, s20, s11
	s_mul_i32 s27, s21, s2
	;; [unrolled: 1-line block ×3, first 2 shown]
	s_add_i32 s11, s26, s11
	s_mul_i32 s26, s2, s15
	s_mul_hi_u32 s28, s2, s14
	s_add_i32 s11, s11, s27
	s_add_i32 s28, s28, s26
	s_mul_i32 s11, s11, s14
	s_mul_i32 s2, s2, s14
	s_lshl_b64 s[26:27], s[12:13], 2
	s_add_i32 s28, s28, s11
	s_add_u32 s2, s2, s26
	s_addc_u32 s11, s28, s27
	v_mad_u64_u32 v[17:18], null, s2, s4, v[13:14]
	v_lshlrev_b64 v[13:14], 2, v[7:8]
	s_mul_i32 s2, s2, s3
	s_mul_i32 s11, s11, s4
	v_mov_b32_e32 v19, v16
	s_delay_alu instid0(VALU_DEP_3) | instskip(NEXT) | instid1(VALU_DEP_3)
	v_add3_u32 v18, s2, s11, v18
	v_add_co_u32 v17, vcc_lo, v17, v13
	s_mov_b32 s11, 0
	s_delay_alu instid0(VALU_DEP_2) | instskip(NEXT) | instid1(VALU_DEP_2)
	v_add_co_ci_u32_e32 v18, vcc_lo, v18, v14, vcc_lo
	v_add_co_u32 v17, vcc_lo, s22, v17
	v_lshlrev_b64 v[13:14], 2, v[11:12]
	s_delay_alu instid0(VALU_DEP_3)
	v_add_co_ci_u32_e32 v18, vcc_lo, s23, v18, vcc_lo
	.p2align	6
.LBB1_11:                               ; =>This Inner Loop Header: Depth=1
	s_delay_alu instid0(VALU_DEP_2) | instskip(NEXT) | instid1(VALU_DEP_3)
	v_add_co_u32 v20, vcc_lo, v9, v13
	v_add_co_ci_u32_e32 v21, vcc_lo, v10, v14, vcc_lo
	v_add_co_u32 v24, vcc_lo, v17, v13
	v_add_nc_u32_e32 v19, -1, v19
	global_load_b128 v[20:23], v[20:21], off
	v_add_co_ci_u32_e32 v25, vcc_lo, v18, v14, vcc_lo
	v_add_co_u32 v17, vcc_lo, v17, 16
	v_add_co_ci_u32_e32 v18, vcc_lo, 0, v18, vcc_lo
	v_cmp_eq_u32_e32 vcc_lo, 0, v19
	v_add_co_u32 v9, s2, v9, 16
	s_delay_alu instid0(VALU_DEP_1)
	v_add_co_ci_u32_e64 v10, s2, 0, v10, s2
	s_or_b32 s11, vcc_lo, s11
	s_waitcnt vmcnt(0)
	global_store_b128 v[24:25], v[20:23], off
	s_and_not1_b32 exec_lo, exec_lo, s11
	s_cbranch_execnz .LBB1_11
.LBB1_12:
	s_or_b32 exec_lo, exec_lo, s7
	s_delay_alu instid0(VALU_DEP_2) | instskip(SKIP_1) | instid1(VALU_DEP_1)
	v_lshlrev_b32_e32 v9, 2, v16
	s_mov_b32 s7, exec_lo
	v_cmpx_lt_i32_e64 v9, v15
	s_cbranch_execz .LBB1_15
; %bb.13:
	s_lshl_b64 s[26:27], s[16:17], 2
	v_lshlrev_b64 v[10:11], 2, v[11:12]
	s_add_u32 s2, s26, -4
	s_addc_u32 s11, s27, -1
	s_mul_hi_u32 s26, s20, s2
	s_mul_i32 s11, s20, s11
	v_lshlrev_b64 v[7:8], 2, v[7:8]
	v_add_co_u32 v12, vcc_lo, s24, v10
	s_add_i32 s11, s26, s11
	s_mul_i32 s24, s20, s2
	s_mul_i32 s2, s21, s2
	v_add_co_ci_u32_e32 v13, vcc_lo, s25, v11, vcc_lo
	s_mul_i32 s25, s24, s15
	s_mul_hi_u32 s26, s24, s14
	s_add_i32 s2, s11, s2
	s_add_i32 s11, s26, s25
	s_mul_i32 s2, s2, s14
	s_mul_i32 s26, s24, s14
	s_lshl_b64 s[24:25], s[12:13], 2
	s_add_i32 s11, s11, s2
	v_add_co_u32 v14, vcc_lo, v12, v2
	s_add_u32 s2, s26, s24
	v_add_co_ci_u32_e32 v16, vcc_lo, v13, v3, vcc_lo
	v_mad_u64_u32 v[12:13], null, s2, s4, v[10:11]
	s_delay_alu instid0(VALU_DEP_3) | instskip(SKIP_1) | instid1(VALU_DEP_3)
	v_add_co_u32 v14, vcc_lo, v14, v0
	s_addc_u32 s11, s11, s25
	v_add_co_ci_u32_e32 v18, vcc_lo, v16, v1, vcc_lo
	v_lshlrev_b64 v[16:17], 2, v[5:6]
	s_mul_i32 s11, s11, s4
	s_mul_i32 s2, s2, s3
	v_ashrrev_i32_e32 v10, 31, v9
	v_add3_u32 v11, s2, s11, v13
	s_mov_b32 s11, 0
	v_add_co_u32 v12, vcc_lo, v12, v16
	s_delay_alu instid0(VALU_DEP_2) | instskip(SKIP_1) | instid1(VALU_DEP_3)
	v_add_co_ci_u32_e32 v13, vcc_lo, v11, v17, vcc_lo
	v_lshlrev_b64 v[10:11], 2, v[9:10]
	v_add_co_u32 v7, vcc_lo, v12, v7
	s_delay_alu instid0(VALU_DEP_3) | instskip(NEXT) | instid1(VALU_DEP_3)
	v_add_co_ci_u32_e32 v8, vcc_lo, v13, v8, vcc_lo
	v_add_co_u32 v12, vcc_lo, v14, v10
	s_delay_alu instid0(VALU_DEP_4) | instskip(NEXT) | instid1(VALU_DEP_4)
	v_add_co_ci_u32_e32 v13, vcc_lo, v18, v11, vcc_lo
	v_add_co_u32 v10, vcc_lo, v7, v10
	s_delay_alu instid0(VALU_DEP_4) | instskip(NEXT) | instid1(VALU_DEP_4)
	;; [unrolled: 3-line block ×3, first 2 shown]
	v_add_co_ci_u32_e32 v8, vcc_lo, s19, v13, vcc_lo
	v_add_co_u32 v10, vcc_lo, s22, v10
	s_delay_alu instid0(VALU_DEP_4)
	v_add_co_ci_u32_e32 v11, vcc_lo, s23, v11, vcc_lo
.LBB1_14:                               ; =>This Inner Loop Header: Depth=1
	global_load_b32 v12, v[7:8], off
	v_add_nc_u32_e32 v9, 1, v9
	v_add_co_u32 v7, vcc_lo, v7, 4
	v_add_co_ci_u32_e32 v8, vcc_lo, 0, v8, vcc_lo
	s_delay_alu instid0(VALU_DEP_3) | instskip(SKIP_4) | instid1(VALU_DEP_1)
	v_cmp_ge_i32_e32 vcc_lo, v9, v15
	s_or_b32 s11, vcc_lo, s11
	s_waitcnt vmcnt(0)
	global_store_b32 v[10:11], v12, off
	v_add_co_u32 v10, s2, v10, 4
	v_add_co_ci_u32_e64 v11, s2, 0, v11, s2
	s_and_not1_b32 exec_lo, exec_lo, s11
	s_cbranch_execnz .LBB1_14
.LBB1_15:
	s_or_b32 exec_lo, exec_lo, s7
                                        ; implicit-def: $vgpr9
                                        ; implicit-def: $vgpr7_vgpr8
.LBB1_16:
	s_and_not1_saveexec_b32 s6, s6
	s_cbranch_execz .LBB1_20
; %bb.17:
	s_ashr_i32 s7, s9, 2
	s_delay_alu instid0(SALU_CYCLE_1)
	s_cmp_lt_i32 s7, 1
	s_cbranch_scc1 .LBB1_20
; %bb.18:
	s_lshl_b64 s[18:19], s[16:17], 2
	v_lshlrev_b64 v[11:12], 2, v[5:6]
	s_add_u32 s2, s18, -4
	s_addc_u32 s11, s19, -1
	s_mul_hi_u32 s18, s20, s2
	s_mul_i32 s11, s20, s11
	s_mul_i32 s19, s21, s2
	;; [unrolled: 1-line block ×3, first 2 shown]
	s_add_i32 s11, s18, s11
	s_mul_i32 s18, s2, s15
	s_mul_hi_u32 s24, s2, s14
	s_add_i32 s11, s11, s19
	s_add_i32 s24, s24, s18
	s_mul_i32 s11, s11, s14
	s_mul_i32 s2, s2, s14
	s_lshl_b64 s[18:19], s[12:13], 2
	s_add_i32 s24, s24, s11
	s_add_u32 s2, s2, s18
	s_addc_u32 s11, s24, s19
	v_mad_u64_u32 v[13:14], null, s2, s4, v[11:12]
	v_lshlrev_b64 v[7:8], 2, v[7:8]
	s_mul_i32 s11, s11, s4
	s_mul_i32 s2, s2, s3
	s_delay_alu instid0(VALU_DEP_2) | instid1(SALU_CYCLE_1)
	v_add3_u32 v11, s2, s11, v14
	s_delay_alu instid0(VALU_DEP_2) | instskip(SKIP_1) | instid1(VALU_DEP_2)
	v_add_co_u32 v7, vcc_lo, v13, v7
	s_mov_b64 s[2:3], 0
	v_add_co_ci_u32_e32 v8, vcc_lo, v11, v8, vcc_lo
	s_delay_alu instid0(VALU_DEP_2) | instskip(NEXT) | instid1(VALU_DEP_2)
	v_add_co_u32 v7, vcc_lo, s22, v7
	v_add_co_ci_u32_e32 v8, vcc_lo, s23, v8, vcc_lo
.LBB1_19:                               ; =>This Inner Loop Header: Depth=1
	v_add_co_u32 v11, vcc_lo, v9, s2
	v_add_co_ci_u32_e32 v12, vcc_lo, s3, v10, vcc_lo
	s_delay_alu instid0(VALU_DEP_4) | instskip(NEXT) | instid1(VALU_DEP_4)
	v_add_co_u32 v15, vcc_lo, v7, s2
	v_add_co_ci_u32_e32 v16, vcc_lo, s3, v8, vcc_lo
	global_load_b128 v[11:14], v[11:12], off
	s_add_i32 s7, s7, -1
	s_add_u32 s2, s2, 16
	s_addc_u32 s3, s3, 0
	s_cmp_eq_u32 s7, 0
	s_waitcnt vmcnt(0)
	global_store_b128 v[15:16], v[11:14], off
	s_cbranch_scc0 .LBB1_19
.LBB1_20:
	s_or_b32 exec_lo, exec_lo, s6
	s_cmp_lt_i32 s9, 1
	s_cbranch_scc1 .LBB1_27
; %bb.21:
	s_load_b64 s[2:3], s[0:1], 0x18
	s_mul_i32 s6, s20, s15
	s_mul_hi_u32 s7, s20, s14
	s_mul_i32 s11, s20, s14
	s_add_i32 s6, s7, s6
	s_mul_i32 s7, s21, s14
	v_mul_lo_u32 v7, v4, s8
	s_add_i32 s7, s6, s7
	s_sub_u32 s6, s12, s11
	s_mul_i32 s11, s16, s21
	s_mul_hi_u32 s12, s16, s20
	s_subb_u32 s7, s13, s7
	s_add_i32 s11, s12, s11
	s_mul_i32 s12, s17, s20
	s_mul_i32 s15, s16, s20
	;; [unrolled: 1-line block ×3, first 2 shown]
	s_add_i32 s11, s11, s12
	s_mul_hi_u32 s12, s16, s15
	s_mul_i32 s11, s16, s11
	s_mul_hi_i32 s4, s4, s14
	s_add_i32 s11, s12, s11
	s_mul_i32 s4, s4, s15
	s_mul_i32 s12, s16, s15
	s_add_i32 s13, s11, s4
	v_ashrrev_i32_e32 v8, 31, v7
	v_lshlrev_b64 v[4:5], 2, v[5:6]
	s_lshl_b64 s[12:13], s[12:13], 2
	s_load_b64 s[0:1], s[0:1], 0x8
	s_waitcnt lgkmcnt(0)
	s_add_u32 s2, s2, s12
	v_lshlrev_b64 v[6:7], 2, v[7:8]
	s_addc_u32 s3, s3, s13
	v_add_co_u32 v4, vcc_lo, s2, v4
	v_add_co_ci_u32_e32 v5, vcc_lo, s3, v5, vcc_lo
	s_lshl_b64 s[2:3], s[6:7], 2
	s_delay_alu instid0(VALU_DEP_2) | instskip(NEXT) | instid1(VALU_DEP_2)
	v_add_co_u32 v4, vcc_lo, v4, v6
	v_add_co_ci_u32_e32 v5, vcc_lo, v5, v7, vcc_lo
	s_ashr_i32 s11, s5, 31
	s_delay_alu instid0(VALU_DEP_2) | instskip(NEXT) | instid1(VALU_DEP_2)
	v_add_co_u32 v6, vcc_lo, v4, s2
	v_add_co_ci_u32_e32 v7, vcc_lo, s3, v5, vcc_lo
	s_mov_b32 s2, 0
	s_cmp_lt_u32 s9, 8
	s_mul_i32 s11, s11, s10
	s_mul_hi_u32 s12, s5, s10
	s_mul_i32 s4, s5, s10
	s_cbranch_scc1 .LBB1_24
; %bb.22:
	s_add_i32 s5, s12, s11
	s_and_b32 s2, s9, 0x7ffffff8
	s_lshl_b64 s[6:7], s[4:5], 2
	s_lshl_b32 s3, s8, 3
	v_add_co_u32 v4, vcc_lo, s6, v2
	v_add_co_ci_u32_e32 v5, vcc_lo, s7, v3, vcc_lo
	s_lshl_b32 s10, s8, 1
	s_delay_alu instid0(VALU_DEP_2) | instskip(NEXT) | instid1(VALU_DEP_2)
	v_add_co_u32 v4, vcc_lo, v4, v0
	v_add_co_ci_u32_e32 v5, vcc_lo, v5, v1, vcc_lo
	s_mul_i32 s13, s8, 3
	s_delay_alu instid0(VALU_DEP_2) | instskip(NEXT) | instid1(VALU_DEP_2)
	v_add_co_u32 v4, vcc_lo, v4, s0
	v_add_co_ci_u32_e32 v5, vcc_lo, s1, v5, vcc_lo
	s_lshl_b32 s5, s8, 2
	s_delay_alu instid0(VALU_DEP_2) | instskip(NEXT) | instid1(VALU_DEP_2)
	v_add_co_u32 v4, vcc_lo, v4, 28
	v_add_co_ci_u32_e32 v5, vcc_lo, 0, v5, vcc_lo
	s_mul_i32 s14, s8, 5
	s_mul_i32 s15, s8, 6
	;; [unrolled: 1-line block ×3, first 2 shown]
	s_mov_b32 s6, 0
	s_mov_b32 s17, 0
.LBB1_23:                               ; =>This Inner Loop Header: Depth=1
	s_clause 0x1
	global_load_b128 v[8:11], v[4:5], off offset:-28
	global_load_b128 v[12:15], v[4:5], off offset:-12
	s_ashr_i32 s7, s6, 31
	s_add_i32 s18, s8, s6
	v_add_co_u32 v4, vcc_lo, v4, 32
	s_lshl_b64 s[34:35], s[6:7], 2
	v_add_co_ci_u32_e32 v5, vcc_lo, 0, v5, vcc_lo
	s_ashr_i32 s19, s18, 31
	s_add_i32 s20, s10, s6
	v_add_co_u32 v16, vcc_lo, v6, s34
	s_lshl_b64 s[18:19], s[18:19], 2
	s_ashr_i32 s21, s20, 31
	v_add_co_ci_u32_e32 v17, vcc_lo, s35, v7, vcc_lo
	s_add_i32 s22, s13, s6
	v_add_co_u32 v18, vcc_lo, v6, s18
	s_lshl_b64 s[20:21], s[20:21], 2
	s_ashr_i32 s23, s22, 31
	v_add_co_ci_u32_e32 v19, vcc_lo, s19, v7, vcc_lo
	;; [unrolled: 5-line block ×6, first 2 shown]
	v_add_co_u32 v28, vcc_lo, v6, s28
	s_add_i32 s17, s17, 8
	s_lshl_b64 s[30:31], s[30:31], 2
	s_add_i32 s6, s6, s3
	v_add_co_ci_u32_e32 v29, vcc_lo, s29, v7, vcc_lo
	s_cmp_lg_u32 s2, s17
	v_add_co_u32 v30, vcc_lo, v6, s30
	v_add_co_ci_u32_e32 v31, vcc_lo, s31, v7, vcc_lo
	s_waitcnt vmcnt(1)
	s_clause 0x3
	global_store_b32 v[16:17], v8, off
	global_store_b32 v[18:19], v9, off
	;; [unrolled: 1-line block ×4, first 2 shown]
	s_waitcnt vmcnt(0)
	s_clause 0x3
	global_store_b32 v[24:25], v12, off
	global_store_b32 v[26:27], v13, off
	;; [unrolled: 1-line block ×4, first 2 shown]
	s_cbranch_scc1 .LBB1_23
.LBB1_24:
	s_and_b32 s6, s9, 7
	s_mov_b32 s3, 0
	s_cmp_eq_u32 s6, 0
	s_cbranch_scc1 .LBB1_27
; %bb.25:
	s_add_i32 s5, s12, s11
	s_lshl_b64 s[10:11], s[2:3], 2
	s_lshl_b64 s[4:5], s[4:5], 2
	s_add_u32 s0, s0, s10
	v_add_co_u32 v2, vcc_lo, s4, v2
	v_add_co_ci_u32_e32 v3, vcc_lo, s5, v3, vcc_lo
	s_addc_u32 s1, s1, s11
	s_delay_alu instid0(VALU_DEP_2) | instskip(NEXT) | instid1(VALU_DEP_2)
	v_add_co_u32 v0, vcc_lo, v2, v0
	v_add_co_ci_u32_e32 v1, vcc_lo, v3, v1, vcc_lo
	s_delay_alu instid0(VALU_DEP_2) | instskip(NEXT) | instid1(VALU_DEP_2)
	v_add_co_u32 v0, vcc_lo, s0, v0
	v_add_co_ci_u32_e32 v1, vcc_lo, s1, v1, vcc_lo
	s_mul_i32 s0, s2, s8
.LBB1_26:                               ; =>This Inner Loop Header: Depth=1
	global_load_b32 v4, v[0:1], off
	s_ashr_i32 s1, s0, 31
	v_add_co_u32 v0, vcc_lo, v0, 4
	s_lshl_b64 s[2:3], s[0:1], 2
	v_add_co_ci_u32_e32 v1, vcc_lo, 0, v1, vcc_lo
	v_add_co_u32 v2, vcc_lo, v6, s2
	v_add_co_ci_u32_e32 v3, vcc_lo, s3, v7, vcc_lo
	s_add_i32 s6, s6, -1
	s_add_i32 s0, s0, s8
	s_cmp_lg_u32 s6, 0
	s_waitcnt vmcnt(0)
	global_store_b32 v[2:3], v4, off
	s_cbranch_scc1 .LBB1_26
.LBB1_27:
	s_nop 0
	s_sendmsg sendmsg(MSG_DEALLOC_VGPRS)
	s_endpgm
.LBB1_28:
                                        ; implicit-def: $sgpr20_sgpr21
	s_load_b64 s[22:23], s[0:1], 0x10
	s_branch .LBB1_4
	.section	.rodata,"a",@progbits
	.p2align	6, 0x0
	.amdhsa_kernel _ZN4vllm24reshape_and_cache_kernelIffLNS_18Fp8KVCacheDataTypeE0EEEvPKT_S4_PT0_S6_PKliiiiiiPKfSA_
		.amdhsa_group_segment_fixed_size 0
		.amdhsa_private_segment_fixed_size 0
		.amdhsa_kernarg_size 80
		.amdhsa_user_sgpr_count 15
		.amdhsa_user_sgpr_dispatch_ptr 0
		.amdhsa_user_sgpr_queue_ptr 0
		.amdhsa_user_sgpr_kernarg_segment_ptr 1
		.amdhsa_user_sgpr_dispatch_id 0
		.amdhsa_user_sgpr_private_segment_size 0
		.amdhsa_wavefront_size32 1
		.amdhsa_uses_dynamic_stack 0
		.amdhsa_enable_private_segment 0
		.amdhsa_system_sgpr_workgroup_id_x 1
		.amdhsa_system_sgpr_workgroup_id_y 0
		.amdhsa_system_sgpr_workgroup_id_z 0
		.amdhsa_system_sgpr_workgroup_info 0
		.amdhsa_system_vgpr_workitem_id 0
		.amdhsa_next_free_vgpr 32
		.amdhsa_next_free_sgpr 36
		.amdhsa_reserve_vcc 1
		.amdhsa_float_round_mode_32 0
		.amdhsa_float_round_mode_16_64 0
		.amdhsa_float_denorm_mode_32 3
		.amdhsa_float_denorm_mode_16_64 3
		.amdhsa_dx10_clamp 1
		.amdhsa_ieee_mode 1
		.amdhsa_fp16_overflow 0
		.amdhsa_workgroup_processor_mode 1
		.amdhsa_memory_ordered 1
		.amdhsa_forward_progress 0
		.amdhsa_shared_vgpr_count 0
		.amdhsa_exception_fp_ieee_invalid_op 0
		.amdhsa_exception_fp_denorm_src 0
		.amdhsa_exception_fp_ieee_div_zero 0
		.amdhsa_exception_fp_ieee_overflow 0
		.amdhsa_exception_fp_ieee_underflow 0
		.amdhsa_exception_fp_ieee_inexact 0
		.amdhsa_exception_int_div_zero 0
	.end_amdhsa_kernel
	.section	.text._ZN4vllm24reshape_and_cache_kernelIffLNS_18Fp8KVCacheDataTypeE0EEEvPKT_S4_PT0_S6_PKliiiiiiPKfSA_,"axG",@progbits,_ZN4vllm24reshape_and_cache_kernelIffLNS_18Fp8KVCacheDataTypeE0EEEvPKT_S4_PT0_S6_PKliiiiiiPKfSA_,comdat
.Lfunc_end1:
	.size	_ZN4vllm24reshape_and_cache_kernelIffLNS_18Fp8KVCacheDataTypeE0EEEvPKT_S4_PT0_S6_PKliiiiiiPKfSA_, .Lfunc_end1-_ZN4vllm24reshape_and_cache_kernelIffLNS_18Fp8KVCacheDataTypeE0EEEvPKT_S4_PT0_S6_PKliiiiiiPKfSA_
                                        ; -- End function
	.section	.AMDGPU.csdata,"",@progbits
; Kernel info:
; codeLenInByte = 3436
; NumSgprs: 38
; NumVgprs: 32
; ScratchSize: 0
; MemoryBound: 0
; FloatMode: 240
; IeeeMode: 1
; LDSByteSize: 0 bytes/workgroup (compile time only)
; SGPRBlocks: 4
; VGPRBlocks: 3
; NumSGPRsForWavesPerEU: 38
; NumVGPRsForWavesPerEU: 32
; Occupancy: 16
; WaveLimiterHint : 0
; COMPUTE_PGM_RSRC2:SCRATCH_EN: 0
; COMPUTE_PGM_RSRC2:USER_SGPR: 15
; COMPUTE_PGM_RSRC2:TRAP_HANDLER: 0
; COMPUTE_PGM_RSRC2:TGID_X_EN: 1
; COMPUTE_PGM_RSRC2:TGID_Y_EN: 0
; COMPUTE_PGM_RSRC2:TGID_Z_EN: 0
; COMPUTE_PGM_RSRC2:TIDIG_COMP_CNT: 0
	.section	.text._ZN4vllm24reshape_and_cache_kernelIttLNS_18Fp8KVCacheDataTypeE0EEEvPKT_S4_PT0_S6_PKliiiiiiPKfSA_,"axG",@progbits,_ZN4vllm24reshape_and_cache_kernelIttLNS_18Fp8KVCacheDataTypeE0EEEvPKT_S4_PT0_S6_PKliiiiiiPKfSA_,comdat
	.protected	_ZN4vllm24reshape_and_cache_kernelIttLNS_18Fp8KVCacheDataTypeE0EEEvPKT_S4_PT0_S6_PKliiiiiiPKfSA_ ; -- Begin function _ZN4vllm24reshape_and_cache_kernelIttLNS_18Fp8KVCacheDataTypeE0EEEvPKT_S4_PT0_S6_PKliiiiiiPKfSA_
	.globl	_ZN4vllm24reshape_and_cache_kernelIttLNS_18Fp8KVCacheDataTypeE0EEEvPKT_S4_PT0_S6_PKliiiiiiPKfSA_
	.p2align	8
	.type	_ZN4vllm24reshape_and_cache_kernelIttLNS_18Fp8KVCacheDataTypeE0EEEvPKT_S4_PT0_S6_PKliiiiiiPKfSA_,@function
_ZN4vllm24reshape_and_cache_kernelIttLNS_18Fp8KVCacheDataTypeE0EEEvPKT_S4_PT0_S6_PKliiiiiiPKfSA_: ; @_ZN4vllm24reshape_and_cache_kernelIttLNS_18Fp8KVCacheDataTypeE0EEEvPKT_S4_PT0_S6_PKliiiiiiPKfSA_
; %bb.0:
	s_load_b64 s[2:3], s[0:1], 0x20
	s_mov_b32 s10, s15
	s_mov_b32 s11, 0
	s_delay_alu instid0(SALU_CYCLE_1)
	s_lshl_b64 s[4:5], s[10:11], 3
	s_waitcnt lgkmcnt(0)
	s_add_u32 s2, s2, s4
	s_addc_u32 s3, s3, s5
	s_load_b64 s[12:13], s[2:3], 0x0
	s_waitcnt lgkmcnt(0)
	v_cmp_lt_i64_e64 s2, s[12:13], 0
	s_delay_alu instid0(VALU_DEP_1)
	s_and_b32 vcc_lo, exec_lo, s2
	s_cbranch_vccnz .LBB2_38
; %bb.1:
	s_clause 0x1
	s_load_b64 s[8:9], s[0:1], 0x38
	s_load_b128 s[4:7], s[0:1], 0x28
	s_waitcnt lgkmcnt(0)
	s_abs_i32 s2, s9
	s_abs_i32 s14, s7
	v_cvt_f32_u32_e32 v1, s2
	s_sub_i32 s11, 0, s2
	s_delay_alu instid0(VALU_DEP_1) | instskip(SKIP_2) | instid1(VALU_DEP_1)
	v_rcp_iflag_f32_e32 v1, v1
	s_waitcnt_depctr 0xfff
	v_mul_f32_e32 v1, 0x4f7ffffe, v1
	v_cvt_u32_f32_e32 v1, v1
	s_delay_alu instid0(VALU_DEP_1) | instskip(NEXT) | instid1(VALU_DEP_1)
	v_readfirstlane_b32 s3, v1
	s_mul_i32 s11, s11, s3
	s_delay_alu instid0(SALU_CYCLE_1) | instskip(NEXT) | instid1(SALU_CYCLE_1)
	s_mul_hi_u32 s11, s3, s11
	s_add_i32 s3, s3, s11
	s_xor_b32 s11, s7, s9
	s_mul_hi_u32 s3, s14, s3
	s_ashr_i32 s11, s11, 31
	s_mul_i32 s15, s3, s2
	s_delay_alu instid0(SALU_CYCLE_1)
	s_sub_i32 s14, s14, s15
	s_add_i32 s15, s3, 1
	s_sub_i32 s16, s14, s2
	s_cmp_ge_u32 s14, s2
	s_cselect_b32 s3, s15, s3
	s_cselect_b32 s14, s16, s14
	s_add_i32 s15, s3, 1
	s_cmp_ge_u32 s14, s2
	s_cselect_b32 s2, s15, s3
	s_delay_alu instid0(SALU_CYCLE_1) | instskip(NEXT) | instid1(SALU_CYCLE_1)
	s_xor_b32 s2, s2, s11
	s_sub_i32 s11, s2, s11
	s_mov_b32 s2, exec_lo
	s_mul_i32 s18, s11, s6
	s_delay_alu instid0(SALU_CYCLE_1)
	v_cmpx_gt_i32_e64 s18, v0
	s_cbranch_execz .LBB2_38
; %bb.2:
	s_load_b64 s[20:21], s[0:1], 0x0
	s_ashr_i32 s15, s8, 31
	s_mov_b32 s14, s8
	s_delay_alu instid0(SALU_CYCLE_1) | instskip(SKIP_1) | instid1(SALU_CYCLE_1)
	s_or_b64 s[2:3], s[12:13], s[14:15]
	s_mov_b32 s2, 0
	s_cmp_lg_u64 s[2:3], 0
	s_cbranch_scc0 .LBB2_34
; %bb.3:
	s_add_u32 s22, s14, s15
	s_mov_b32 s16, s15
	s_mov_b32 s17, s15
	s_addc_u32 s23, s15, s15
	s_delay_alu instid0(SALU_CYCLE_1) | instskip(NEXT) | instid1(SALU_CYCLE_1)
	s_xor_b64 s[22:23], s[22:23], s[16:17]
	v_cvt_f32_u32_e32 v1, s22
	v_cvt_f32_u32_e32 v2, s23
	s_sub_u32 s24, 0, s22
	s_subb_u32 s25, 0, s23
	s_delay_alu instid0(VALU_DEP_1) | instskip(NEXT) | instid1(VALU_DEP_1)
	v_fmamk_f32 v1, v2, 0x4f800000, v1
	v_rcp_f32_e32 v1, v1
	s_waitcnt_depctr 0xfff
	v_mul_f32_e32 v1, 0x5f7ffffc, v1
	s_delay_alu instid0(VALU_DEP_1) | instskip(NEXT) | instid1(VALU_DEP_1)
	v_mul_f32_e32 v2, 0x2f800000, v1
	v_trunc_f32_e32 v2, v2
	s_delay_alu instid0(VALU_DEP_1) | instskip(SKIP_1) | instid1(VALU_DEP_2)
	v_fmamk_f32 v1, v2, 0xcf800000, v1
	v_cvt_u32_f32_e32 v2, v2
	v_cvt_u32_f32_e32 v1, v1
	s_delay_alu instid0(VALU_DEP_2) | instskip(NEXT) | instid1(VALU_DEP_2)
	v_readfirstlane_b32 s3, v2
	v_readfirstlane_b32 s19, v1
	s_delay_alu instid0(VALU_DEP_2) | instskip(NEXT) | instid1(VALU_DEP_1)
	s_mul_i32 s26, s24, s3
	s_mul_hi_u32 s28, s24, s19
	s_mul_i32 s27, s25, s19
	s_add_i32 s26, s28, s26
	s_mul_i32 s29, s24, s19
	s_add_i32 s26, s26, s27
	s_mul_hi_u32 s28, s19, s29
	s_mul_hi_u32 s30, s3, s29
	s_mul_i32 s27, s3, s29
	s_mul_hi_u32 s29, s19, s26
	s_mul_i32 s19, s19, s26
	s_mul_hi_u32 s31, s3, s26
	s_add_u32 s19, s28, s19
	s_addc_u32 s28, 0, s29
	s_add_u32 s19, s19, s27
	s_mul_i32 s26, s3, s26
	s_addc_u32 s19, s28, s30
	s_addc_u32 s27, s31, 0
	s_add_u32 s19, s19, s26
	s_addc_u32 s26, 0, s27
	v_add_co_u32 v1, s19, v1, s19
	s_delay_alu instid0(VALU_DEP_1) | instskip(SKIP_1) | instid1(VALU_DEP_1)
	s_cmp_lg_u32 s19, 0
	s_addc_u32 s3, s3, s26
	v_readfirstlane_b32 s19, v1
	s_mul_i32 s26, s24, s3
	s_delay_alu instid0(VALU_DEP_1)
	s_mul_hi_u32 s27, s24, s19
	s_mul_i32 s25, s25, s19
	s_add_i32 s26, s27, s26
	s_mul_i32 s24, s24, s19
	s_add_i32 s26, s26, s25
	s_mul_hi_u32 s27, s3, s24
	s_mul_i32 s28, s3, s24
	s_mul_hi_u32 s24, s19, s24
	s_mul_hi_u32 s29, s19, s26
	s_mul_i32 s19, s19, s26
	s_mul_hi_u32 s25, s3, s26
	s_add_u32 s19, s24, s19
	s_addc_u32 s24, 0, s29
	s_add_u32 s19, s19, s28
	s_mul_i32 s26, s3, s26
	s_addc_u32 s19, s24, s27
	s_addc_u32 s24, s25, 0
	s_add_u32 s19, s19, s26
	s_addc_u32 s24, 0, s24
	v_add_co_u32 v1, s19, v1, s19
	s_delay_alu instid0(VALU_DEP_1) | instskip(SKIP_2) | instid1(VALU_DEP_1)
	s_cmp_lg_u32 s19, 0
	s_addc_u32 s3, s3, s24
	s_ashr_i32 s24, s13, 31
	v_readfirstlane_b32 s19, v1
	s_add_u32 s26, s12, s24
	s_mov_b32 s25, s24
	s_addc_u32 s27, s13, s24
	s_delay_alu instid0(SALU_CYCLE_1) | instskip(NEXT) | instid1(SALU_CYCLE_1)
	s_xor_b64 s[26:27], s[26:27], s[24:25]
	s_mul_i32 s29, s26, s3
	s_mul_hi_u32 s30, s26, s19
	s_mul_hi_u32 s28, s26, s3
	s_mul_hi_u32 s33, s27, s19
	s_mul_i32 s19, s27, s19
	s_add_u32 s29, s30, s29
	s_addc_u32 s28, 0, s28
	s_mul_hi_u32 s31, s27, s3
	s_add_u32 s19, s29, s19
	s_mul_i32 s3, s27, s3
	s_addc_u32 s19, s28, s33
	s_addc_u32 s28, s31, 0
	s_add_u32 s3, s19, s3
	s_addc_u32 s19, 0, s28
	s_mul_i32 s31, s22, s3
	s_mul_hi_u32 s28, s22, s3
	s_mul_i32 s30, s22, s19
	v_sub_co_u32 v1, s26, s26, s31
	s_mul_i32 s29, s23, s3
	s_add_i32 s28, s28, s30
	s_delay_alu instid0(SALU_CYCLE_1) | instskip(NEXT) | instid1(VALU_DEP_1)
	s_add_i32 s28, s28, s29
	v_sub_co_u32 v2, s30, v1, s22
	s_sub_i32 s29, s27, s28
	s_cmp_lg_u32 s26, 0
	s_subb_u32 s29, s29, s23
	s_cmp_lg_u32 s30, 0
	v_readfirstlane_b32 s30, v2
	s_subb_u32 s29, s29, 0
	s_delay_alu instid0(SALU_CYCLE_1) | instskip(SKIP_1) | instid1(VALU_DEP_1)
	s_cmp_ge_u32 s29, s23
	s_cselect_b32 s31, -1, 0
	s_cmp_ge_u32 s30, s22
	s_cselect_b32 s30, -1, 0
	s_cmp_eq_u32 s29, s23
	s_cselect_b32 s29, s30, s31
	s_add_u32 s30, s3, 1
	s_addc_u32 s31, s19, 0
	s_add_u32 s33, s3, 2
	s_addc_u32 s34, s19, 0
	s_cmp_lg_u32 s29, 0
	s_cselect_b32 s29, s33, s30
	s_cselect_b32 s30, s34, s31
	s_cmp_lg_u32 s26, 0
	v_readfirstlane_b32 s26, v1
	s_subb_u32 s27, s27, s28
	s_delay_alu instid0(SALU_CYCLE_1) | instskip(SKIP_1) | instid1(VALU_DEP_1)
	s_cmp_ge_u32 s27, s23
	s_cselect_b32 s28, -1, 0
	s_cmp_ge_u32 s26, s22
	s_cselect_b32 s22, -1, 0
	s_cmp_eq_u32 s27, s23
	s_cselect_b32 s22, s22, s28
	s_delay_alu instid0(SALU_CYCLE_1) | instskip(SKIP_3) | instid1(SALU_CYCLE_1)
	s_cmp_lg_u32 s22, 0
	s_cselect_b32 s23, s30, s19
	s_cselect_b32 s22, s29, s3
	s_xor_b64 s[16:17], s[24:25], s[16:17]
	s_xor_b64 s[22:23], s[22:23], s[16:17]
	s_delay_alu instid0(SALU_CYCLE_1)
	s_sub_u32 s16, s22, s16
	s_subb_u32 s17, s23, s17
	s_load_b64 s[24:25], s[0:1], 0x10
	s_and_not1_b32 vcc_lo, exec_lo, s2
	s_cbranch_vccnz .LBB2_5
.LBB2_4:
	v_cvt_f32_u32_e32 v1, s14
	s_sub_i32 s3, 0, s14
	s_delay_alu instid0(VALU_DEP_1) | instskip(SKIP_2) | instid1(VALU_DEP_1)
	v_rcp_iflag_f32_e32 v1, v1
	s_waitcnt_depctr 0xfff
	v_mul_f32_e32 v1, 0x4f7ffffe, v1
	v_cvt_u32_f32_e32 v1, v1
	s_delay_alu instid0(VALU_DEP_1) | instskip(NEXT) | instid1(VALU_DEP_1)
	v_readfirstlane_b32 s2, v1
	s_mul_i32 s3, s3, s2
	s_delay_alu instid0(SALU_CYCLE_1) | instskip(NEXT) | instid1(SALU_CYCLE_1)
	s_mul_hi_u32 s3, s2, s3
	s_add_i32 s2, s2, s3
	s_delay_alu instid0(SALU_CYCLE_1) | instskip(NEXT) | instid1(SALU_CYCLE_1)
	s_mul_hi_u32 s2, s12, s2
	s_mul_i32 s3, s2, s14
	s_add_i32 s16, s2, 1
	s_sub_i32 s3, s12, s3
	s_delay_alu instid0(SALU_CYCLE_1)
	s_sub_i32 s17, s3, s14
	s_cmp_ge_u32 s3, s14
	s_cselect_b32 s2, s16, s2
	s_cselect_b32 s3, s17, s3
	s_add_i32 s16, s2, 1
	s_cmp_ge_u32 s3, s14
	s_mov_b32 s17, 0
	s_cselect_b32 s16, s16, s2
.LBB2_5:
	s_delay_alu instid0(SALU_CYCLE_1)
	s_mul_i32 s2, s16, s15
	s_mul_hi_u32 s3, s16, s14
	s_mul_i32 s19, s16, s14
	s_add_i32 s2, s3, s2
	s_mul_i32 s3, s17, s14
	s_mul_i32 s33, s18, s16
	s_add_i32 s2, s2, s3
	s_sub_u32 s22, s12, s19
	s_subb_u32 s23, s13, s2
	s_abs_i32 s2, s11
	s_ashr_i32 s30, s11, 31
	v_cvt_f32_u32_e32 v1, s2
	s_sub_i32 s3, 0, s2
	s_mul_hi_i32 s28, s9, s14
	s_mul_hi_i32 s19, s11, s6
	s_mul_i32 s26, s18, s17
	v_rcp_iflag_f32_e32 v1, v1
	s_mul_hi_u32 s27, s18, s16
	s_mul_i32 s35, s19, s16
	s_mul_i32 s34, s9, s14
	v_mov_b32_e32 v11, 0
	s_mul_hi_u32 s36, s34, s33
	s_mov_b32 s31, s9
	s_waitcnt_depctr 0xfff
	v_mul_f32_e32 v1, 0x4f7ffffe, v1
	s_delay_alu instid0(VALU_DEP_1) | instskip(NEXT) | instid1(VALU_DEP_1)
	v_cvt_u32_f32_e32 v1, v1
	v_mul_lo_u32 v2, s3, v1
	s_mul_hi_u32 s3, s4, s10
	s_delay_alu instid0(VALU_DEP_1) | instskip(NEXT) | instid1(VALU_DEP_1)
	v_mul_hi_u32 v2, v1, v2
	v_add_nc_u32_e32 v1, v1, v2
	s_delay_alu instid0(VALU_DEP_1) | instskip(NEXT) | instid1(VALU_DEP_1)
	v_mul_hi_u32 v1, v0, v1
	v_mul_lo_u32 v2, v1, s2
	v_add_nc_u32_e32 v3, 1, v1
	s_delay_alu instid0(VALU_DEP_2) | instskip(NEXT) | instid1(VALU_DEP_1)
	v_sub_nc_u32_e32 v2, v0, v2
	v_subrev_nc_u32_e32 v4, s2, v2
	v_cmp_le_u32_e32 vcc_lo, s2, v2
	s_delay_alu instid0(VALU_DEP_2) | instskip(NEXT) | instid1(VALU_DEP_1)
	v_dual_cndmask_b32 v2, v2, v4 :: v_dual_cndmask_b32 v1, v1, v3
	v_cmp_le_u32_e32 vcc_lo, s2, v2
	s_delay_alu instid0(VALU_DEP_2) | instskip(SKIP_2) | instid1(SALU_CYCLE_1)
	v_add_nc_u32_e32 v3, 1, v1
	s_mul_i32 s2, s4, s10
	s_ashr_i32 s4, s4, 31
	s_mul_i32 s4, s4, s10
	s_delay_alu instid0(VALU_DEP_1) | instskip(SKIP_3) | instid1(VALU_DEP_1)
	v_cndmask_b32_e32 v1, v1, v3, vcc_lo
	s_add_i32 s3, s3, s4
	s_mul_i32 s4, s28, s33
	s_lshl_b64 s[28:29], s[2:3], 1
	v_xor_b32_e32 v1, s30, v1
	s_waitcnt lgkmcnt(0)
	s_add_u32 s2, s20, s28
	s_addc_u32 s3, s21, s29
	s_add_i32 s26, s27, s26
	v_subrev_nc_u32_e32 v1, s30, v1
	s_add_i32 s26, s26, s35
	s_delay_alu instid0(VALU_DEP_1) | instskip(NEXT) | instid1(VALU_DEP_1)
	v_mul_lo_u32 v6, v1, s11
	v_sub_nc_u32_e32 v17, v0, v6
	v_mul_lo_u32 v0, v1, s7
	s_mul_i32 s7, s9, s8
	s_delay_alu instid0(SALU_CYCLE_1) | instskip(NEXT) | instid1(VALU_DEP_3)
	v_mul_lo_u32 v6, s7, v6
	v_mul_lo_u32 v4, v17, s9
	s_delay_alu instid0(VALU_DEP_3) | instskip(NEXT) | instid1(VALU_DEP_2)
	v_ashrrev_i32_e32 v1, 31, v0
	v_ashrrev_i32_e32 v5, 31, v4
	s_delay_alu instid0(VALU_DEP_2) | instskip(NEXT) | instid1(VALU_DEP_2)
	v_lshlrev_b64 v[0:1], 1, v[0:1]
	v_lshlrev_b64 v[2:3], 1, v[4:5]
	v_mul_lo_u32 v4, v4, s8
	s_delay_alu instid0(VALU_DEP_3) | instskip(NEXT) | instid1(VALU_DEP_4)
	v_add_co_u32 v5, vcc_lo, s2, v0
	v_add_co_ci_u32_e32 v7, vcc_lo, s3, v1, vcc_lo
	s_mul_i32 s2, s34, s26
	s_delay_alu instid0(VALU_DEP_2) | instskip(SKIP_1) | instid1(VALU_DEP_2)
	v_add_co_u32 v8, vcc_lo, v5, v2
	s_add_i32 s2, s36, s2
	v_add_co_ci_u32_e32 v9, vcc_lo, v7, v3, vcc_lo
	s_delay_alu instid0(VALU_DEP_2)
	v_and_b32_e32 v10, 15, v8
	s_add_i32 s27, s2, s4
	s_and_b32 s2, s9, 7
	s_ashr_i32 s3, s9, 31
	s_cmp_lg_u32 s2, 0
	v_cmp_ne_u64_e32 vcc_lo, 0, v[10:11]
	v_ashrrev_i32_e32 v7, 31, v6
	v_ashrrev_i32_e32 v5, 31, v4
	s_cselect_b32 s2, -1, 0
	s_mul_i32 s26, s34, s33
	s_or_b32 s2, s2, vcc_lo
	s_delay_alu instid0(SALU_CYCLE_1) | instskip(NEXT) | instid1(SALU_CYCLE_1)
	s_and_saveexec_b32 s4, s2
	s_xor_b32 s4, exec_lo, s4
	s_cbranch_execz .LBB2_21
; %bb.6:
	v_sub_nc_u32_e32 v10, 0, v8
	s_mov_b32 s33, exec_lo
	s_delay_alu instid0(VALU_DEP_1) | instskip(NEXT) | instid1(VALU_DEP_1)
	v_bfe_u32 v10, v10, 1, 3
	v_min_i32_e32 v10, s9, v10
	s_delay_alu instid0(VALU_DEP_1)
	v_cmpx_lt_i32_e32 0, v10
	s_cbranch_execz .LBB2_9
; %bb.7:
	s_lshl_b64 s[34:35], s[18:19], 1
	v_lshlrev_b64 v[11:12], 1, v[6:7]
	s_add_u32 s2, s34, -2
	s_addc_u32 s34, s35, -1
	s_mul_hi_u32 s35, s16, s2
	s_mul_i32 s34, s16, s34
	s_mul_i32 s36, s17, s2
	;; [unrolled: 1-line block ×3, first 2 shown]
	s_add_i32 s34, s35, s34
	s_mul_i32 s35, s2, s15
	s_mul_hi_u32 s37, s2, s14
	s_add_i32 s34, s34, s36
	s_add_i32 s36, s37, s35
	s_mul_i32 s37, s34, s14
	s_mul_i32 s2, s2, s14
	s_lshl_b64 s[34:35], s[12:13], 1
	s_add_i32 s36, s36, s37
	s_add_u32 s2, s2, s34
	s_addc_u32 s34, s36, s35
	v_mad_u64_u32 v[13:14], null, s2, s31, v[11:12]
	v_lshlrev_b64 v[11:12], 1, v[4:5]
	s_mul_i32 s2, s2, s3
	s_mul_i32 s34, s34, s31
	v_mov_b32_e32 v15, v10
	s_delay_alu instid0(VALU_DEP_3) | instskip(NEXT) | instid1(VALU_DEP_3)
	v_add3_u32 v14, s2, s34, v14
	v_add_co_u32 v11, vcc_lo, v13, v11
	s_mov_b32 s34, 0
	s_delay_alu instid0(VALU_DEP_2) | instskip(SKIP_1) | instid1(VALU_DEP_3)
	v_add_co_ci_u32_e32 v12, vcc_lo, v14, v12, vcc_lo
	v_mov_b32_e32 v14, v9
	v_add_co_u32 v11, vcc_lo, s24, v11
	s_delay_alu instid0(VALU_DEP_3)
	v_add_co_ci_u32_e32 v12, vcc_lo, s25, v12, vcc_lo
	v_mov_b32_e32 v13, v8
.LBB2_8:                                ; =>This Inner Loop Header: Depth=1
	global_load_u16 v16, v[13:14], off
	v_add_nc_u32_e32 v15, -1, v15
	v_add_co_u32 v13, vcc_lo, v13, 2
	v_add_co_ci_u32_e32 v14, vcc_lo, 0, v14, vcc_lo
	s_delay_alu instid0(VALU_DEP_3) | instskip(SKIP_4) | instid1(VALU_DEP_1)
	v_cmp_eq_u32_e32 vcc_lo, 0, v15
	s_or_b32 s34, vcc_lo, s34
	s_waitcnt vmcnt(0)
	global_store_b16 v[11:12], v16, off
	v_add_co_u32 v11, s2, v11, 2
	v_add_co_ci_u32_e64 v12, s2, 0, v12, s2
	s_and_not1_b32 exec_lo, exec_lo, s34
	s_cbranch_execnz .LBB2_8
.LBB2_9:
	s_or_b32 exec_lo, exec_lo, s33
	v_sub_nc_u32_e32 v16, s9, v10
	s_mov_b32 s33, exec_lo
	s_delay_alu instid0(VALU_DEP_1) | instskip(NEXT) | instid1(VALU_DEP_1)
	v_ashrrev_i32_e32 v11, 31, v16
	v_lshrrev_b32_e32 v11, 29, v11
	s_delay_alu instid0(VALU_DEP_1) | instskip(SKIP_1) | instid1(VALU_DEP_2)
	v_add_nc_u32_e32 v12, v16, v11
	v_ashrrev_i32_e32 v11, 31, v10
	v_ashrrev_i32_e32 v18, 3, v12
	v_cmpx_lt_i32_e32 7, v16
	s_cbranch_execz .LBB2_12
; %bb.10:
	s_lshl_b64 s[34:35], s[18:19], 1
	v_lshlrev_b64 v[12:13], 1, v[6:7]
	s_add_u32 s2, s34, -2
	s_addc_u32 s34, s35, -1
	s_mul_hi_u32 s35, s16, s2
	s_mul_i32 s34, s16, s34
	s_mul_i32 s36, s17, s2
	;; [unrolled: 1-line block ×3, first 2 shown]
	s_add_i32 s34, s35, s34
	s_mul_i32 s35, s2, s15
	s_mul_hi_u32 s37, s2, s14
	s_add_i32 s34, s34, s36
	s_add_i32 s36, s37, s35
	s_mul_i32 s37, s34, s14
	s_mul_i32 s2, s2, s14
	s_lshl_b64 s[34:35], s[12:13], 1
	s_add_i32 s36, s36, s37
	s_add_u32 s2, s2, s34
	s_addc_u32 s34, s36, s35
	v_mad_u64_u32 v[14:15], null, s2, s31, v[12:13]
	v_lshlrev_b64 v[19:20], 1, v[4:5]
	s_mul_i32 s2, s2, s3
	s_mul_i32 s34, s34, s31
	v_lshlrev_b64 v[12:13], 1, v[10:11]
	v_mov_b32_e32 v21, v18
	s_delay_alu instid0(VALU_DEP_4) | instskip(SKIP_2) | instid1(VALU_DEP_2)
	v_add3_u32 v15, s2, s34, v15
	v_add_co_u32 v19, vcc_lo, v14, v19
	s_mov_b32 s34, 0
	v_add_co_ci_u32_e32 v20, vcc_lo, v15, v20, vcc_lo
	s_delay_alu instid0(VALU_DEP_2) | instskip(SKIP_1) | instid1(VALU_DEP_3)
	v_add_co_u32 v19, vcc_lo, s24, v19
	v_dual_mov_b32 v15, v9 :: v_dual_mov_b32 v14, v8
	v_add_co_ci_u32_e32 v20, vcc_lo, s25, v20, vcc_lo
	.p2align	6
.LBB2_11:                               ; =>This Inner Loop Header: Depth=1
	s_delay_alu instid0(VALU_DEP_2) | instskip(NEXT) | instid1(VALU_DEP_3)
	v_add_co_u32 v22, vcc_lo, v14, v12
	v_add_co_ci_u32_e32 v23, vcc_lo, v15, v13, vcc_lo
	v_add_co_u32 v26, vcc_lo, v19, v12
	v_add_nc_u32_e32 v21, -1, v21
	global_load_b128 v[22:25], v[22:23], off
	v_add_co_ci_u32_e32 v27, vcc_lo, v20, v13, vcc_lo
	v_add_co_u32 v19, vcc_lo, v19, 16
	v_add_co_ci_u32_e32 v20, vcc_lo, 0, v20, vcc_lo
	v_cmp_eq_u32_e32 vcc_lo, 0, v21
	v_add_co_u32 v14, s2, v14, 16
	s_delay_alu instid0(VALU_DEP_1)
	v_add_co_ci_u32_e64 v15, s2, 0, v15, s2
	s_or_b32 s34, vcc_lo, s34
	s_waitcnt vmcnt(0)
	global_store_b128 v[26:27], v[22:25], off
	s_and_not1_b32 exec_lo, exec_lo, s34
	s_cbranch_execnz .LBB2_11
.LBB2_12:
	s_or_b32 exec_lo, exec_lo, s33
	s_delay_alu instid0(VALU_DEP_2) | instskip(SKIP_1) | instid1(VALU_DEP_1)
	v_lshlrev_b32_e32 v12, 3, v18
	s_mov_b32 s33, exec_lo
	v_cmpx_lt_i32_e64 v12, v16
	s_cbranch_execz .LBB2_20
; %bb.13:
	v_add_nc_u32_e32 v13, v10, v12
	s_mov_b32 s2, -1
	s_mov_b32 s34, exec_lo
	s_delay_alu instid0(VALU_DEP_1) | instskip(NEXT) | instid1(VALU_DEP_1)
	v_sub_nc_u32_e32 v13, s9, v13
	v_cmpx_lt_u32_e32 15, v13
	s_cbranch_execz .LBB2_17
; %bb.14:
	v_mul_lo_u32 v14, s7, v17
	v_lshlrev_b64 v[17:18], 1, v[6:7]
	s_lshl_b64 s[36:37], s[26:27], 1
	s_mul_i32 s2, s22, s3
	s_add_u32 s36, s24, s36
	s_addc_u32 s37, s25, s37
	s_mul_hi_u32 s7, s22, s31
	v_add_co_u32 v17, vcc_lo, s36, v17
	v_ashrrev_i32_e32 v15, 31, v14
	v_add_co_ci_u32_e32 v18, vcc_lo, s37, v18, vcc_lo
	s_mul_i32 s35, s23, s31
	s_add_i32 s2, s7, s2
	s_delay_alu instid0(VALU_DEP_2)
	v_lshlrev_b64 v[14:15], 1, v[14:15]
	s_mul_i32 s38, s22, s31
	s_add_i32 s39, s2, s35
	v_lshlrev_b64 v[19:20], 1, v[10:11]
	s_lshl_b64 s[36:37], s[38:39], 1
	s_mov_b32 s7, 0
	v_add_co_u32 v14, vcc_lo, v17, v14
	v_add_co_ci_u32_e32 v15, vcc_lo, v18, v15, vcc_lo
	s_delay_alu instid0(VALU_DEP_2) | instskip(NEXT) | instid1(VALU_DEP_2)
	v_add_co_u32 v18, vcc_lo, v14, s36
	v_add_co_ci_u32_e32 v21, vcc_lo, s37, v15, vcc_lo
	v_add_co_u32 v15, vcc_lo, v8, v19
	v_and_b32_e32 v14, -16, v13
	v_add_co_ci_u32_e32 v17, vcc_lo, v9, v20, vcc_lo
	v_add_co_u32 v18, vcc_lo, v18, v19
	v_add_co_ci_u32_e32 v19, vcc_lo, v21, v20, vcc_lo
	v_mov_b32_e32 v8, v12
	v_mov_b32_e32 v20, v14
	.p2align	6
.LBB2_15:                               ; =>This Inner Loop Header: Depth=1
	s_delay_alu instid0(VALU_DEP_2) | instskip(NEXT) | instid1(VALU_DEP_2)
	v_ashrrev_i32_e32 v9, 31, v8
	v_add_nc_u32_e32 v20, -16, v20
	s_delay_alu instid0(VALU_DEP_2) | instskip(SKIP_1) | instid1(VALU_DEP_2)
	v_lshlrev_b64 v[29:30], 1, v[8:9]
	v_add_nc_u32_e32 v8, 16, v8
	v_add_co_u32 v25, vcc_lo, v15, v29
	s_delay_alu instid0(VALU_DEP_3)
	v_add_co_ci_u32_e32 v26, vcc_lo, v17, v30, vcc_lo
	v_cmp_eq_u32_e32 vcc_lo, 0, v20
	v_add_co_u32 v29, s2, v18, v29
	s_clause 0x1
	global_load_b128 v[21:24], v[25:26], off
	global_load_b128 v[25:28], v[25:26], off offset:16
	v_add_co_ci_u32_e64 v30, s2, v19, v30, s2
	s_or_b32 s7, vcc_lo, s7
	s_waitcnt vmcnt(1)
	global_store_b32 v[29:30], v21, off
	s_waitcnt vmcnt(0)
	s_clause 0x1
	global_store_b128 v[29:30], v[22:25], off offset:4
	global_store_b96 v[29:30], v[26:28], off offset:20
	s_and_not1_b32 exec_lo, exec_lo, s7
	s_cbranch_execnz .LBB2_15
; %bb.16:
	s_or_b32 exec_lo, exec_lo, s7
	v_cmp_ne_u32_e32 vcc_lo, v13, v14
	v_add_nc_u32_e32 v12, v12, v14
	s_or_not1_b32 s2, vcc_lo, exec_lo
.LBB2_17:
	s_or_b32 exec_lo, exec_lo, s34
	s_delay_alu instid0(SALU_CYCLE_1)
	s_and_b32 exec_lo, exec_lo, s2
	s_cbranch_execz .LBB2_20
; %bb.18:
	s_lshl_b64 s[34:35], s[18:19], 1
	v_lshlrev_b64 v[8:9], 1, v[10:11]
	s_add_u32 s2, s34, -2
	s_addc_u32 s7, s35, -1
	s_mul_hi_u32 s34, s16, s2
	s_mul_i32 s7, s16, s7
	v_ashrrev_i32_e32 v13, 31, v12
	s_add_i32 s7, s34, s7
	s_mul_i32 s34, s16, s2
	s_mul_i32 s2, s17, s2
	;; [unrolled: 1-line block ×3, first 2 shown]
	s_mul_hi_u32 s36, s34, s14
	s_add_i32 s2, s7, s2
	s_add_i32 s7, s36, s35
	s_mul_i32 s2, s2, s14
	s_mul_i32 s36, s34, s14
	s_lshl_b64 s[34:35], s[12:13], 1
	s_add_i32 s7, s7, s2
	s_add_u32 s2, s36, s34
	v_lshlrev_b64 v[13:14], 1, v[12:13]
	v_mad_u64_u32 v[10:11], null, s2, s31, v[8:9]
	v_add_co_u32 v8, vcc_lo, s28, v8
	s_addc_u32 s7, s7, s35
	v_add_co_ci_u32_e32 v9, vcc_lo, s29, v9, vcc_lo
	s_mul_i32 s7, s7, s31
	s_mul_i32 s2, s2, s3
	v_add_co_u32 v15, vcc_lo, v8, v13
	s_delay_alu instid0(VALU_DEP_4) | instskip(SKIP_3) | instid1(VALU_DEP_4)
	v_add3_u32 v11, s2, s7, v11
	v_add_co_ci_u32_e32 v17, vcc_lo, v9, v14, vcc_lo
	v_add_co_u32 v10, vcc_lo, v10, v13
	v_lshlrev_b64 v[8:9], 1, v[6:7]
	v_add_co_ci_u32_e32 v11, vcc_lo, v11, v14, vcc_lo
	v_add_co_u32 v13, vcc_lo, v15, v2
	v_add_co_ci_u32_e32 v14, vcc_lo, v17, v3, vcc_lo
	s_delay_alu instid0(VALU_DEP_4) | instskip(NEXT) | instid1(VALU_DEP_4)
	v_add_co_u32 v10, vcc_lo, v10, v8
	v_add_co_ci_u32_e32 v11, vcc_lo, v11, v9, vcc_lo
	v_lshlrev_b64 v[8:9], 1, v[4:5]
	v_add_co_u32 v13, vcc_lo, v13, v0
	v_add_co_ci_u32_e32 v14, vcc_lo, v14, v1, vcc_lo
	s_mov_b32 s7, 0
	s_delay_alu instid0(VALU_DEP_3) | instskip(NEXT) | instid1(VALU_DEP_4)
	v_add_co_u32 v10, vcc_lo, v10, v8
	v_add_co_ci_u32_e32 v11, vcc_lo, v11, v9, vcc_lo
	v_add_co_u32 v8, vcc_lo, s20, v13
	v_add_co_ci_u32_e32 v9, vcc_lo, s21, v14, vcc_lo
	s_delay_alu instid0(VALU_DEP_4) | instskip(NEXT) | instid1(VALU_DEP_4)
	v_add_co_u32 v10, vcc_lo, s24, v10
	v_add_co_ci_u32_e32 v11, vcc_lo, s25, v11, vcc_lo
.LBB2_19:                               ; =>This Inner Loop Header: Depth=1
	global_load_u16 v13, v[8:9], off
	v_add_nc_u32_e32 v12, 1, v12
	v_add_co_u32 v8, vcc_lo, v8, 2
	v_add_co_ci_u32_e32 v9, vcc_lo, 0, v9, vcc_lo
	s_delay_alu instid0(VALU_DEP_3) | instskip(SKIP_4) | instid1(VALU_DEP_1)
	v_cmp_ge_i32_e32 vcc_lo, v12, v16
	s_or_b32 s7, vcc_lo, s7
	s_waitcnt vmcnt(0)
	global_store_b16 v[10:11], v13, off
	v_add_co_u32 v10, s2, v10, 2
	v_add_co_ci_u32_e64 v11, s2, 0, v11, s2
	s_and_not1_b32 exec_lo, exec_lo, s7
	s_cbranch_execnz .LBB2_19
.LBB2_20:
	s_or_b32 exec_lo, exec_lo, s33
                                        ; implicit-def: $vgpr8
.LBB2_21:
	s_and_not1_saveexec_b32 s4, s4
	s_cbranch_execz .LBB2_25
; %bb.22:
	s_ashr_i32 s7, s9, 3
	s_delay_alu instid0(SALU_CYCLE_1)
	s_cmp_lt_i32 s7, 1
	s_cbranch_scc1 .LBB2_25
; %bb.23:
	s_lshl_b64 s[18:19], s[18:19], 1
	v_lshlrev_b64 v[10:11], 1, v[6:7]
	s_add_u32 s2, s18, -2
	s_addc_u32 s18, s19, -1
	s_mul_hi_u32 s19, s16, s2
	s_mul_i32 s18, s16, s18
	s_mul_i32 s20, s17, s2
	;; [unrolled: 1-line block ×3, first 2 shown]
	s_add_i32 s18, s19, s18
	s_mul_i32 s19, s2, s15
	s_mul_hi_u32 s21, s2, s14
	s_add_i32 s18, s18, s20
	s_add_i32 s20, s21, s19
	s_mul_i32 s21, s18, s14
	s_mul_i32 s2, s2, s14
	s_lshl_b64 s[18:19], s[12:13], 1
	s_add_i32 s20, s20, s21
	s_add_u32 s2, s2, s18
	s_addc_u32 s18, s20, s19
	v_mad_u64_u32 v[12:13], null, s2, s31, v[10:11]
	v_lshlrev_b64 v[10:11], 1, v[4:5]
	s_mul_i32 s18, s18, s31
	s_mul_i32 s2, s2, s3
	s_delay_alu instid0(VALU_DEP_2) | instid1(SALU_CYCLE_1)
	v_add3_u32 v13, s2, s18, v13
	s_delay_alu instid0(VALU_DEP_2) | instskip(SKIP_1) | instid1(VALU_DEP_2)
	v_add_co_u32 v10, vcc_lo, v12, v10
	s_mov_b64 s[2:3], 0
	v_add_co_ci_u32_e32 v11, vcc_lo, v13, v11, vcc_lo
	s_delay_alu instid0(VALU_DEP_2) | instskip(NEXT) | instid1(VALU_DEP_2)
	v_add_co_u32 v10, vcc_lo, s24, v10
	v_add_co_ci_u32_e32 v11, vcc_lo, s25, v11, vcc_lo
.LBB2_24:                               ; =>This Inner Loop Header: Depth=1
	v_add_co_u32 v12, vcc_lo, v8, s2
	v_add_co_ci_u32_e32 v13, vcc_lo, s3, v9, vcc_lo
	s_delay_alu instid0(VALU_DEP_4) | instskip(NEXT) | instid1(VALU_DEP_4)
	v_add_co_u32 v16, vcc_lo, v10, s2
	v_add_co_ci_u32_e32 v17, vcc_lo, s3, v11, vcc_lo
	global_load_b128 v[12:15], v[12:13], off
	s_add_i32 s7, s7, -1
	s_add_u32 s2, s2, 16
	s_addc_u32 s3, s3, 0
	s_cmp_eq_u32 s7, 0
	s_waitcnt vmcnt(0)
	global_store_b128 v[16:17], v[12:15], off
	s_cbranch_scc0 .LBB2_24
.LBB2_25:
	s_or_b32 exec_lo, exec_lo, s4
	s_cmp_lt_i32 s9, 1
	s_cbranch_scc1 .LBB2_38
; %bb.26:
	s_clause 0x1
	s_load_b64 s[18:19], s[0:1], 0x18
	s_load_b64 s[2:3], s[0:1], 0x8
	v_lshlrev_b64 v[6:7], 1, v[6:7]
	s_lshl_b64 s[0:1], s[26:27], 1
	v_lshlrev_b64 v[4:5], 1, v[4:5]
	s_waitcnt lgkmcnt(0)
	s_add_u32 s0, s18, s0
	s_addc_u32 s4, s19, s1
	v_add_co_u32 v8, vcc_lo, s0, v6
	v_add_co_ci_u32_e32 v9, vcc_lo, s4, v7, vcc_lo
	s_lshl_b64 s[20:21], s[22:23], 1
	s_delay_alu instid0(VALU_DEP_2)
	v_add_co_u32 v8, vcc_lo, v8, v4
	s_ashr_i32 s1, s5, 31
	s_cmp_eq_u32 s9, 1
	v_add_co_ci_u32_e32 v9, vcc_lo, v9, v5, vcc_lo
	s_cselect_b32 s7, -1, 0
	s_cmp_lg_u32 s8, 1
	v_add_co_u32 v10, vcc_lo, v8, s20
	s_cselect_b32 s0, -1, 0
	v_add_co_ci_u32_e32 v11, vcc_lo, s21, v9, vcc_lo
	s_or_b32 s0, s7, s0
	s_delay_alu instid0(SALU_CYCLE_1)
	s_and_b32 vcc_lo, exec_lo, s0
	s_cbranch_vccnz .LBB2_35
; %bb.27:
	s_add_i32 s0, s9, -2
	s_mov_b32 s20, 0
	s_lshr_b32 s4, s0, 1
	s_delay_alu instid0(SALU_CYCLE_1)
	s_add_i32 s4, s4, 1
	s_cmp_lt_u32 s0, 14
	s_cbranch_scc1 .LBB2_30
; %bb.28:
	s_mul_i32 s0, s1, s10
	s_mul_hi_u32 s7, s5, s10
	s_mul_i32 s20, s5, s10
	s_add_i32 s21, s7, s0
	s_and_b32 s7, s4, -8
	s_lshl_b64 s[20:21], s[20:21], 1
	s_delay_alu instid0(SALU_CYCLE_1) | instskip(SKIP_2) | instid1(VALU_DEP_2)
	v_add_co_u32 v8, vcc_lo, s20, v2
	v_add_co_ci_u32_e32 v9, vcc_lo, s21, v3, vcc_lo
	s_mov_b32 s20, 0
	v_add_co_u32 v8, vcc_lo, v8, v0
	s_delay_alu instid0(VALU_DEP_2) | instskip(NEXT) | instid1(VALU_DEP_2)
	v_add_co_ci_u32_e32 v9, vcc_lo, v9, v1, vcc_lo
	v_add_co_u32 v8, vcc_lo, v8, s2
	s_delay_alu instid0(VALU_DEP_2) | instskip(NEXT) | instid1(VALU_DEP_2)
	v_add_co_ci_u32_e32 v9, vcc_lo, s3, v9, vcc_lo
	v_add_co_u32 v8, vcc_lo, v8, 28
	s_delay_alu instid0(VALU_DEP_2)
	v_add_co_ci_u32_e32 v9, vcc_lo, 0, v9, vcc_lo
	.p2align	6
.LBB2_29:                               ; =>This Inner Loop Header: Depth=1
	s_clause 0x1
	global_load_b128 v[12:15], v[8:9], off offset:-28
	global_load_b128 v[16:19], v[8:9], off offset:-12
	s_ashr_i32 s21, s20, 31
	v_add_co_u32 v8, vcc_lo, v8, 32
	s_lshl_b64 s[22:23], s[20:21], 1
	v_add_co_ci_u32_e32 v9, vcc_lo, 0, v9, vcc_lo
	v_add_co_u32 v20, s0, v10, s22
	s_delay_alu instid0(VALU_DEP_1)
	v_add_co_ci_u32_e64 v21, s0, s23, v11, s0
	s_add_i32 s7, s7, -8
	s_add_i32 s20, s20, 16
	s_cmp_lg_u32 s7, 0
	s_waitcnt vmcnt(1)
	global_store_b128 v[20:21], v[12:15], off
	s_waitcnt vmcnt(0)
	global_store_b128 v[20:21], v[16:19], off offset:16
	s_cbranch_scc1 .LBB2_29
.LBB2_30:
	s_and_b32 s0, s4, 7
	s_mov_b32 s21, 0
	s_cmp_eq_u32 s0, 0
	s_cbranch_scc1 .LBB2_33
; %bb.31:
	s_mul_i32 s4, s1, s10
	s_mul_hi_u32 s7, s5, s10
	s_mul_i32 s22, s5, s10
	s_add_i32 s23, s7, s4
	s_lshl_b64 s[24:25], s[20:21], 1
	s_lshl_b64 s[22:23], s[22:23], 1
	s_mul_i32 s21, s31, s6
	s_add_u32 s4, s2, s24
	s_addc_u32 s24, s3, s25
	s_mul_i32 s7, s21, s30
	s_mul_hi_u32 s25, s21, s11
	s_mul_hi_i32 s6, s31, s6
	s_add_i32 s7, s25, s7
	s_mul_i32 s6, s6, s11
	v_add_co_u32 v8, vcc_lo, s22, v2
	s_add_i32 s7, s7, s6
	s_mul_i32 s6, s21, s11
	v_add_co_ci_u32_e32 v9, vcc_lo, s23, v3, vcc_lo
	s_lshl_b64 s[6:7], s[6:7], 1
	s_delay_alu instid0(SALU_CYCLE_1) | instskip(SKIP_3) | instid1(SALU_CYCLE_1)
	s_add_u32 s6, s6, -2
	s_addc_u32 s7, s7, -1
	s_mul_hi_u32 s11, s16, s6
	s_mul_i32 s7, s16, s7
	s_add_i32 s7, s11, s7
	s_mul_i32 s11, s16, s6
	s_mul_i32 s6, s17, s6
	;; [unrolled: 1-line block ×3, first 2 shown]
	s_mul_hi_u32 s16, s11, s14
	s_add_i32 s6, s7, s6
	s_add_i32 s15, s16, s15
	s_mul_i32 s16, s6, s14
	s_mul_i32 s11, s11, s14
	s_lshl_b64 s[6:7], s[12:13], 1
	s_add_i32 s15, s15, s16
	s_add_u32 s11, s11, s6
	s_addc_u32 s12, s15, s7
	s_ashr_i32 s21, s20, 31
	s_delay_alu instid0(SALU_CYCLE_1) | instskip(NEXT) | instid1(SALU_CYCLE_1)
	s_lshl_b64 s[6:7], s[20:21], 1
	s_add_u32 s6, s11, s6
	s_addc_u32 s7, s12, s7
	v_add_co_u32 v6, vcc_lo, s6, v6
	v_add_co_ci_u32_e32 v7, vcc_lo, s7, v7, vcc_lo
	v_add_co_u32 v8, vcc_lo, v8, v0
	v_add_co_ci_u32_e32 v9, vcc_lo, v9, v1, vcc_lo
	s_delay_alu instid0(VALU_DEP_4) | instskip(NEXT) | instid1(VALU_DEP_4)
	v_add_co_u32 v6, vcc_lo, v6, v4
	v_add_co_ci_u32_e32 v7, vcc_lo, v7, v5, vcc_lo
	s_delay_alu instid0(VALU_DEP_4) | instskip(NEXT) | instid1(VALU_DEP_4)
	;; [unrolled: 3-line block ×3, first 2 shown]
	v_add_co_u32 v6, vcc_lo, s18, v6
	v_add_co_ci_u32_e32 v7, vcc_lo, s19, v7, vcc_lo
.LBB2_32:                               ; =>This Inner Loop Header: Depth=1
	global_load_b32 v8, v[4:5], off
	v_add_co_u32 v4, vcc_lo, v4, 4
	v_add_co_ci_u32_e32 v5, vcc_lo, 0, v5, vcc_lo
	s_add_i32 s0, s0, -1
	s_delay_alu instid0(SALU_CYCLE_1)
	s_cmp_lg_u32 s0, 0
	s_waitcnt vmcnt(0)
	global_store_b32 v[6:7], v8, off
	v_add_co_u32 v6, vcc_lo, v6, 4
	v_add_co_ci_u32_e32 v7, vcc_lo, 0, v7, vcc_lo
	s_cbranch_scc1 .LBB2_32
.LBB2_33:
	s_and_b32 s0, s9, 0x7ffffffe
	s_delay_alu instid0(SALU_CYCLE_1) | instskip(SKIP_1) | instid1(SALU_CYCLE_1)
	s_cmp_lg_u32 s0, s9
	s_cselect_b32 s4, -1, 0
	s_and_b32 vcc_lo, exec_lo, s4
	s_cbranch_vccnz .LBB2_36
	s_branch .LBB2_38
.LBB2_34:
                                        ; implicit-def: $sgpr16_sgpr17
	s_load_b64 s[24:25], s[0:1], 0x10
	s_branch .LBB2_4
.LBB2_35:
	s_mov_b32 s0, 0
	s_cbranch_execz .LBB2_38
.LBB2_36:
	s_mul_i32 s1, s1, s10
	s_mul_hi_u32 s4, s5, s10
	s_mul_i32 s6, s5, s10
	s_add_i32 s7, s4, s1
	s_sub_i32 s1, s9, s0
	s_lshl_b64 s[4:5], s[6:7], 1
	s_delay_alu instid0(SALU_CYCLE_1) | instskip(SKIP_2) | instid1(VALU_DEP_2)
	v_add_co_u32 v2, vcc_lo, s4, v2
	v_add_co_ci_u32_e32 v3, vcc_lo, s5, v3, vcc_lo
	s_lshl_b32 s4, s0, 1
	v_add_co_u32 v0, vcc_lo, v2, v0
	s_delay_alu instid0(VALU_DEP_2) | instskip(SKIP_2) | instid1(VALU_DEP_2)
	v_add_co_ci_u32_e32 v1, vcc_lo, v3, v1, vcc_lo
	s_add_u32 s2, s2, s4
	s_addc_u32 s3, s3, 0
	v_add_co_u32 v0, vcc_lo, s2, v0
	s_delay_alu instid0(VALU_DEP_2)
	v_add_co_ci_u32_e32 v1, vcc_lo, s3, v1, vcc_lo
	s_mul_i32 s2, s0, s8
	.p2align	6
.LBB2_37:                               ; =>This Inner Loop Header: Depth=1
	global_load_u16 v4, v[0:1], off
	s_ashr_i32 s3, s2, 31
	v_add_co_u32 v0, vcc_lo, v0, 2
	s_lshl_b64 s[4:5], s[2:3], 1
	v_add_co_ci_u32_e32 v1, vcc_lo, 0, v1, vcc_lo
	v_add_co_u32 v2, s0, v10, s4
	s_delay_alu instid0(VALU_DEP_1)
	v_add_co_ci_u32_e64 v3, s0, s5, v11, s0
	s_add_i32 s1, s1, -1
	s_add_i32 s2, s2, s8
	s_cmp_lg_u32 s1, 0
	s_waitcnt vmcnt(0)
	global_store_b16 v[2:3], v4, off
	s_cbranch_scc1 .LBB2_37
.LBB2_38:
	s_nop 0
	s_sendmsg sendmsg(MSG_DEALLOC_VGPRS)
	s_endpgm
	.section	.rodata,"a",@progbits
	.p2align	6, 0x0
	.amdhsa_kernel _ZN4vllm24reshape_and_cache_kernelIttLNS_18Fp8KVCacheDataTypeE0EEEvPKT_S4_PT0_S6_PKliiiiiiPKfSA_
		.amdhsa_group_segment_fixed_size 0
		.amdhsa_private_segment_fixed_size 0
		.amdhsa_kernarg_size 80
		.amdhsa_user_sgpr_count 15
		.amdhsa_user_sgpr_dispatch_ptr 0
		.amdhsa_user_sgpr_queue_ptr 0
		.amdhsa_user_sgpr_kernarg_segment_ptr 1
		.amdhsa_user_sgpr_dispatch_id 0
		.amdhsa_user_sgpr_private_segment_size 0
		.amdhsa_wavefront_size32 1
		.amdhsa_uses_dynamic_stack 0
		.amdhsa_enable_private_segment 0
		.amdhsa_system_sgpr_workgroup_id_x 1
		.amdhsa_system_sgpr_workgroup_id_y 0
		.amdhsa_system_sgpr_workgroup_id_z 0
		.amdhsa_system_sgpr_workgroup_info 0
		.amdhsa_system_vgpr_workitem_id 0
		.amdhsa_next_free_vgpr 31
		.amdhsa_next_free_sgpr 40
		.amdhsa_reserve_vcc 1
		.amdhsa_float_round_mode_32 0
		.amdhsa_float_round_mode_16_64 0
		.amdhsa_float_denorm_mode_32 3
		.amdhsa_float_denorm_mode_16_64 3
		.amdhsa_dx10_clamp 1
		.amdhsa_ieee_mode 1
		.amdhsa_fp16_overflow 0
		.amdhsa_workgroup_processor_mode 1
		.amdhsa_memory_ordered 1
		.amdhsa_forward_progress 0
		.amdhsa_shared_vgpr_count 0
		.amdhsa_exception_fp_ieee_invalid_op 0
		.amdhsa_exception_fp_denorm_src 0
		.amdhsa_exception_fp_ieee_div_zero 0
		.amdhsa_exception_fp_ieee_overflow 0
		.amdhsa_exception_fp_ieee_underflow 0
		.amdhsa_exception_fp_ieee_inexact 0
		.amdhsa_exception_int_div_zero 0
	.end_amdhsa_kernel
	.section	.text._ZN4vllm24reshape_and_cache_kernelIttLNS_18Fp8KVCacheDataTypeE0EEEvPKT_S4_PT0_S6_PKliiiiiiPKfSA_,"axG",@progbits,_ZN4vllm24reshape_and_cache_kernelIttLNS_18Fp8KVCacheDataTypeE0EEEvPKT_S4_PT0_S6_PKliiiiiiPKfSA_,comdat
.Lfunc_end2:
	.size	_ZN4vllm24reshape_and_cache_kernelIttLNS_18Fp8KVCacheDataTypeE0EEEvPKT_S4_PT0_S6_PKliiiiiiPKfSA_, .Lfunc_end2-_ZN4vllm24reshape_and_cache_kernelIttLNS_18Fp8KVCacheDataTypeE0EEEvPKT_S4_PT0_S6_PKliiiiiiPKfSA_
                                        ; -- End function
	.section	.AMDGPU.csdata,"",@progbits
; Kernel info:
; codeLenInByte = 3944
; NumSgprs: 42
; NumVgprs: 31
; ScratchSize: 0
; MemoryBound: 0
; FloatMode: 240
; IeeeMode: 1
; LDSByteSize: 0 bytes/workgroup (compile time only)
; SGPRBlocks: 5
; VGPRBlocks: 3
; NumSGPRsForWavesPerEU: 42
; NumVGPRsForWavesPerEU: 31
; Occupancy: 16
; WaveLimiterHint : 0
; COMPUTE_PGM_RSRC2:SCRATCH_EN: 0
; COMPUTE_PGM_RSRC2:USER_SGPR: 15
; COMPUTE_PGM_RSRC2:TRAP_HANDLER: 0
; COMPUTE_PGM_RSRC2:TGID_X_EN: 1
; COMPUTE_PGM_RSRC2:TGID_Y_EN: 0
; COMPUTE_PGM_RSRC2:TGID_Z_EN: 0
; COMPUTE_PGM_RSRC2:TIDIG_COMP_CNT: 0
	.section	.text._ZN4vllm24reshape_and_cache_kernelI14__hip_bfloat16S1_LNS_18Fp8KVCacheDataTypeE0EEEvPKT_S5_PT0_S7_PKliiiiiiPKfSB_,"axG",@progbits,_ZN4vllm24reshape_and_cache_kernelI14__hip_bfloat16S1_LNS_18Fp8KVCacheDataTypeE0EEEvPKT_S5_PT0_S7_PKliiiiiiPKfSB_,comdat
	.protected	_ZN4vllm24reshape_and_cache_kernelI14__hip_bfloat16S1_LNS_18Fp8KVCacheDataTypeE0EEEvPKT_S5_PT0_S7_PKliiiiiiPKfSB_ ; -- Begin function _ZN4vllm24reshape_and_cache_kernelI14__hip_bfloat16S1_LNS_18Fp8KVCacheDataTypeE0EEEvPKT_S5_PT0_S7_PKliiiiiiPKfSB_
	.globl	_ZN4vllm24reshape_and_cache_kernelI14__hip_bfloat16S1_LNS_18Fp8KVCacheDataTypeE0EEEvPKT_S5_PT0_S7_PKliiiiiiPKfSB_
	.p2align	8
	.type	_ZN4vllm24reshape_and_cache_kernelI14__hip_bfloat16S1_LNS_18Fp8KVCacheDataTypeE0EEEvPKT_S5_PT0_S7_PKliiiiiiPKfSB_,@function
_ZN4vllm24reshape_and_cache_kernelI14__hip_bfloat16S1_LNS_18Fp8KVCacheDataTypeE0EEEvPKT_S5_PT0_S7_PKliiiiiiPKfSB_: ; @_ZN4vllm24reshape_and_cache_kernelI14__hip_bfloat16S1_LNS_18Fp8KVCacheDataTypeE0EEEvPKT_S5_PT0_S7_PKliiiiiiPKfSB_
; %bb.0:
	s_load_b64 s[2:3], s[0:1], 0x20
	s_mov_b32 s10, s15
	s_mov_b32 s11, 0
	s_delay_alu instid0(SALU_CYCLE_1)
	s_lshl_b64 s[4:5], s[10:11], 3
	s_waitcnt lgkmcnt(0)
	s_add_u32 s2, s2, s4
	s_addc_u32 s3, s3, s5
	s_load_b64 s[12:13], s[2:3], 0x0
	s_waitcnt lgkmcnt(0)
	v_cmp_lt_i64_e64 s2, s[12:13], 0
	s_delay_alu instid0(VALU_DEP_1)
	s_and_b32 vcc_lo, exec_lo, s2
	s_cbranch_vccnz .LBB3_38
; %bb.1:
	s_clause 0x1
	s_load_b64 s[8:9], s[0:1], 0x38
	s_load_b128 s[4:7], s[0:1], 0x28
	s_waitcnt lgkmcnt(0)
	s_abs_i32 s2, s9
	s_abs_i32 s14, s7
	v_cvt_f32_u32_e32 v1, s2
	s_sub_i32 s11, 0, s2
	s_delay_alu instid0(VALU_DEP_1) | instskip(SKIP_2) | instid1(VALU_DEP_1)
	v_rcp_iflag_f32_e32 v1, v1
	s_waitcnt_depctr 0xfff
	v_mul_f32_e32 v1, 0x4f7ffffe, v1
	v_cvt_u32_f32_e32 v1, v1
	s_delay_alu instid0(VALU_DEP_1) | instskip(NEXT) | instid1(VALU_DEP_1)
	v_readfirstlane_b32 s3, v1
	s_mul_i32 s11, s11, s3
	s_delay_alu instid0(SALU_CYCLE_1) | instskip(NEXT) | instid1(SALU_CYCLE_1)
	s_mul_hi_u32 s11, s3, s11
	s_add_i32 s3, s3, s11
	s_xor_b32 s11, s7, s9
	s_mul_hi_u32 s3, s14, s3
	s_ashr_i32 s11, s11, 31
	s_mul_i32 s15, s3, s2
	s_delay_alu instid0(SALU_CYCLE_1)
	s_sub_i32 s14, s14, s15
	s_add_i32 s15, s3, 1
	s_sub_i32 s16, s14, s2
	s_cmp_ge_u32 s14, s2
	s_cselect_b32 s3, s15, s3
	s_cselect_b32 s14, s16, s14
	s_add_i32 s15, s3, 1
	s_cmp_ge_u32 s14, s2
	s_cselect_b32 s2, s15, s3
	s_delay_alu instid0(SALU_CYCLE_1) | instskip(NEXT) | instid1(SALU_CYCLE_1)
	s_xor_b32 s2, s2, s11
	s_sub_i32 s11, s2, s11
	s_mov_b32 s2, exec_lo
	s_mul_i32 s18, s11, s6
	s_delay_alu instid0(SALU_CYCLE_1)
	v_cmpx_gt_i32_e64 s18, v0
	s_cbranch_execz .LBB3_38
; %bb.2:
	s_load_b64 s[20:21], s[0:1], 0x0
	s_ashr_i32 s15, s8, 31
	s_mov_b32 s14, s8
	s_delay_alu instid0(SALU_CYCLE_1) | instskip(SKIP_1) | instid1(SALU_CYCLE_1)
	s_or_b64 s[2:3], s[12:13], s[14:15]
	s_mov_b32 s2, 0
	s_cmp_lg_u64 s[2:3], 0
	s_cbranch_scc0 .LBB3_34
; %bb.3:
	s_add_u32 s22, s14, s15
	s_mov_b32 s16, s15
	s_mov_b32 s17, s15
	s_addc_u32 s23, s15, s15
	s_delay_alu instid0(SALU_CYCLE_1) | instskip(NEXT) | instid1(SALU_CYCLE_1)
	s_xor_b64 s[22:23], s[22:23], s[16:17]
	v_cvt_f32_u32_e32 v1, s22
	v_cvt_f32_u32_e32 v2, s23
	s_sub_u32 s24, 0, s22
	s_subb_u32 s25, 0, s23
	s_delay_alu instid0(VALU_DEP_1) | instskip(NEXT) | instid1(VALU_DEP_1)
	v_fmamk_f32 v1, v2, 0x4f800000, v1
	v_rcp_f32_e32 v1, v1
	s_waitcnt_depctr 0xfff
	v_mul_f32_e32 v1, 0x5f7ffffc, v1
	s_delay_alu instid0(VALU_DEP_1) | instskip(NEXT) | instid1(VALU_DEP_1)
	v_mul_f32_e32 v2, 0x2f800000, v1
	v_trunc_f32_e32 v2, v2
	s_delay_alu instid0(VALU_DEP_1) | instskip(SKIP_1) | instid1(VALU_DEP_2)
	v_fmamk_f32 v1, v2, 0xcf800000, v1
	v_cvt_u32_f32_e32 v2, v2
	v_cvt_u32_f32_e32 v1, v1
	s_delay_alu instid0(VALU_DEP_2) | instskip(NEXT) | instid1(VALU_DEP_2)
	v_readfirstlane_b32 s3, v2
	v_readfirstlane_b32 s19, v1
	s_delay_alu instid0(VALU_DEP_2) | instskip(NEXT) | instid1(VALU_DEP_1)
	s_mul_i32 s26, s24, s3
	s_mul_hi_u32 s28, s24, s19
	s_mul_i32 s27, s25, s19
	s_add_i32 s26, s28, s26
	s_mul_i32 s29, s24, s19
	s_add_i32 s26, s26, s27
	s_mul_hi_u32 s28, s19, s29
	s_mul_hi_u32 s30, s3, s29
	s_mul_i32 s27, s3, s29
	s_mul_hi_u32 s29, s19, s26
	s_mul_i32 s19, s19, s26
	s_mul_hi_u32 s31, s3, s26
	s_add_u32 s19, s28, s19
	s_addc_u32 s28, 0, s29
	s_add_u32 s19, s19, s27
	s_mul_i32 s26, s3, s26
	s_addc_u32 s19, s28, s30
	s_addc_u32 s27, s31, 0
	s_add_u32 s19, s19, s26
	s_addc_u32 s26, 0, s27
	v_add_co_u32 v1, s19, v1, s19
	s_delay_alu instid0(VALU_DEP_1) | instskip(SKIP_1) | instid1(VALU_DEP_1)
	s_cmp_lg_u32 s19, 0
	s_addc_u32 s3, s3, s26
	v_readfirstlane_b32 s19, v1
	s_mul_i32 s26, s24, s3
	s_delay_alu instid0(VALU_DEP_1)
	s_mul_hi_u32 s27, s24, s19
	s_mul_i32 s25, s25, s19
	s_add_i32 s26, s27, s26
	s_mul_i32 s24, s24, s19
	s_add_i32 s26, s26, s25
	s_mul_hi_u32 s27, s3, s24
	s_mul_i32 s28, s3, s24
	s_mul_hi_u32 s24, s19, s24
	s_mul_hi_u32 s29, s19, s26
	s_mul_i32 s19, s19, s26
	s_mul_hi_u32 s25, s3, s26
	s_add_u32 s19, s24, s19
	s_addc_u32 s24, 0, s29
	s_add_u32 s19, s19, s28
	s_mul_i32 s26, s3, s26
	s_addc_u32 s19, s24, s27
	s_addc_u32 s24, s25, 0
	s_add_u32 s19, s19, s26
	s_addc_u32 s24, 0, s24
	v_add_co_u32 v1, s19, v1, s19
	s_delay_alu instid0(VALU_DEP_1) | instskip(SKIP_2) | instid1(VALU_DEP_1)
	s_cmp_lg_u32 s19, 0
	s_addc_u32 s3, s3, s24
	s_ashr_i32 s24, s13, 31
	v_readfirstlane_b32 s19, v1
	s_add_u32 s26, s12, s24
	s_mov_b32 s25, s24
	s_addc_u32 s27, s13, s24
	s_delay_alu instid0(SALU_CYCLE_1) | instskip(NEXT) | instid1(SALU_CYCLE_1)
	s_xor_b64 s[26:27], s[26:27], s[24:25]
	s_mul_i32 s29, s26, s3
	s_mul_hi_u32 s30, s26, s19
	s_mul_hi_u32 s28, s26, s3
	;; [unrolled: 1-line block ×3, first 2 shown]
	s_mul_i32 s19, s27, s19
	s_add_u32 s29, s30, s29
	s_addc_u32 s28, 0, s28
	s_mul_hi_u32 s31, s27, s3
	s_add_u32 s19, s29, s19
	s_mul_i32 s3, s27, s3
	s_addc_u32 s19, s28, s33
	s_addc_u32 s28, s31, 0
	s_add_u32 s3, s19, s3
	s_addc_u32 s19, 0, s28
	s_mul_i32 s31, s22, s3
	s_mul_hi_u32 s28, s22, s3
	s_mul_i32 s30, s22, s19
	v_sub_co_u32 v1, s26, s26, s31
	s_mul_i32 s29, s23, s3
	s_add_i32 s28, s28, s30
	s_delay_alu instid0(SALU_CYCLE_1) | instskip(NEXT) | instid1(VALU_DEP_1)
	s_add_i32 s28, s28, s29
	v_sub_co_u32 v2, s30, v1, s22
	s_sub_i32 s29, s27, s28
	s_cmp_lg_u32 s26, 0
	s_subb_u32 s29, s29, s23
	s_cmp_lg_u32 s30, 0
	v_readfirstlane_b32 s30, v2
	s_subb_u32 s29, s29, 0
	s_delay_alu instid0(SALU_CYCLE_1) | instskip(SKIP_1) | instid1(VALU_DEP_1)
	s_cmp_ge_u32 s29, s23
	s_cselect_b32 s31, -1, 0
	s_cmp_ge_u32 s30, s22
	s_cselect_b32 s30, -1, 0
	s_cmp_eq_u32 s29, s23
	s_cselect_b32 s29, s30, s31
	s_add_u32 s30, s3, 1
	s_addc_u32 s31, s19, 0
	s_add_u32 s33, s3, 2
	s_addc_u32 s34, s19, 0
	s_cmp_lg_u32 s29, 0
	s_cselect_b32 s29, s33, s30
	s_cselect_b32 s30, s34, s31
	s_cmp_lg_u32 s26, 0
	v_readfirstlane_b32 s26, v1
	s_subb_u32 s27, s27, s28
	s_delay_alu instid0(SALU_CYCLE_1) | instskip(SKIP_1) | instid1(VALU_DEP_1)
	s_cmp_ge_u32 s27, s23
	s_cselect_b32 s28, -1, 0
	s_cmp_ge_u32 s26, s22
	s_cselect_b32 s22, -1, 0
	s_cmp_eq_u32 s27, s23
	s_cselect_b32 s22, s22, s28
	s_delay_alu instid0(SALU_CYCLE_1) | instskip(SKIP_3) | instid1(SALU_CYCLE_1)
	s_cmp_lg_u32 s22, 0
	s_cselect_b32 s23, s30, s19
	s_cselect_b32 s22, s29, s3
	s_xor_b64 s[16:17], s[24:25], s[16:17]
	s_xor_b64 s[22:23], s[22:23], s[16:17]
	s_delay_alu instid0(SALU_CYCLE_1)
	s_sub_u32 s16, s22, s16
	s_subb_u32 s17, s23, s17
	s_load_b64 s[24:25], s[0:1], 0x10
	s_and_not1_b32 vcc_lo, exec_lo, s2
	s_cbranch_vccnz .LBB3_5
.LBB3_4:
	v_cvt_f32_u32_e32 v1, s14
	s_sub_i32 s3, 0, s14
	s_delay_alu instid0(VALU_DEP_1) | instskip(SKIP_2) | instid1(VALU_DEP_1)
	v_rcp_iflag_f32_e32 v1, v1
	s_waitcnt_depctr 0xfff
	v_mul_f32_e32 v1, 0x4f7ffffe, v1
	v_cvt_u32_f32_e32 v1, v1
	s_delay_alu instid0(VALU_DEP_1) | instskip(NEXT) | instid1(VALU_DEP_1)
	v_readfirstlane_b32 s2, v1
	s_mul_i32 s3, s3, s2
	s_delay_alu instid0(SALU_CYCLE_1) | instskip(NEXT) | instid1(SALU_CYCLE_1)
	s_mul_hi_u32 s3, s2, s3
	s_add_i32 s2, s2, s3
	s_delay_alu instid0(SALU_CYCLE_1) | instskip(NEXT) | instid1(SALU_CYCLE_1)
	s_mul_hi_u32 s2, s12, s2
	s_mul_i32 s3, s2, s14
	s_add_i32 s16, s2, 1
	s_sub_i32 s3, s12, s3
	s_delay_alu instid0(SALU_CYCLE_1)
	s_sub_i32 s17, s3, s14
	s_cmp_ge_u32 s3, s14
	s_cselect_b32 s2, s16, s2
	s_cselect_b32 s3, s17, s3
	s_add_i32 s16, s2, 1
	s_cmp_ge_u32 s3, s14
	s_mov_b32 s17, 0
	s_cselect_b32 s16, s16, s2
.LBB3_5:
	s_delay_alu instid0(SALU_CYCLE_1)
	s_mul_i32 s2, s16, s15
	s_mul_hi_u32 s3, s16, s14
	s_mul_i32 s19, s16, s14
	s_add_i32 s2, s3, s2
	s_mul_i32 s3, s17, s14
	s_mul_i32 s33, s18, s16
	s_add_i32 s2, s2, s3
	s_sub_u32 s22, s12, s19
	s_subb_u32 s23, s13, s2
	s_abs_i32 s2, s11
	s_ashr_i32 s30, s11, 31
	v_cvt_f32_u32_e32 v1, s2
	s_sub_i32 s3, 0, s2
	s_mul_hi_i32 s28, s9, s14
	s_mul_hi_i32 s19, s11, s6
	s_mul_i32 s26, s18, s17
	v_rcp_iflag_f32_e32 v1, v1
	s_mul_hi_u32 s27, s18, s16
	s_mul_i32 s35, s19, s16
	s_mul_i32 s34, s9, s14
	v_mov_b32_e32 v11, 0
	s_mul_hi_u32 s36, s34, s33
	s_mov_b32 s31, s9
	s_waitcnt_depctr 0xfff
	v_mul_f32_e32 v1, 0x4f7ffffe, v1
	s_delay_alu instid0(VALU_DEP_1) | instskip(NEXT) | instid1(VALU_DEP_1)
	v_cvt_u32_f32_e32 v1, v1
	v_mul_lo_u32 v2, s3, v1
	s_mul_hi_u32 s3, s4, s10
	s_delay_alu instid0(VALU_DEP_1) | instskip(NEXT) | instid1(VALU_DEP_1)
	v_mul_hi_u32 v2, v1, v2
	v_add_nc_u32_e32 v1, v1, v2
	s_delay_alu instid0(VALU_DEP_1) | instskip(NEXT) | instid1(VALU_DEP_1)
	v_mul_hi_u32 v1, v0, v1
	v_mul_lo_u32 v2, v1, s2
	v_add_nc_u32_e32 v3, 1, v1
	s_delay_alu instid0(VALU_DEP_2) | instskip(NEXT) | instid1(VALU_DEP_1)
	v_sub_nc_u32_e32 v2, v0, v2
	v_subrev_nc_u32_e32 v4, s2, v2
	v_cmp_le_u32_e32 vcc_lo, s2, v2
	s_delay_alu instid0(VALU_DEP_2) | instskip(NEXT) | instid1(VALU_DEP_1)
	v_dual_cndmask_b32 v2, v2, v4 :: v_dual_cndmask_b32 v1, v1, v3
	v_cmp_le_u32_e32 vcc_lo, s2, v2
	s_delay_alu instid0(VALU_DEP_2) | instskip(SKIP_2) | instid1(SALU_CYCLE_1)
	v_add_nc_u32_e32 v3, 1, v1
	s_mul_i32 s2, s4, s10
	s_ashr_i32 s4, s4, 31
	s_mul_i32 s4, s4, s10
	s_delay_alu instid0(VALU_DEP_1) | instskip(SKIP_3) | instid1(VALU_DEP_1)
	v_cndmask_b32_e32 v1, v1, v3, vcc_lo
	s_add_i32 s3, s3, s4
	s_mul_i32 s4, s28, s33
	s_lshl_b64 s[28:29], s[2:3], 1
	v_xor_b32_e32 v1, s30, v1
	s_waitcnt lgkmcnt(0)
	s_add_u32 s2, s20, s28
	s_addc_u32 s3, s21, s29
	s_add_i32 s26, s27, s26
	v_subrev_nc_u32_e32 v1, s30, v1
	s_add_i32 s26, s26, s35
	s_delay_alu instid0(VALU_DEP_1) | instskip(NEXT) | instid1(VALU_DEP_1)
	v_mul_lo_u32 v6, v1, s11
	v_sub_nc_u32_e32 v17, v0, v6
	v_mul_lo_u32 v0, v1, s7
	s_mul_i32 s7, s9, s8
	s_delay_alu instid0(SALU_CYCLE_1) | instskip(NEXT) | instid1(VALU_DEP_3)
	v_mul_lo_u32 v6, s7, v6
	v_mul_lo_u32 v4, v17, s9
	s_delay_alu instid0(VALU_DEP_3) | instskip(NEXT) | instid1(VALU_DEP_2)
	v_ashrrev_i32_e32 v1, 31, v0
	v_ashrrev_i32_e32 v5, 31, v4
	s_delay_alu instid0(VALU_DEP_2) | instskip(NEXT) | instid1(VALU_DEP_2)
	v_lshlrev_b64 v[0:1], 1, v[0:1]
	v_lshlrev_b64 v[2:3], 1, v[4:5]
	v_mul_lo_u32 v4, v4, s8
	s_delay_alu instid0(VALU_DEP_3) | instskip(NEXT) | instid1(VALU_DEP_4)
	v_add_co_u32 v5, vcc_lo, s2, v0
	v_add_co_ci_u32_e32 v7, vcc_lo, s3, v1, vcc_lo
	s_mul_i32 s2, s34, s26
	s_delay_alu instid0(VALU_DEP_2) | instskip(SKIP_1) | instid1(VALU_DEP_2)
	v_add_co_u32 v8, vcc_lo, v5, v2
	s_add_i32 s2, s36, s2
	v_add_co_ci_u32_e32 v9, vcc_lo, v7, v3, vcc_lo
	s_delay_alu instid0(VALU_DEP_2)
	v_and_b32_e32 v10, 15, v8
	s_add_i32 s27, s2, s4
	s_and_b32 s2, s9, 7
	s_ashr_i32 s3, s9, 31
	s_cmp_lg_u32 s2, 0
	v_cmp_ne_u64_e32 vcc_lo, 0, v[10:11]
	v_ashrrev_i32_e32 v7, 31, v6
	v_ashrrev_i32_e32 v5, 31, v4
	s_cselect_b32 s2, -1, 0
	s_mul_i32 s26, s34, s33
	s_or_b32 s2, s2, vcc_lo
	s_delay_alu instid0(SALU_CYCLE_1) | instskip(NEXT) | instid1(SALU_CYCLE_1)
	s_and_saveexec_b32 s4, s2
	s_xor_b32 s4, exec_lo, s4
	s_cbranch_execz .LBB3_21
; %bb.6:
	v_sub_nc_u32_e32 v10, 0, v8
	s_mov_b32 s33, exec_lo
	s_delay_alu instid0(VALU_DEP_1) | instskip(NEXT) | instid1(VALU_DEP_1)
	v_bfe_u32 v10, v10, 1, 3
	v_min_i32_e32 v10, s9, v10
	s_delay_alu instid0(VALU_DEP_1)
	v_cmpx_lt_i32_e32 0, v10
	s_cbranch_execz .LBB3_9
; %bb.7:
	s_lshl_b64 s[34:35], s[18:19], 1
	v_lshlrev_b64 v[11:12], 1, v[6:7]
	s_add_u32 s2, s34, -2
	s_addc_u32 s34, s35, -1
	s_mul_hi_u32 s35, s16, s2
	s_mul_i32 s34, s16, s34
	s_mul_i32 s36, s17, s2
	;; [unrolled: 1-line block ×3, first 2 shown]
	s_add_i32 s34, s35, s34
	s_mul_i32 s35, s2, s15
	s_mul_hi_u32 s37, s2, s14
	s_add_i32 s34, s34, s36
	s_add_i32 s36, s37, s35
	s_mul_i32 s37, s34, s14
	s_mul_i32 s2, s2, s14
	s_lshl_b64 s[34:35], s[12:13], 1
	s_add_i32 s36, s36, s37
	s_add_u32 s2, s2, s34
	s_addc_u32 s34, s36, s35
	v_mad_u64_u32 v[13:14], null, s2, s31, v[11:12]
	v_lshlrev_b64 v[11:12], 1, v[4:5]
	s_mul_i32 s2, s2, s3
	s_mul_i32 s34, s34, s31
	v_mov_b32_e32 v15, v10
	s_delay_alu instid0(VALU_DEP_3) | instskip(NEXT) | instid1(VALU_DEP_3)
	v_add3_u32 v14, s2, s34, v14
	v_add_co_u32 v11, vcc_lo, v13, v11
	s_mov_b32 s34, 0
	s_delay_alu instid0(VALU_DEP_2) | instskip(SKIP_1) | instid1(VALU_DEP_3)
	v_add_co_ci_u32_e32 v12, vcc_lo, v14, v12, vcc_lo
	v_mov_b32_e32 v14, v9
	v_add_co_u32 v11, vcc_lo, s24, v11
	s_delay_alu instid0(VALU_DEP_3)
	v_add_co_ci_u32_e32 v12, vcc_lo, s25, v12, vcc_lo
	v_mov_b32_e32 v13, v8
.LBB3_8:                                ; =>This Inner Loop Header: Depth=1
	global_load_u16 v16, v[13:14], off
	v_add_nc_u32_e32 v15, -1, v15
	v_add_co_u32 v13, vcc_lo, v13, 2
	v_add_co_ci_u32_e32 v14, vcc_lo, 0, v14, vcc_lo
	s_delay_alu instid0(VALU_DEP_3) | instskip(SKIP_4) | instid1(VALU_DEP_1)
	v_cmp_eq_u32_e32 vcc_lo, 0, v15
	s_or_b32 s34, vcc_lo, s34
	s_waitcnt vmcnt(0)
	global_store_b16 v[11:12], v16, off
	v_add_co_u32 v11, s2, v11, 2
	v_add_co_ci_u32_e64 v12, s2, 0, v12, s2
	s_and_not1_b32 exec_lo, exec_lo, s34
	s_cbranch_execnz .LBB3_8
.LBB3_9:
	s_or_b32 exec_lo, exec_lo, s33
	v_sub_nc_u32_e32 v16, s9, v10
	s_mov_b32 s33, exec_lo
	s_delay_alu instid0(VALU_DEP_1) | instskip(NEXT) | instid1(VALU_DEP_1)
	v_ashrrev_i32_e32 v11, 31, v16
	v_lshrrev_b32_e32 v11, 29, v11
	s_delay_alu instid0(VALU_DEP_1) | instskip(SKIP_1) | instid1(VALU_DEP_2)
	v_add_nc_u32_e32 v12, v16, v11
	v_ashrrev_i32_e32 v11, 31, v10
	v_ashrrev_i32_e32 v18, 3, v12
	v_cmpx_lt_i32_e32 7, v16
	s_cbranch_execz .LBB3_12
; %bb.10:
	s_lshl_b64 s[34:35], s[18:19], 1
	v_lshlrev_b64 v[12:13], 1, v[6:7]
	s_add_u32 s2, s34, -2
	s_addc_u32 s34, s35, -1
	s_mul_hi_u32 s35, s16, s2
	s_mul_i32 s34, s16, s34
	s_mul_i32 s36, s17, s2
	s_mul_i32 s2, s16, s2
	s_add_i32 s34, s35, s34
	s_mul_i32 s35, s2, s15
	s_mul_hi_u32 s37, s2, s14
	s_add_i32 s34, s34, s36
	s_add_i32 s36, s37, s35
	s_mul_i32 s37, s34, s14
	s_mul_i32 s2, s2, s14
	s_lshl_b64 s[34:35], s[12:13], 1
	s_add_i32 s36, s36, s37
	s_add_u32 s2, s2, s34
	s_addc_u32 s34, s36, s35
	v_mad_u64_u32 v[14:15], null, s2, s31, v[12:13]
	v_lshlrev_b64 v[19:20], 1, v[4:5]
	s_mul_i32 s2, s2, s3
	s_mul_i32 s34, s34, s31
	v_lshlrev_b64 v[12:13], 1, v[10:11]
	v_mov_b32_e32 v21, v18
	s_delay_alu instid0(VALU_DEP_4) | instskip(SKIP_2) | instid1(VALU_DEP_2)
	v_add3_u32 v15, s2, s34, v15
	v_add_co_u32 v19, vcc_lo, v14, v19
	s_mov_b32 s34, 0
	v_add_co_ci_u32_e32 v20, vcc_lo, v15, v20, vcc_lo
	s_delay_alu instid0(VALU_DEP_2) | instskip(SKIP_1) | instid1(VALU_DEP_3)
	v_add_co_u32 v19, vcc_lo, s24, v19
	v_dual_mov_b32 v15, v9 :: v_dual_mov_b32 v14, v8
	v_add_co_ci_u32_e32 v20, vcc_lo, s25, v20, vcc_lo
	.p2align	6
.LBB3_11:                               ; =>This Inner Loop Header: Depth=1
	s_delay_alu instid0(VALU_DEP_2) | instskip(NEXT) | instid1(VALU_DEP_3)
	v_add_co_u32 v22, vcc_lo, v14, v12
	v_add_co_ci_u32_e32 v23, vcc_lo, v15, v13, vcc_lo
	v_add_co_u32 v26, vcc_lo, v19, v12
	v_add_nc_u32_e32 v21, -1, v21
	global_load_b128 v[22:25], v[22:23], off
	v_add_co_ci_u32_e32 v27, vcc_lo, v20, v13, vcc_lo
	v_add_co_u32 v19, vcc_lo, v19, 16
	v_add_co_ci_u32_e32 v20, vcc_lo, 0, v20, vcc_lo
	v_cmp_eq_u32_e32 vcc_lo, 0, v21
	v_add_co_u32 v14, s2, v14, 16
	s_delay_alu instid0(VALU_DEP_1)
	v_add_co_ci_u32_e64 v15, s2, 0, v15, s2
	s_or_b32 s34, vcc_lo, s34
	s_waitcnt vmcnt(0)
	global_store_b128 v[26:27], v[22:25], off
	s_and_not1_b32 exec_lo, exec_lo, s34
	s_cbranch_execnz .LBB3_11
.LBB3_12:
	s_or_b32 exec_lo, exec_lo, s33
	s_delay_alu instid0(VALU_DEP_2) | instskip(SKIP_1) | instid1(VALU_DEP_1)
	v_lshlrev_b32_e32 v12, 3, v18
	s_mov_b32 s33, exec_lo
	v_cmpx_lt_i32_e64 v12, v16
	s_cbranch_execz .LBB3_20
; %bb.13:
	v_add_nc_u32_e32 v13, v10, v12
	s_mov_b32 s2, -1
	s_mov_b32 s34, exec_lo
	s_delay_alu instid0(VALU_DEP_1) | instskip(NEXT) | instid1(VALU_DEP_1)
	v_sub_nc_u32_e32 v13, s9, v13
	v_cmpx_lt_u32_e32 15, v13
	s_cbranch_execz .LBB3_17
; %bb.14:
	v_mul_lo_u32 v14, s7, v17
	v_lshlrev_b64 v[17:18], 1, v[6:7]
	s_lshl_b64 s[36:37], s[26:27], 1
	s_mul_i32 s2, s22, s3
	s_add_u32 s36, s24, s36
	s_addc_u32 s37, s25, s37
	s_mul_hi_u32 s7, s22, s31
	v_add_co_u32 v17, vcc_lo, s36, v17
	v_ashrrev_i32_e32 v15, 31, v14
	v_add_co_ci_u32_e32 v18, vcc_lo, s37, v18, vcc_lo
	s_mul_i32 s35, s23, s31
	s_add_i32 s2, s7, s2
	s_delay_alu instid0(VALU_DEP_2)
	v_lshlrev_b64 v[14:15], 1, v[14:15]
	s_mul_i32 s38, s22, s31
	s_add_i32 s39, s2, s35
	v_lshlrev_b64 v[19:20], 1, v[10:11]
	s_lshl_b64 s[36:37], s[38:39], 1
	s_mov_b32 s7, 0
	v_add_co_u32 v14, vcc_lo, v17, v14
	v_add_co_ci_u32_e32 v15, vcc_lo, v18, v15, vcc_lo
	s_delay_alu instid0(VALU_DEP_2) | instskip(NEXT) | instid1(VALU_DEP_2)
	v_add_co_u32 v18, vcc_lo, v14, s36
	v_add_co_ci_u32_e32 v21, vcc_lo, s37, v15, vcc_lo
	v_add_co_u32 v15, vcc_lo, v8, v19
	v_and_b32_e32 v14, -16, v13
	v_add_co_ci_u32_e32 v17, vcc_lo, v9, v20, vcc_lo
	v_add_co_u32 v18, vcc_lo, v18, v19
	v_add_co_ci_u32_e32 v19, vcc_lo, v21, v20, vcc_lo
	v_mov_b32_e32 v8, v12
	v_mov_b32_e32 v20, v14
	.p2align	6
.LBB3_15:                               ; =>This Inner Loop Header: Depth=1
	s_delay_alu instid0(VALU_DEP_2) | instskip(NEXT) | instid1(VALU_DEP_2)
	v_ashrrev_i32_e32 v9, 31, v8
	v_add_nc_u32_e32 v20, -16, v20
	s_delay_alu instid0(VALU_DEP_2) | instskip(SKIP_1) | instid1(VALU_DEP_2)
	v_lshlrev_b64 v[29:30], 1, v[8:9]
	v_add_nc_u32_e32 v8, 16, v8
	v_add_co_u32 v25, vcc_lo, v15, v29
	s_delay_alu instid0(VALU_DEP_3)
	v_add_co_ci_u32_e32 v26, vcc_lo, v17, v30, vcc_lo
	v_cmp_eq_u32_e32 vcc_lo, 0, v20
	v_add_co_u32 v29, s2, v18, v29
	s_clause 0x1
	global_load_b128 v[21:24], v[25:26], off
	global_load_b128 v[25:28], v[25:26], off offset:16
	v_add_co_ci_u32_e64 v30, s2, v19, v30, s2
	s_or_b32 s7, vcc_lo, s7
	s_waitcnt vmcnt(1)
	global_store_b32 v[29:30], v21, off
	s_waitcnt vmcnt(0)
	s_clause 0x1
	global_store_b128 v[29:30], v[22:25], off offset:4
	global_store_b96 v[29:30], v[26:28], off offset:20
	s_and_not1_b32 exec_lo, exec_lo, s7
	s_cbranch_execnz .LBB3_15
; %bb.16:
	s_or_b32 exec_lo, exec_lo, s7
	v_cmp_ne_u32_e32 vcc_lo, v13, v14
	v_add_nc_u32_e32 v12, v12, v14
	s_or_not1_b32 s2, vcc_lo, exec_lo
.LBB3_17:
	s_or_b32 exec_lo, exec_lo, s34
	s_delay_alu instid0(SALU_CYCLE_1)
	s_and_b32 exec_lo, exec_lo, s2
	s_cbranch_execz .LBB3_20
; %bb.18:
	s_lshl_b64 s[34:35], s[18:19], 1
	v_lshlrev_b64 v[8:9], 1, v[10:11]
	s_add_u32 s2, s34, -2
	s_addc_u32 s7, s35, -1
	s_mul_hi_u32 s34, s16, s2
	s_mul_i32 s7, s16, s7
	v_ashrrev_i32_e32 v13, 31, v12
	s_add_i32 s7, s34, s7
	s_mul_i32 s34, s16, s2
	s_mul_i32 s2, s17, s2
	;; [unrolled: 1-line block ×3, first 2 shown]
	s_mul_hi_u32 s36, s34, s14
	s_add_i32 s2, s7, s2
	s_add_i32 s7, s36, s35
	s_mul_i32 s2, s2, s14
	s_mul_i32 s36, s34, s14
	s_lshl_b64 s[34:35], s[12:13], 1
	s_add_i32 s7, s7, s2
	s_add_u32 s2, s36, s34
	v_lshlrev_b64 v[13:14], 1, v[12:13]
	v_mad_u64_u32 v[10:11], null, s2, s31, v[8:9]
	v_add_co_u32 v8, vcc_lo, s28, v8
	s_addc_u32 s7, s7, s35
	v_add_co_ci_u32_e32 v9, vcc_lo, s29, v9, vcc_lo
	s_mul_i32 s7, s7, s31
	s_mul_i32 s2, s2, s3
	v_add_co_u32 v15, vcc_lo, v8, v13
	s_delay_alu instid0(VALU_DEP_4) | instskip(SKIP_3) | instid1(VALU_DEP_4)
	v_add3_u32 v11, s2, s7, v11
	v_add_co_ci_u32_e32 v17, vcc_lo, v9, v14, vcc_lo
	v_add_co_u32 v10, vcc_lo, v10, v13
	v_lshlrev_b64 v[8:9], 1, v[6:7]
	v_add_co_ci_u32_e32 v11, vcc_lo, v11, v14, vcc_lo
	v_add_co_u32 v13, vcc_lo, v15, v2
	v_add_co_ci_u32_e32 v14, vcc_lo, v17, v3, vcc_lo
	s_delay_alu instid0(VALU_DEP_4) | instskip(NEXT) | instid1(VALU_DEP_4)
	v_add_co_u32 v10, vcc_lo, v10, v8
	v_add_co_ci_u32_e32 v11, vcc_lo, v11, v9, vcc_lo
	v_lshlrev_b64 v[8:9], 1, v[4:5]
	v_add_co_u32 v13, vcc_lo, v13, v0
	v_add_co_ci_u32_e32 v14, vcc_lo, v14, v1, vcc_lo
	s_mov_b32 s7, 0
	s_delay_alu instid0(VALU_DEP_3) | instskip(NEXT) | instid1(VALU_DEP_4)
	v_add_co_u32 v10, vcc_lo, v10, v8
	v_add_co_ci_u32_e32 v11, vcc_lo, v11, v9, vcc_lo
	v_add_co_u32 v8, vcc_lo, s20, v13
	v_add_co_ci_u32_e32 v9, vcc_lo, s21, v14, vcc_lo
	s_delay_alu instid0(VALU_DEP_4) | instskip(NEXT) | instid1(VALU_DEP_4)
	v_add_co_u32 v10, vcc_lo, s24, v10
	v_add_co_ci_u32_e32 v11, vcc_lo, s25, v11, vcc_lo
.LBB3_19:                               ; =>This Inner Loop Header: Depth=1
	global_load_u16 v13, v[8:9], off
	v_add_nc_u32_e32 v12, 1, v12
	v_add_co_u32 v8, vcc_lo, v8, 2
	v_add_co_ci_u32_e32 v9, vcc_lo, 0, v9, vcc_lo
	s_delay_alu instid0(VALU_DEP_3) | instskip(SKIP_4) | instid1(VALU_DEP_1)
	v_cmp_ge_i32_e32 vcc_lo, v12, v16
	s_or_b32 s7, vcc_lo, s7
	s_waitcnt vmcnt(0)
	global_store_b16 v[10:11], v13, off
	v_add_co_u32 v10, s2, v10, 2
	v_add_co_ci_u32_e64 v11, s2, 0, v11, s2
	s_and_not1_b32 exec_lo, exec_lo, s7
	s_cbranch_execnz .LBB3_19
.LBB3_20:
	s_or_b32 exec_lo, exec_lo, s33
                                        ; implicit-def: $vgpr8
.LBB3_21:
	s_and_not1_saveexec_b32 s4, s4
	s_cbranch_execz .LBB3_25
; %bb.22:
	s_ashr_i32 s7, s9, 3
	s_delay_alu instid0(SALU_CYCLE_1)
	s_cmp_lt_i32 s7, 1
	s_cbranch_scc1 .LBB3_25
; %bb.23:
	s_lshl_b64 s[18:19], s[18:19], 1
	v_lshlrev_b64 v[10:11], 1, v[6:7]
	s_add_u32 s2, s18, -2
	s_addc_u32 s18, s19, -1
	s_mul_hi_u32 s19, s16, s2
	s_mul_i32 s18, s16, s18
	s_mul_i32 s20, s17, s2
	;; [unrolled: 1-line block ×3, first 2 shown]
	s_add_i32 s18, s19, s18
	s_mul_i32 s19, s2, s15
	s_mul_hi_u32 s21, s2, s14
	s_add_i32 s18, s18, s20
	s_add_i32 s20, s21, s19
	s_mul_i32 s21, s18, s14
	s_mul_i32 s2, s2, s14
	s_lshl_b64 s[18:19], s[12:13], 1
	s_add_i32 s20, s20, s21
	s_add_u32 s2, s2, s18
	s_addc_u32 s18, s20, s19
	v_mad_u64_u32 v[12:13], null, s2, s31, v[10:11]
	v_lshlrev_b64 v[10:11], 1, v[4:5]
	s_mul_i32 s18, s18, s31
	s_mul_i32 s2, s2, s3
	s_delay_alu instid0(VALU_DEP_2) | instid1(SALU_CYCLE_1)
	v_add3_u32 v13, s2, s18, v13
	s_delay_alu instid0(VALU_DEP_2) | instskip(SKIP_1) | instid1(VALU_DEP_2)
	v_add_co_u32 v10, vcc_lo, v12, v10
	s_mov_b64 s[2:3], 0
	v_add_co_ci_u32_e32 v11, vcc_lo, v13, v11, vcc_lo
	s_delay_alu instid0(VALU_DEP_2) | instskip(NEXT) | instid1(VALU_DEP_2)
	v_add_co_u32 v10, vcc_lo, s24, v10
	v_add_co_ci_u32_e32 v11, vcc_lo, s25, v11, vcc_lo
.LBB3_24:                               ; =>This Inner Loop Header: Depth=1
	v_add_co_u32 v12, vcc_lo, v8, s2
	v_add_co_ci_u32_e32 v13, vcc_lo, s3, v9, vcc_lo
	s_delay_alu instid0(VALU_DEP_4) | instskip(NEXT) | instid1(VALU_DEP_4)
	v_add_co_u32 v16, vcc_lo, v10, s2
	v_add_co_ci_u32_e32 v17, vcc_lo, s3, v11, vcc_lo
	global_load_b128 v[12:15], v[12:13], off
	s_add_i32 s7, s7, -1
	s_add_u32 s2, s2, 16
	s_addc_u32 s3, s3, 0
	s_cmp_eq_u32 s7, 0
	s_waitcnt vmcnt(0)
	global_store_b128 v[16:17], v[12:15], off
	s_cbranch_scc0 .LBB3_24
.LBB3_25:
	s_or_b32 exec_lo, exec_lo, s4
	s_cmp_lt_i32 s9, 1
	s_cbranch_scc1 .LBB3_38
; %bb.26:
	s_clause 0x1
	s_load_b64 s[18:19], s[0:1], 0x18
	s_load_b64 s[2:3], s[0:1], 0x8
	v_lshlrev_b64 v[6:7], 1, v[6:7]
	s_lshl_b64 s[0:1], s[26:27], 1
	v_lshlrev_b64 v[4:5], 1, v[4:5]
	s_waitcnt lgkmcnt(0)
	s_add_u32 s0, s18, s0
	s_addc_u32 s4, s19, s1
	v_add_co_u32 v8, vcc_lo, s0, v6
	v_add_co_ci_u32_e32 v9, vcc_lo, s4, v7, vcc_lo
	s_lshl_b64 s[20:21], s[22:23], 1
	s_delay_alu instid0(VALU_DEP_2)
	v_add_co_u32 v8, vcc_lo, v8, v4
	s_ashr_i32 s1, s5, 31
	s_cmp_eq_u32 s9, 1
	v_add_co_ci_u32_e32 v9, vcc_lo, v9, v5, vcc_lo
	s_cselect_b32 s7, -1, 0
	s_cmp_lg_u32 s8, 1
	v_add_co_u32 v10, vcc_lo, v8, s20
	s_cselect_b32 s0, -1, 0
	v_add_co_ci_u32_e32 v11, vcc_lo, s21, v9, vcc_lo
	s_or_b32 s0, s7, s0
	s_delay_alu instid0(SALU_CYCLE_1)
	s_and_b32 vcc_lo, exec_lo, s0
	s_cbranch_vccnz .LBB3_35
; %bb.27:
	s_add_i32 s0, s9, -2
	s_mov_b32 s20, 0
	s_lshr_b32 s4, s0, 1
	s_delay_alu instid0(SALU_CYCLE_1)
	s_add_i32 s4, s4, 1
	s_cmp_lt_u32 s0, 14
	s_cbranch_scc1 .LBB3_30
; %bb.28:
	s_mul_i32 s0, s1, s10
	s_mul_hi_u32 s7, s5, s10
	s_mul_i32 s20, s5, s10
	s_add_i32 s21, s7, s0
	s_and_b32 s7, s4, -8
	s_lshl_b64 s[20:21], s[20:21], 1
	s_delay_alu instid0(SALU_CYCLE_1) | instskip(SKIP_2) | instid1(VALU_DEP_2)
	v_add_co_u32 v8, vcc_lo, s20, v2
	v_add_co_ci_u32_e32 v9, vcc_lo, s21, v3, vcc_lo
	s_mov_b32 s20, 0
	v_add_co_u32 v8, vcc_lo, v8, v0
	s_delay_alu instid0(VALU_DEP_2) | instskip(NEXT) | instid1(VALU_DEP_2)
	v_add_co_ci_u32_e32 v9, vcc_lo, v9, v1, vcc_lo
	v_add_co_u32 v8, vcc_lo, v8, s2
	s_delay_alu instid0(VALU_DEP_2) | instskip(NEXT) | instid1(VALU_DEP_2)
	v_add_co_ci_u32_e32 v9, vcc_lo, s3, v9, vcc_lo
	v_add_co_u32 v8, vcc_lo, v8, 28
	s_delay_alu instid0(VALU_DEP_2)
	v_add_co_ci_u32_e32 v9, vcc_lo, 0, v9, vcc_lo
	.p2align	6
.LBB3_29:                               ; =>This Inner Loop Header: Depth=1
	s_clause 0x1
	global_load_b128 v[12:15], v[8:9], off offset:-28
	global_load_b128 v[16:19], v[8:9], off offset:-12
	s_ashr_i32 s21, s20, 31
	v_add_co_u32 v8, vcc_lo, v8, 32
	s_lshl_b64 s[22:23], s[20:21], 1
	v_add_co_ci_u32_e32 v9, vcc_lo, 0, v9, vcc_lo
	v_add_co_u32 v20, s0, v10, s22
	s_delay_alu instid0(VALU_DEP_1)
	v_add_co_ci_u32_e64 v21, s0, s23, v11, s0
	s_add_i32 s7, s7, -8
	s_add_i32 s20, s20, 16
	s_cmp_lg_u32 s7, 0
	s_waitcnt vmcnt(1)
	global_store_b128 v[20:21], v[12:15], off
	s_waitcnt vmcnt(0)
	global_store_b128 v[20:21], v[16:19], off offset:16
	s_cbranch_scc1 .LBB3_29
.LBB3_30:
	s_and_b32 s0, s4, 7
	s_mov_b32 s21, 0
	s_cmp_eq_u32 s0, 0
	s_cbranch_scc1 .LBB3_33
; %bb.31:
	s_mul_i32 s4, s1, s10
	s_mul_hi_u32 s7, s5, s10
	s_mul_i32 s22, s5, s10
	s_add_i32 s23, s7, s4
	s_lshl_b64 s[24:25], s[20:21], 1
	s_lshl_b64 s[22:23], s[22:23], 1
	s_mul_i32 s21, s31, s6
	s_add_u32 s4, s2, s24
	s_addc_u32 s24, s3, s25
	s_mul_i32 s7, s21, s30
	s_mul_hi_u32 s25, s21, s11
	s_mul_hi_i32 s6, s31, s6
	s_add_i32 s7, s25, s7
	s_mul_i32 s6, s6, s11
	v_add_co_u32 v8, vcc_lo, s22, v2
	s_add_i32 s7, s7, s6
	s_mul_i32 s6, s21, s11
	v_add_co_ci_u32_e32 v9, vcc_lo, s23, v3, vcc_lo
	s_lshl_b64 s[6:7], s[6:7], 1
	s_delay_alu instid0(SALU_CYCLE_1) | instskip(SKIP_3) | instid1(SALU_CYCLE_1)
	s_add_u32 s6, s6, -2
	s_addc_u32 s7, s7, -1
	s_mul_hi_u32 s11, s16, s6
	s_mul_i32 s7, s16, s7
	s_add_i32 s7, s11, s7
	s_mul_i32 s11, s16, s6
	s_mul_i32 s6, s17, s6
	;; [unrolled: 1-line block ×3, first 2 shown]
	s_mul_hi_u32 s16, s11, s14
	s_add_i32 s6, s7, s6
	s_add_i32 s15, s16, s15
	s_mul_i32 s16, s6, s14
	s_mul_i32 s11, s11, s14
	s_lshl_b64 s[6:7], s[12:13], 1
	s_add_i32 s15, s15, s16
	s_add_u32 s11, s11, s6
	s_addc_u32 s12, s15, s7
	s_ashr_i32 s21, s20, 31
	s_delay_alu instid0(SALU_CYCLE_1) | instskip(NEXT) | instid1(SALU_CYCLE_1)
	s_lshl_b64 s[6:7], s[20:21], 1
	s_add_u32 s6, s11, s6
	s_addc_u32 s7, s12, s7
	v_add_co_u32 v6, vcc_lo, s6, v6
	v_add_co_ci_u32_e32 v7, vcc_lo, s7, v7, vcc_lo
	v_add_co_u32 v8, vcc_lo, v8, v0
	v_add_co_ci_u32_e32 v9, vcc_lo, v9, v1, vcc_lo
	s_delay_alu instid0(VALU_DEP_4) | instskip(NEXT) | instid1(VALU_DEP_4)
	v_add_co_u32 v6, vcc_lo, v6, v4
	v_add_co_ci_u32_e32 v7, vcc_lo, v7, v5, vcc_lo
	s_delay_alu instid0(VALU_DEP_4) | instskip(NEXT) | instid1(VALU_DEP_4)
	;; [unrolled: 3-line block ×3, first 2 shown]
	v_add_co_u32 v6, vcc_lo, s18, v6
	v_add_co_ci_u32_e32 v7, vcc_lo, s19, v7, vcc_lo
.LBB3_32:                               ; =>This Inner Loop Header: Depth=1
	global_load_b32 v8, v[4:5], off
	v_add_co_u32 v4, vcc_lo, v4, 4
	v_add_co_ci_u32_e32 v5, vcc_lo, 0, v5, vcc_lo
	s_add_i32 s0, s0, -1
	s_delay_alu instid0(SALU_CYCLE_1)
	s_cmp_lg_u32 s0, 0
	s_waitcnt vmcnt(0)
	global_store_b32 v[6:7], v8, off
	v_add_co_u32 v6, vcc_lo, v6, 4
	v_add_co_ci_u32_e32 v7, vcc_lo, 0, v7, vcc_lo
	s_cbranch_scc1 .LBB3_32
.LBB3_33:
	s_and_b32 s0, s9, 0x7ffffffe
	s_delay_alu instid0(SALU_CYCLE_1) | instskip(SKIP_1) | instid1(SALU_CYCLE_1)
	s_cmp_lg_u32 s0, s9
	s_cselect_b32 s4, -1, 0
	s_and_b32 vcc_lo, exec_lo, s4
	s_cbranch_vccnz .LBB3_36
	s_branch .LBB3_38
.LBB3_34:
                                        ; implicit-def: $sgpr16_sgpr17
	s_load_b64 s[24:25], s[0:1], 0x10
	s_branch .LBB3_4
.LBB3_35:
	s_mov_b32 s0, 0
	s_cbranch_execz .LBB3_38
.LBB3_36:
	s_mul_i32 s1, s1, s10
	s_mul_hi_u32 s4, s5, s10
	s_mul_i32 s6, s5, s10
	s_add_i32 s7, s4, s1
	s_sub_i32 s1, s9, s0
	s_lshl_b64 s[4:5], s[6:7], 1
	s_delay_alu instid0(SALU_CYCLE_1) | instskip(SKIP_2) | instid1(VALU_DEP_2)
	v_add_co_u32 v2, vcc_lo, s4, v2
	v_add_co_ci_u32_e32 v3, vcc_lo, s5, v3, vcc_lo
	s_lshl_b32 s4, s0, 1
	v_add_co_u32 v0, vcc_lo, v2, v0
	s_delay_alu instid0(VALU_DEP_2) | instskip(SKIP_2) | instid1(VALU_DEP_2)
	v_add_co_ci_u32_e32 v1, vcc_lo, v3, v1, vcc_lo
	s_add_u32 s2, s2, s4
	s_addc_u32 s3, s3, 0
	v_add_co_u32 v0, vcc_lo, s2, v0
	s_delay_alu instid0(VALU_DEP_2)
	v_add_co_ci_u32_e32 v1, vcc_lo, s3, v1, vcc_lo
	s_mul_i32 s2, s0, s8
	.p2align	6
.LBB3_37:                               ; =>This Inner Loop Header: Depth=1
	global_load_u16 v4, v[0:1], off
	s_ashr_i32 s3, s2, 31
	v_add_co_u32 v0, vcc_lo, v0, 2
	s_lshl_b64 s[4:5], s[2:3], 1
	v_add_co_ci_u32_e32 v1, vcc_lo, 0, v1, vcc_lo
	v_add_co_u32 v2, s0, v10, s4
	s_delay_alu instid0(VALU_DEP_1)
	v_add_co_ci_u32_e64 v3, s0, s5, v11, s0
	s_add_i32 s1, s1, -1
	s_add_i32 s2, s2, s8
	s_cmp_lg_u32 s1, 0
	s_waitcnt vmcnt(0)
	global_store_b16 v[2:3], v4, off
	s_cbranch_scc1 .LBB3_37
.LBB3_38:
	s_nop 0
	s_sendmsg sendmsg(MSG_DEALLOC_VGPRS)
	s_endpgm
	.section	.rodata,"a",@progbits
	.p2align	6, 0x0
	.amdhsa_kernel _ZN4vllm24reshape_and_cache_kernelI14__hip_bfloat16S1_LNS_18Fp8KVCacheDataTypeE0EEEvPKT_S5_PT0_S7_PKliiiiiiPKfSB_
		.amdhsa_group_segment_fixed_size 0
		.amdhsa_private_segment_fixed_size 0
		.amdhsa_kernarg_size 80
		.amdhsa_user_sgpr_count 15
		.amdhsa_user_sgpr_dispatch_ptr 0
		.amdhsa_user_sgpr_queue_ptr 0
		.amdhsa_user_sgpr_kernarg_segment_ptr 1
		.amdhsa_user_sgpr_dispatch_id 0
		.amdhsa_user_sgpr_private_segment_size 0
		.amdhsa_wavefront_size32 1
		.amdhsa_uses_dynamic_stack 0
		.amdhsa_enable_private_segment 0
		.amdhsa_system_sgpr_workgroup_id_x 1
		.amdhsa_system_sgpr_workgroup_id_y 0
		.amdhsa_system_sgpr_workgroup_id_z 0
		.amdhsa_system_sgpr_workgroup_info 0
		.amdhsa_system_vgpr_workitem_id 0
		.amdhsa_next_free_vgpr 31
		.amdhsa_next_free_sgpr 40
		.amdhsa_reserve_vcc 1
		.amdhsa_float_round_mode_32 0
		.amdhsa_float_round_mode_16_64 0
		.amdhsa_float_denorm_mode_32 3
		.amdhsa_float_denorm_mode_16_64 3
		.amdhsa_dx10_clamp 1
		.amdhsa_ieee_mode 1
		.amdhsa_fp16_overflow 0
		.amdhsa_workgroup_processor_mode 1
		.amdhsa_memory_ordered 1
		.amdhsa_forward_progress 0
		.amdhsa_shared_vgpr_count 0
		.amdhsa_exception_fp_ieee_invalid_op 0
		.amdhsa_exception_fp_denorm_src 0
		.amdhsa_exception_fp_ieee_div_zero 0
		.amdhsa_exception_fp_ieee_overflow 0
		.amdhsa_exception_fp_ieee_underflow 0
		.amdhsa_exception_fp_ieee_inexact 0
		.amdhsa_exception_int_div_zero 0
	.end_amdhsa_kernel
	.section	.text._ZN4vllm24reshape_and_cache_kernelI14__hip_bfloat16S1_LNS_18Fp8KVCacheDataTypeE0EEEvPKT_S5_PT0_S7_PKliiiiiiPKfSB_,"axG",@progbits,_ZN4vllm24reshape_and_cache_kernelI14__hip_bfloat16S1_LNS_18Fp8KVCacheDataTypeE0EEEvPKT_S5_PT0_S7_PKliiiiiiPKfSB_,comdat
.Lfunc_end3:
	.size	_ZN4vllm24reshape_and_cache_kernelI14__hip_bfloat16S1_LNS_18Fp8KVCacheDataTypeE0EEEvPKT_S5_PT0_S7_PKliiiiiiPKfSB_, .Lfunc_end3-_ZN4vllm24reshape_and_cache_kernelI14__hip_bfloat16S1_LNS_18Fp8KVCacheDataTypeE0EEEvPKT_S5_PT0_S7_PKliiiiiiPKfSB_
                                        ; -- End function
	.section	.AMDGPU.csdata,"",@progbits
; Kernel info:
; codeLenInByte = 3944
; NumSgprs: 42
; NumVgprs: 31
; ScratchSize: 0
; MemoryBound: 0
; FloatMode: 240
; IeeeMode: 1
; LDSByteSize: 0 bytes/workgroup (compile time only)
; SGPRBlocks: 5
; VGPRBlocks: 3
; NumSGPRsForWavesPerEU: 42
; NumVGPRsForWavesPerEU: 31
; Occupancy: 16
; WaveLimiterHint : 0
; COMPUTE_PGM_RSRC2:SCRATCH_EN: 0
; COMPUTE_PGM_RSRC2:USER_SGPR: 15
; COMPUTE_PGM_RSRC2:TRAP_HANDLER: 0
; COMPUTE_PGM_RSRC2:TGID_X_EN: 1
; COMPUTE_PGM_RSRC2:TGID_Y_EN: 0
; COMPUTE_PGM_RSRC2:TGID_Z_EN: 0
; COMPUTE_PGM_RSRC2:TIDIG_COMP_CNT: 0
	.section	.text._ZN4vllm24reshape_and_cache_kernelIfhLNS_18Fp8KVCacheDataTypeE1EEEvPKT_S4_PT0_S6_PKliiiiiiPKfSA_,"axG",@progbits,_ZN4vllm24reshape_and_cache_kernelIfhLNS_18Fp8KVCacheDataTypeE1EEEvPKT_S4_PT0_S6_PKliiiiiiPKfSA_,comdat
	.protected	_ZN4vllm24reshape_and_cache_kernelIfhLNS_18Fp8KVCacheDataTypeE1EEEvPKT_S4_PT0_S6_PKliiiiiiPKfSA_ ; -- Begin function _ZN4vllm24reshape_and_cache_kernelIfhLNS_18Fp8KVCacheDataTypeE1EEEvPKT_S4_PT0_S6_PKliiiiiiPKfSA_
	.globl	_ZN4vllm24reshape_and_cache_kernelIfhLNS_18Fp8KVCacheDataTypeE1EEEvPKT_S4_PT0_S6_PKliiiiiiPKfSA_
	.p2align	8
	.type	_ZN4vllm24reshape_and_cache_kernelIfhLNS_18Fp8KVCacheDataTypeE1EEEvPKT_S4_PT0_S6_PKliiiiiiPKfSA_,@function
_ZN4vllm24reshape_and_cache_kernelIfhLNS_18Fp8KVCacheDataTypeE1EEEvPKT_S4_PT0_S6_PKliiiiiiPKfSA_: ; @_ZN4vllm24reshape_and_cache_kernelIfhLNS_18Fp8KVCacheDataTypeE1EEEvPKT_S4_PT0_S6_PKliiiiiiPKfSA_
; %bb.0:
	s_load_b64 s[2:3], s[0:1], 0x20
	s_mov_b32 s14, s15
	s_mov_b32 s15, 0
	s_delay_alu instid0(SALU_CYCLE_1)
	s_lshl_b64 s[4:5], s[14:15], 3
	s_waitcnt lgkmcnt(0)
	s_add_u32 s2, s2, s4
	s_addc_u32 s3, s3, s5
	s_load_b64 s[16:17], s[2:3], 0x0
	s_waitcnt lgkmcnt(0)
	v_cmp_lt_i64_e64 s2, s[16:17], 0
	s_delay_alu instid0(VALU_DEP_1)
	s_and_b32 vcc_lo, exec_lo, s2
	s_cbranch_vccnz .LBB4_189
; %bb.1:
	s_clause 0x1
	s_load_b64 s[12:13], s[0:1], 0x38
	s_load_b128 s[4:7], s[0:1], 0x28
	s_waitcnt lgkmcnt(0)
	s_abs_i32 s2, s13
	s_abs_i32 s9, s7
	v_cvt_f32_u32_e32 v1, s2
	s_sub_i32 s8, 0, s2
	s_delay_alu instid0(VALU_DEP_1) | instskip(SKIP_2) | instid1(VALU_DEP_1)
	v_rcp_iflag_f32_e32 v1, v1
	s_waitcnt_depctr 0xfff
	v_mul_f32_e32 v1, 0x4f7ffffe, v1
	v_cvt_u32_f32_e32 v1, v1
	s_delay_alu instid0(VALU_DEP_1) | instskip(NEXT) | instid1(VALU_DEP_1)
	v_readfirstlane_b32 s3, v1
	s_mul_i32 s8, s8, s3
	s_delay_alu instid0(SALU_CYCLE_1) | instskip(NEXT) | instid1(SALU_CYCLE_1)
	s_mul_hi_u32 s8, s3, s8
	s_add_i32 s3, s3, s8
	s_xor_b32 s8, s7, s13
	s_mul_hi_u32 s3, s9, s3
	s_ashr_i32 s8, s8, 31
	s_mul_i32 s10, s3, s2
	s_delay_alu instid0(SALU_CYCLE_1)
	s_sub_i32 s9, s9, s10
	s_add_i32 s10, s3, 1
	s_sub_i32 s11, s9, s2
	s_cmp_ge_u32 s9, s2
	s_cselect_b32 s3, s10, s3
	s_cselect_b32 s9, s11, s9
	s_add_i32 s10, s3, 1
	s_cmp_ge_u32 s9, s2
	s_cselect_b32 s2, s10, s3
	s_delay_alu instid0(SALU_CYCLE_1) | instskip(NEXT) | instid1(SALU_CYCLE_1)
	s_xor_b32 s2, s2, s8
	s_sub_i32 s28, s2, s8
	s_mov_b32 s2, exec_lo
	s_mul_i32 s15, s28, s6
	s_delay_alu instid0(SALU_CYCLE_1)
	v_cmpx_gt_i32_e64 s15, v0
	s_cbranch_execz .LBB4_189
; %bb.2:
	s_load_b64 s[22:23], s[0:1], 0x0
	s_ashr_i32 s19, s12, 31
	s_mov_b32 s18, s12
	s_delay_alu instid0(SALU_CYCLE_1) | instskip(SKIP_1) | instid1(SALU_CYCLE_1)
	s_or_b64 s[2:3], s[16:17], s[18:19]
	s_mov_b32 s2, 0
	s_cmp_lg_u64 s[2:3], 0
	s_cbranch_scc0 .LBB4_190
; %bb.3:
	s_add_u32 s10, s18, s19
	s_mov_b32 s8, s19
	s_mov_b32 s9, s19
	s_addc_u32 s11, s19, s19
	s_delay_alu instid0(SALU_CYCLE_1) | instskip(NEXT) | instid1(SALU_CYCLE_1)
	s_xor_b64 s[10:11], s[10:11], s[8:9]
	v_cvt_f32_u32_e32 v1, s10
	v_cvt_f32_u32_e32 v2, s11
	s_sub_u32 s21, 0, s10
	s_subb_u32 s24, 0, s11
	s_delay_alu instid0(VALU_DEP_1) | instskip(NEXT) | instid1(VALU_DEP_1)
	v_fmamk_f32 v1, v2, 0x4f800000, v1
	v_rcp_f32_e32 v1, v1
	s_waitcnt_depctr 0xfff
	v_mul_f32_e32 v1, 0x5f7ffffc, v1
	s_delay_alu instid0(VALU_DEP_1) | instskip(NEXT) | instid1(VALU_DEP_1)
	v_mul_f32_e32 v2, 0x2f800000, v1
	v_trunc_f32_e32 v2, v2
	s_delay_alu instid0(VALU_DEP_1) | instskip(SKIP_1) | instid1(VALU_DEP_2)
	v_fmamk_f32 v1, v2, 0xcf800000, v1
	v_cvt_u32_f32_e32 v2, v2
	v_cvt_u32_f32_e32 v1, v1
	s_delay_alu instid0(VALU_DEP_2) | instskip(NEXT) | instid1(VALU_DEP_2)
	v_readfirstlane_b32 s3, v2
	v_readfirstlane_b32 s20, v1
	s_delay_alu instid0(VALU_DEP_2) | instskip(NEXT) | instid1(VALU_DEP_1)
	s_mul_i32 s25, s21, s3
	s_mul_hi_u32 s27, s21, s20
	s_mul_i32 s26, s24, s20
	s_add_i32 s25, s27, s25
	s_mul_i32 s29, s21, s20
	s_add_i32 s25, s25, s26
	s_mul_hi_u32 s27, s20, s29
	s_mul_hi_u32 s30, s3, s29
	s_mul_i32 s26, s3, s29
	s_mul_hi_u32 s29, s20, s25
	s_mul_i32 s20, s20, s25
	s_mul_hi_u32 s31, s3, s25
	s_add_u32 s20, s27, s20
	s_addc_u32 s27, 0, s29
	s_add_u32 s20, s20, s26
	s_mul_i32 s25, s3, s25
	s_addc_u32 s20, s27, s30
	s_addc_u32 s26, s31, 0
	s_add_u32 s20, s20, s25
	s_addc_u32 s25, 0, s26
	v_add_co_u32 v1, s20, v1, s20
	s_delay_alu instid0(VALU_DEP_1) | instskip(SKIP_1) | instid1(VALU_DEP_1)
	s_cmp_lg_u32 s20, 0
	s_addc_u32 s3, s3, s25
	v_readfirstlane_b32 s20, v1
	s_mul_i32 s25, s21, s3
	s_delay_alu instid0(VALU_DEP_1)
	s_mul_hi_u32 s26, s21, s20
	s_mul_i32 s24, s24, s20
	s_add_i32 s25, s26, s25
	s_mul_i32 s21, s21, s20
	s_add_i32 s25, s25, s24
	s_mul_hi_u32 s26, s3, s21
	s_mul_i32 s27, s3, s21
	s_mul_hi_u32 s21, s20, s21
	s_mul_hi_u32 s29, s20, s25
	s_mul_i32 s20, s20, s25
	s_mul_hi_u32 s24, s3, s25
	s_add_u32 s20, s21, s20
	s_addc_u32 s21, 0, s29
	s_add_u32 s20, s20, s27
	s_mul_i32 s25, s3, s25
	s_addc_u32 s20, s21, s26
	s_addc_u32 s21, s24, 0
	s_add_u32 s20, s20, s25
	s_addc_u32 s21, 0, s21
	v_add_co_u32 v1, s20, v1, s20
	s_delay_alu instid0(VALU_DEP_1) | instskip(SKIP_2) | instid1(VALU_DEP_1)
	s_cmp_lg_u32 s20, 0
	s_addc_u32 s3, s3, s21
	s_ashr_i32 s20, s17, 31
	v_readfirstlane_b32 s26, v1
	s_add_u32 s24, s16, s20
	s_mov_b32 s21, s20
	s_addc_u32 s25, s17, s20
	s_delay_alu instid0(SALU_CYCLE_1) | instskip(NEXT) | instid1(SALU_CYCLE_1)
	s_xor_b64 s[24:25], s[24:25], s[20:21]
	s_mul_i32 s29, s24, s3
	s_mul_hi_u32 s30, s24, s26
	s_mul_hi_u32 s27, s24, s3
	;; [unrolled: 1-line block ×3, first 2 shown]
	s_mul_i32 s26, s25, s26
	s_add_u32 s29, s30, s29
	s_addc_u32 s27, 0, s27
	s_mul_hi_u32 s31, s25, s3
	s_add_u32 s26, s29, s26
	s_mul_i32 s3, s25, s3
	s_addc_u32 s26, s27, s33
	s_addc_u32 s27, s31, 0
	s_add_u32 s3, s26, s3
	s_addc_u32 s26, 0, s27
	s_mul_i32 s31, s10, s3
	s_mul_hi_u32 s27, s10, s3
	s_mul_i32 s30, s10, s26
	v_sub_co_u32 v1, s24, s24, s31
	s_mul_i32 s29, s11, s3
	s_add_i32 s27, s27, s30
	s_delay_alu instid0(SALU_CYCLE_1) | instskip(NEXT) | instid1(VALU_DEP_1)
	s_add_i32 s27, s27, s29
	v_sub_co_u32 v2, s30, v1, s10
	s_sub_i32 s29, s25, s27
	s_cmp_lg_u32 s24, 0
	s_subb_u32 s29, s29, s11
	s_cmp_lg_u32 s30, 0
	v_readfirstlane_b32 s30, v2
	s_subb_u32 s29, s29, 0
	s_delay_alu instid0(SALU_CYCLE_1) | instskip(SKIP_1) | instid1(VALU_DEP_1)
	s_cmp_ge_u32 s29, s11
	s_cselect_b32 s31, -1, 0
	s_cmp_ge_u32 s30, s10
	s_cselect_b32 s30, -1, 0
	s_cmp_eq_u32 s29, s11
	s_cselect_b32 s29, s30, s31
	s_add_u32 s30, s3, 1
	s_addc_u32 s31, s26, 0
	s_add_u32 s33, s3, 2
	s_addc_u32 s34, s26, 0
	s_cmp_lg_u32 s29, 0
	s_cselect_b32 s29, s33, s30
	s_cselect_b32 s30, s34, s31
	s_cmp_lg_u32 s24, 0
	v_readfirstlane_b32 s24, v1
	s_subb_u32 s25, s25, s27
	s_delay_alu instid0(SALU_CYCLE_1) | instskip(SKIP_1) | instid1(VALU_DEP_1)
	s_cmp_ge_u32 s25, s11
	s_cselect_b32 s27, -1, 0
	s_cmp_ge_u32 s24, s10
	s_cselect_b32 s10, -1, 0
	s_cmp_eq_u32 s25, s11
	s_cselect_b32 s10, s10, s27
	s_delay_alu instid0(SALU_CYCLE_1) | instskip(SKIP_3) | instid1(SALU_CYCLE_1)
	s_cmp_lg_u32 s10, 0
	s_cselect_b32 s11, s30, s26
	s_cselect_b32 s10, s29, s3
	s_xor_b64 s[8:9], s[20:21], s[8:9]
	s_xor_b64 s[10:11], s[10:11], s[8:9]
	s_delay_alu instid0(SALU_CYCLE_1)
	s_sub_u32 s20, s10, s8
	s_subb_u32 s21, s11, s9
	s_load_b64 s[24:25], s[0:1], 0x10
	s_and_not1_b32 vcc_lo, exec_lo, s2
	s_cbranch_vccnz .LBB4_5
.LBB4_4:
	v_cvt_f32_u32_e32 v1, s18
	s_sub_i32 s3, 0, s18
	s_mov_b32 s21, 0
	s_delay_alu instid0(VALU_DEP_1) | instskip(SKIP_2) | instid1(VALU_DEP_1)
	v_rcp_iflag_f32_e32 v1, v1
	s_waitcnt_depctr 0xfff
	v_mul_f32_e32 v1, 0x4f7ffffe, v1
	v_cvt_u32_f32_e32 v1, v1
	s_delay_alu instid0(VALU_DEP_1) | instskip(NEXT) | instid1(VALU_DEP_1)
	v_readfirstlane_b32 s2, v1
	s_mul_i32 s3, s3, s2
	s_delay_alu instid0(SALU_CYCLE_1) | instskip(NEXT) | instid1(SALU_CYCLE_1)
	s_mul_hi_u32 s3, s2, s3
	s_add_i32 s2, s2, s3
	s_delay_alu instid0(SALU_CYCLE_1) | instskip(NEXT) | instid1(SALU_CYCLE_1)
	s_mul_hi_u32 s2, s16, s2
	s_mul_i32 s3, s2, s18
	s_add_i32 s8, s2, 1
	s_sub_i32 s3, s16, s3
	s_delay_alu instid0(SALU_CYCLE_1)
	s_sub_i32 s9, s3, s18
	s_cmp_ge_u32 s3, s18
	s_cselect_b32 s2, s8, s2
	s_cselect_b32 s3, s9, s3
	s_add_i32 s8, s2, 1
	s_cmp_ge_u32 s3, s18
	s_cselect_b32 s20, s8, s2
.LBB4_5:
	s_abs_i32 s2, s28
	s_load_b128 s[8:11], s[0:1], 0x40
	v_cvt_f32_u32_e32 v1, s2
	s_sub_i32 s3, 0, s2
	s_delay_alu instid0(VALU_DEP_1) | instskip(SKIP_2) | instid1(VALU_DEP_1)
	v_rcp_iflag_f32_e32 v1, v1
	s_waitcnt_depctr 0xfff
	v_mul_f32_e32 v1, 0x4f7ffffe, v1
	v_cvt_u32_f32_e32 v1, v1
	s_delay_alu instid0(VALU_DEP_1) | instskip(SKIP_1) | instid1(SALU_CYCLE_1)
	v_mul_lo_u32 v2, s3, v1
	s_ashr_i32 s3, s4, 31
	s_mul_i32 s3, s3, s14
	s_delay_alu instid0(VALU_DEP_1) | instskip(NEXT) | instid1(VALU_DEP_1)
	v_mul_hi_u32 v2, v1, v2
	v_add_nc_u32_e32 v1, v1, v2
	s_delay_alu instid0(VALU_DEP_1) | instskip(NEXT) | instid1(VALU_DEP_1)
	v_mul_hi_u32 v1, v0, v1
	v_mul_lo_u32 v2, v1, s2
	v_add_nc_u32_e32 v3, 1, v1
	s_delay_alu instid0(VALU_DEP_2) | instskip(NEXT) | instid1(VALU_DEP_1)
	v_sub_nc_u32_e32 v2, v0, v2
	v_subrev_nc_u32_e32 v4, s2, v2
	v_cmp_le_u32_e32 vcc_lo, s2, v2
	s_delay_alu instid0(VALU_DEP_2) | instskip(NEXT) | instid1(VALU_DEP_1)
	v_dual_cndmask_b32 v2, v2, v4 :: v_dual_cndmask_b32 v1, v1, v3
	v_cmp_le_u32_e32 vcc_lo, s2, v2
	s_delay_alu instid0(VALU_DEP_2) | instskip(SKIP_1) | instid1(VALU_DEP_1)
	v_add_nc_u32_e32 v3, 1, v1
	s_ashr_i32 s2, s28, 31
	v_cndmask_b32_e32 v1, v1, v3, vcc_lo
	v_mov_b32_e32 v3, 0
	s_delay_alu instid0(VALU_DEP_2) | instskip(NEXT) | instid1(VALU_DEP_1)
	v_xor_b32_e32 v1, s2, v1
	v_subrev_nc_u32_e32 v1, s2, v1
	s_mul_i32 s2, s4, s14
	s_delay_alu instid0(VALU_DEP_1) | instskip(NEXT) | instid1(VALU_DEP_1)
	v_mul_lo_u32 v2, v1, s28
	v_sub_nc_u32_e32 v10, v0, v2
	v_mul_lo_u32 v0, v1, s7
	s_mul_hi_u32 s7, s4, s14
	s_mul_i32 s4, s13, s12
	s_add_i32 s3, s7, s3
	v_mul_lo_u32 v6, v10, s13
	s_lshl_b64 s[26:27], s[2:3], 2
	s_waitcnt lgkmcnt(0)
	s_load_b32 s7, s[8:9], 0x0
	s_add_u32 s2, s22, s26
	v_ashrrev_i32_e32 v1, 31, v0
	s_addc_u32 s29, s23, s27
	s_load_b32 s3, s[10:11], 0x0
	v_mul_lo_u32 v9, s4, v2
	v_ashrrev_i32_e32 v7, 31, v6
	v_lshlrev_b64 v[4:5], 2, v[0:1]
	v_mul_lo_u32 v23, s4, v10
	s_ashr_i32 s8, s13, 31
	s_mul_hi_i32 s4, s28, s6
	v_lshlrev_b64 v[7:8], 2, v[6:7]
	s_mov_b32 s6, s13
	v_add_co_u32 v0, vcc_lo, s2, v4
	v_add_co_ci_u32_e32 v1, vcc_lo, s29, v5, vcc_lo
	s_and_b32 s2, s13, 3
	s_delay_alu instid0(VALU_DEP_2) | instskip(NEXT) | instid1(VALU_DEP_2)
	v_add_co_u32 v0, vcc_lo, v0, v7
	v_add_co_ci_u32_e32 v1, vcc_lo, v1, v8, vcc_lo
	s_cmp_lg_u32 s2, 0
	s_delay_alu instid0(VALU_DEP_2) | instskip(SKIP_3) | instid1(VALU_DEP_3)
	v_and_b32_e32 v2, 15, v0
	v_ashrrev_i32_e32 v10, 31, v9
	v_ashrrev_i32_e32 v24, 31, v23
	s_cselect_b32 s2, -1, 0
	v_cmp_ne_u64_e32 vcc_lo, 0, v[2:3]
	s_or_b32 s2, s2, vcc_lo
	s_delay_alu instid0(SALU_CYCLE_1) | instskip(NEXT) | instid1(SALU_CYCLE_1)
	s_and_saveexec_b32 s9, s2
	s_xor_b32 s9, exec_lo, s9
	s_cbranch_execz .LBB4_108
; %bb.6:
	v_sub_nc_u32_e32 v2, 0, v0
	s_mov_b32 s10, exec_lo
	s_delay_alu instid0(VALU_DEP_1) | instskip(NEXT) | instid1(VALU_DEP_1)
	v_bfe_u32 v2, v2, 2, 2
	v_min_i32_e32 v11, s13, v2
	s_delay_alu instid0(VALU_DEP_1)
	v_cmpx_lt_i32_e32 0, v11
	s_cbranch_execz .LBB4_27
; %bb.7:
	s_add_u32 s2, s15, -1
	s_addc_u32 s11, s4, -1
	s_mul_hi_u32 s28, s20, s2
	s_mul_i32 s11, s20, s11
	s_mul_i32 s29, s20, s2
	s_add_i32 s11, s28, s11
	s_mul_i32 s2, s21, s2
	s_mul_i32 s28, s29, s19
	s_mul_hi_u32 s30, s29, s18
	s_add_i32 s2, s11, s2
	s_add_i32 s11, s30, s28
	s_mul_i32 s2, s2, s18
	s_mul_i32 s29, s29, s18
	s_add_i32 s11, s11, s2
	s_add_u32 s2, s16, s29
	s_addc_u32 s11, s17, s11
	v_mad_u64_u32 v[2:3], null, s2, s6, v[9:10]
	s_mul_i32 s2, s2, s8
	s_mul_i32 s11, s11, s6
	v_dual_mov_b32 v15, v1 :: v_dual_mov_b32 v14, v0
	v_mov_b32_e32 v20, v11
	s_delay_alu instid0(VALU_DEP_3) | instskip(NEXT) | instid1(VALU_DEP_4)
	v_add3_u32 v12, s2, s11, v3
	v_add_co_u32 v2, vcc_lo, v2, v23
	v_mov_b32_e32 v3, 0
	s_mov_b32 s11, 0
	s_delay_alu instid0(VALU_DEP_3) | instskip(NEXT) | instid1(VALU_DEP_3)
	v_add_co_ci_u32_e32 v13, vcc_lo, v12, v24, vcc_lo
	v_add_co_u32 v12, vcc_lo, s24, v2
	s_delay_alu instid0(VALU_DEP_2)
	v_add_co_ci_u32_e32 v13, vcc_lo, s25, v13, vcc_lo
	s_branch .LBB4_9
.LBB4_8:                                ;   in Loop: Header=BB4_9 Depth=1
	s_or_b32 exec_lo, exec_lo, s2
	v_add_nc_u32_e32 v20, -1, v20
	global_store_b8 v[12:13], v17, off
	v_add_co_u32 v12, vcc_lo, v12, 1
	v_add_co_ci_u32_e32 v13, vcc_lo, 0, v13, vcc_lo
	v_cmp_eq_u32_e32 vcc_lo, 0, v20
	v_add_co_u32 v14, s2, v14, 4
	s_delay_alu instid0(VALU_DEP_1) | instskip(SKIP_1) | instid1(SALU_CYCLE_1)
	v_add_co_ci_u32_e64 v15, s2, 0, v15, s2
	s_or_b32 s11, vcc_lo, s11
	s_and_not1_b32 exec_lo, exec_lo, s11
	s_cbranch_execz .LBB4_27
.LBB4_9:                                ; =>This Inner Loop Header: Depth=1
	global_load_b32 v2, v[14:15], off
	s_mov_b32 s2, exec_lo
	v_mov_b32_e32 v26, v3
	s_waitcnt vmcnt(0) lgkmcnt(0)
	v_div_scale_f32 v16, null, s7, s7, v2
	s_delay_alu instid0(VALU_DEP_1) | instskip(SKIP_2) | instid1(VALU_DEP_1)
	v_rcp_f32_e32 v17, v16
	s_waitcnt_depctr 0xfff
	v_fma_f32 v18, -v16, v17, 1.0
	v_fmac_f32_e32 v17, v18, v17
	v_div_scale_f32 v18, vcc_lo, v2, s7, v2
	s_delay_alu instid0(VALU_DEP_1) | instskip(NEXT) | instid1(VALU_DEP_1)
	v_mul_f32_e32 v19, v18, v17
	v_fma_f32 v21, -v16, v19, v18
	s_delay_alu instid0(VALU_DEP_1) | instskip(NEXT) | instid1(VALU_DEP_1)
	v_fmac_f32_e32 v19, v21, v17
	v_fma_f32 v16, -v16, v19, v18
	s_delay_alu instid0(VALU_DEP_1) | instskip(NEXT) | instid1(VALU_DEP_1)
	v_div_fmas_f32 v16, v16, v17, v19
	v_div_fixup_f32 v16, v16, s7, v2
	s_delay_alu instid0(VALU_DEP_1) | instskip(SKIP_2) | instid1(VALU_DEP_2)
	v_and_b32_e32 v2, 0x7fffff, v16
	v_lshrrev_b32_e32 v18, 24, v16
	v_and_b32_e32 v25, 0x7f800000, v16
	v_and_b32_e32 v21, 0x80, v18
	s_delay_alu instid0(VALU_DEP_1) | instskip(NEXT) | instid1(VALU_DEP_3)
	v_or_b32_e32 v17, 0x7e, v21
	v_cmpx_ne_u64_e32 0x7f800000, v[25:26]
	s_xor_b32 s28, exec_lo, s2
	s_cbranch_execz .LBB4_25
; %bb.10:                               ;   in Loop: Header=BB4_9 Depth=1
	v_dual_mov_b32 v19, v3 :: v_dual_and_b32 v18, 0x7fffffff, v16
	s_mov_b32 s2, exec_lo
	s_delay_alu instid0(VALU_DEP_1)
	v_cmpx_gt_u64_e32 0x43e00001, v[18:19]
	s_xor_b32 s29, exec_lo, s2
	s_cbranch_execz .LBB4_24
; %bb.11:                               ;   in Loop: Header=BB4_9 Depth=1
	v_mov_b32_e32 v17, 0
	s_mov_b32 s30, exec_lo
	v_cmpx_ne_u32_e32 0, v16
	s_cbranch_execz .LBB4_23
; %bb.12:                               ;   in Loop: Header=BB4_9 Depth=1
	v_bfe_u32 v22, v16, 23, 8
	v_or_b32_e32 v18, 0x800000, v2
	s_delay_alu instid0(VALU_DEP_2) | instskip(SKIP_1) | instid1(VALU_DEP_2)
	v_sub_nc_u32_e32 v16, 0x79, v22
	v_cmp_gt_u32_e32 vcc_lo, 0x7a, v22
	v_cndmask_b32_e32 v16, 0, v16, vcc_lo
	v_cmp_eq_u32_e32 vcc_lo, 0, v22
	s_delay_alu instid0(VALU_DEP_2) | instskip(SKIP_1) | instid1(VALU_DEP_2)
	v_cndmask_b32_e64 v25, v16, 0x78, vcc_lo
	v_cndmask_b32_e32 v2, v18, v2, vcc_lo
	v_add_nc_u32_e32 v16, 20, v25
	v_add_nc_u32_e32 v18, 19, v25
	s_delay_alu instid0(VALU_DEP_2) | instskip(NEXT) | instid1(VALU_DEP_2)
	v_lshlrev_b64 v[16:17], v16, -1
	v_lshlrev_b64 v[18:19], v18, 1
	s_delay_alu instid0(VALU_DEP_2) | instskip(NEXT) | instid1(VALU_DEP_3)
	v_not_b32_e32 v17, v17
	v_not_b32_e32 v16, v16
	s_delay_alu instid0(VALU_DEP_2) | instskip(NEXT) | instid1(VALU_DEP_2)
	v_and_b32_e32 v27, 0, v17
	v_and_b32_e32 v26, v2, v16
	v_lshrrev_b64 v[16:17], v25, v[2:3]
	s_delay_alu instid0(VALU_DEP_2) | instskip(NEXT) | instid1(VALU_DEP_2)
	v_cmp_eq_u64_e64 s2, v[26:27], v[18:19]
	v_dual_mov_b32 v19, v17 :: v_dual_mov_b32 v18, v16
	s_delay_alu instid0(VALU_DEP_2)
	s_and_saveexec_b32 s31, s2
; %bb.13:                               ;   in Loop: Header=BB4_9 Depth=1
	v_bfe_u32 v2, v16, 20, 1
	s_delay_alu instid0(VALU_DEP_1) | instskip(NEXT) | instid1(VALU_DEP_1)
	v_add_co_u32 v2, s2, v16, v2
	v_add_co_u32 v18, s2, v2, -1
; %bb.14:                               ;   in Loop: Header=BB4_9 Depth=1
	s_or_b32 exec_lo, exec_lo, s31
	v_add_nc_u32_e32 v2, 0xffffff81, v22
	v_lshrrev_b32_e32 v19, 23, v16
	s_mov_b32 s2, exec_lo
	s_delay_alu instid0(VALU_DEP_2) | instskip(NEXT) | instid1(VALU_DEP_1)
	v_cndmask_b32_e64 v2, v2, 0xffffff82, vcc_lo
	v_add3_u32 v19, v25, v2, v19
	v_and_b32_e32 v2, 0xfffff, v18
	s_delay_alu instid0(VALU_DEP_2) | instskip(NEXT) | instid1(VALU_DEP_2)
	v_add_nc_u32_e32 v18, 6, v19
	v_add_co_u32 v16, vcc_lo, v2, v16
	v_add_co_ci_u32_e32 v17, vcc_lo, 0, v17, vcc_lo
                                        ; implicit-def: $vgpr2
	s_delay_alu instid0(VALU_DEP_3)
	v_cmpx_ne_u32_e32 0, v18
	s_xor_b32 s2, exec_lo, s2
; %bb.15:                               ;   in Loop: Header=BB4_9 Depth=1
	s_delay_alu instid0(VALU_DEP_2) | instskip(SKIP_1) | instid1(VALU_DEP_1)
	v_cmp_lt_u64_e32 vcc_lo, 0xffffff, v[16:17]
	v_add_nc_u32_e32 v2, 7, v19
	v_cndmask_b32_e32 v2, v18, v2, vcc_lo
	v_cndmask_b32_e64 v18, 0, 1, vcc_lo
	s_delay_alu instid0(VALU_DEP_1)
	v_lshrrev_b64 v[16:17], v18, v[16:17]
; %bb.16:                               ;   in Loop: Header=BB4_9 Depth=1
	s_and_not1_saveexec_b32 s2, s2
; %bb.17:                               ;   in Loop: Header=BB4_9 Depth=1
	s_delay_alu instid0(VALU_DEP_1)
	v_bfe_u32 v2, v16, 23, 1
; %bb.18:                               ;   in Loop: Header=BB4_9 Depth=1
	s_or_b32 exec_lo, exec_lo, s2
	s_delay_alu instid0(VALU_DEP_2) | instskip(NEXT) | instid1(VALU_DEP_2)
	v_lshrrev_b64 v[16:17], 20, v[16:17]
	v_cmp_gt_i32_e32 vcc_lo, 16, v2
	v_cmp_ne_u32_e64 s2, 0, v2
	s_delay_alu instid0(VALU_DEP_3) | instskip(NEXT) | instid1(VALU_DEP_1)
	v_dual_cndmask_b32 v17, 0, v17 :: v_dual_cndmask_b32 v16, 7, v16
	v_cmp_ne_u64_e32 vcc_lo, 0, v[16:17]
                                        ; implicit-def: $vgpr17
	s_delay_alu instid0(VALU_DEP_3) | instskip(NEXT) | instid1(SALU_CYCLE_1)
	s_or_b32 s2, s2, vcc_lo
	s_and_saveexec_b32 s31, s2
	s_delay_alu instid0(SALU_CYCLE_1)
	s_xor_b32 s2, exec_lo, s31
; %bb.19:                               ;   in Loop: Header=BB4_9 Depth=1
	v_min_i32_e32 v2, 15, v2
	s_delay_alu instid0(VALU_DEP_1) | instskip(NEXT) | instid1(VALU_DEP_1)
	v_lshl_or_b32 v2, v2, 3, v21
                                        ; implicit-def: $vgpr21
	v_and_or_b32 v17, v16, 7, v2
; %bb.20:                               ;   in Loop: Header=BB4_9 Depth=1
	s_and_not1_saveexec_b32 s2, s2
; %bb.21:                               ;   in Loop: Header=BB4_9 Depth=1
	v_mov_b32_e32 v17, v21
; %bb.22:                               ;   in Loop: Header=BB4_9 Depth=1
	s_or_b32 exec_lo, exec_lo, s2
.LBB4_23:                               ;   in Loop: Header=BB4_9 Depth=1
	s_delay_alu instid0(SALU_CYCLE_1)
	s_or_b32 exec_lo, exec_lo, s30
.LBB4_24:                               ;   in Loop: Header=BB4_9 Depth=1
	s_and_not1_saveexec_b32 s2, s29
	s_delay_alu instid0(SALU_CYCLE_1)
	s_or_b32 exec_lo, exec_lo, s2
                                        ; implicit-def: $vgpr18
.LBB4_25:                               ;   in Loop: Header=BB4_9 Depth=1
	s_and_not1_saveexec_b32 s2, s28
	s_cbranch_execz .LBB4_8
; %bb.26:                               ;   in Loop: Header=BB4_9 Depth=1
	v_cmp_eq_u64_e32 vcc_lo, 0, v[2:3]
	v_or_b32_e32 v16, 0x7f, v18
	s_delay_alu instid0(VALU_DEP_1)
	v_cndmask_b32_e32 v17, v16, v17, vcc_lo
	s_branch .LBB4_8
.LBB4_27:
	s_or_b32 exec_lo, exec_lo, s10
	v_sub_nc_u32_e32 v25, s13, v11
	v_ashrrev_i32_e32 v12, 31, v11
	s_mov_b32 s10, exec_lo
	s_delay_alu instid0(VALU_DEP_2) | instskip(NEXT) | instid1(VALU_DEP_1)
	v_ashrrev_i32_e32 v2, 31, v25
	v_lshrrev_b32_e32 v2, 30, v2
	s_delay_alu instid0(VALU_DEP_1) | instskip(NEXT) | instid1(VALU_DEP_1)
	v_add_nc_u32_e32 v2, v25, v2
	v_ashrrev_i32_e32 v26, 2, v2
	v_cmpx_lt_i32_e32 3, v25
	s_cbranch_execz .LBB4_86
; %bb.28:
	s_add_u32 s2, s15, -1
	s_addc_u32 s11, s4, -1
	s_mul_hi_u32 s28, s20, s2
	s_mul_i32 s11, s20, s11
	s_mul_i32 s29, s20, s2
	s_add_i32 s11, s28, s11
	s_mul_i32 s2, s21, s2
	s_mul_i32 s28, s29, s19
	s_mul_hi_u32 s30, s29, s18
	s_add_i32 s2, s11, s2
	s_add_i32 s11, s30, s28
	s_mul_i32 s2, s2, s18
	s_mul_i32 s29, s29, s18
	s_add_i32 s11, s11, s2
	s_add_u32 s2, s16, s29
	s_addc_u32 s11, s17, s11
	v_mad_u64_u32 v[2:3], null, s2, s6, v[11:12]
	s_mul_i32 s2, s2, s8
	s_mul_i32 s11, s11, s6
	v_dual_mov_b32 v18, 0 :: v_dual_mov_b32 v27, v26
	s_delay_alu instid0(VALU_DEP_2) | instskip(NEXT) | instid1(VALU_DEP_3)
	v_add3_u32 v3, s2, s11, v3
	v_add_co_u32 v13, vcc_lo, v2, v9
	s_mov_b32 s11, 0
	s_delay_alu instid0(VALU_DEP_2) | instskip(SKIP_1) | instid1(VALU_DEP_3)
	v_add_co_ci_u32_e32 v14, vcc_lo, v3, v10, vcc_lo
	v_lshlrev_b64 v[2:3], 2, v[11:12]
	v_add_co_u32 v15, vcc_lo, v13, v23
	s_delay_alu instid0(VALU_DEP_3) | instskip(NEXT) | instid1(VALU_DEP_3)
	v_add_co_ci_u32_e32 v16, vcc_lo, v14, v24, vcc_lo
	v_add_co_u32 v13, vcc_lo, v0, v2
	s_delay_alu instid0(VALU_DEP_4) | instskip(NEXT) | instid1(VALU_DEP_4)
	v_add_co_ci_u32_e32 v14, vcc_lo, v1, v3, vcc_lo
	v_add_co_u32 v15, vcc_lo, s24, v15
	s_delay_alu instid0(VALU_DEP_4)
	v_add_co_ci_u32_e32 v16, vcc_lo, s25, v16, vcc_lo
	s_branch .LBB4_30
.LBB4_29:                               ;   in Loop: Header=BB4_30 Depth=1
	s_or_b32 exec_lo, exec_lo, s2
	v_lshlrev_b32_e32 v1, 16, v19
	v_lshlrev_b32_e32 v2, 8, v22
	v_and_b32_e32 v3, 0xff, v21
	v_add_nc_u32_e32 v27, -1, v27
	s_delay_alu instid0(VALU_DEP_4) | instskip(NEXT) | instid1(VALU_DEP_4)
	v_perm_b32 v0, v0, v1, 0x4020c0c
	v_and_b32_e32 v1, 0xff00, v2
	s_delay_alu instid0(VALU_DEP_3) | instskip(NEXT) | instid1(VALU_DEP_2)
	v_cmp_eq_u32_e32 vcc_lo, 0, v27
	v_or3_b32 v0, v0, v1, v3
	s_or_b32 s11, vcc_lo, s11
	global_store_b32 v[15:16], v0, off
	v_add_co_u32 v15, s2, v15, 4
	s_delay_alu instid0(VALU_DEP_1) | instskip(SKIP_1) | instid1(VALU_DEP_1)
	v_add_co_ci_u32_e64 v16, s2, 0, v16, s2
	v_add_co_u32 v13, s2, v13, 16
	v_add_co_ci_u32_e64 v14, s2, 0, v14, s2
	s_and_not1_b32 exec_lo, exec_lo, s11
	s_cbranch_execz .LBB4_86
.LBB4_30:                               ; =>This Inner Loop Header: Depth=1
	global_load_b128 v[0:3], v[13:14], off
	s_waitcnt vmcnt(0) lgkmcnt(0)
	v_div_scale_f32 v17, null, s7, s7, v0
	s_delay_alu instid0(VALU_DEP_1) | instskip(SKIP_2) | instid1(VALU_DEP_1)
	v_rcp_f32_e32 v19, v17
	s_waitcnt_depctr 0xfff
	v_fma_f32 v20, -v17, v19, 1.0
	v_fmac_f32_e32 v19, v20, v19
	v_div_scale_f32 v20, vcc_lo, v0, s7, v0
	s_delay_alu instid0(VALU_DEP_1) | instskip(NEXT) | instid1(VALU_DEP_1)
	v_mul_f32_e32 v21, v20, v19
	v_fma_f32 v22, -v17, v21, v20
	s_delay_alu instid0(VALU_DEP_1) | instskip(SKIP_1) | instid1(VALU_DEP_2)
	v_fmac_f32_e32 v21, v22, v19
	v_mov_b32_e32 v22, v18
	v_fma_f32 v17, -v17, v21, v20
	s_delay_alu instid0(VALU_DEP_1) | instskip(NEXT) | instid1(VALU_DEP_1)
	v_div_fmas_f32 v17, v17, v19, v21
	v_div_fixup_f32 v19, v17, s7, v0
	s_delay_alu instid0(VALU_DEP_1) | instskip(SKIP_2) | instid1(VALU_DEP_3)
	v_lshrrev_b32_e32 v20, 24, v19
	v_and_b32_e32 v21, 0x7f800000, v19
	v_and_b32_e32 v17, 0x7fffff, v19
	;; [unrolled: 1-line block ×3, first 2 shown]
	s_delay_alu instid0(VALU_DEP_3) | instskip(NEXT) | instid1(VALU_DEP_2)
	v_cmp_ne_u64_e32 vcc_lo, 0x7f800000, v[21:22]
	v_or_b32_e32 v21, 0x7e, v0
	s_and_saveexec_b32 s2, vcc_lo
	s_delay_alu instid0(SALU_CYCLE_1)
	s_xor_b32 s28, exec_lo, s2
	s_cbranch_execz .LBB4_42
; %bb.31:                               ;   in Loop: Header=BB4_30 Depth=1
	v_dual_mov_b32 v29, v18 :: v_dual_and_b32 v28, 0x7fffffff, v19
	s_mov_b32 s29, exec_lo
	s_delay_alu instid0(VALU_DEP_1)
	v_cmpx_gt_u64_e32 0x43e00001, v[28:29]
	s_cbranch_execz .LBB4_41
; %bb.32:                               ;   in Loop: Header=BB4_30 Depth=1
	v_mov_b32_e32 v21, 0
	s_mov_b32 s30, exec_lo
	v_cmpx_ne_u32_e32 0, v19
	s_cbranch_execz .LBB4_40
; %bb.33:                               ;   in Loop: Header=BB4_30 Depth=1
	v_bfe_u32 v28, v19, 23, 8
	v_or_b32_e32 v21, 0x800000, v17
	s_delay_alu instid0(VALU_DEP_2) | instskip(SKIP_1) | instid1(VALU_DEP_2)
	v_sub_nc_u32_e32 v19, 0x79, v28
	v_cmp_gt_u32_e32 vcc_lo, 0x7a, v28
	v_cndmask_b32_e32 v19, 0, v19, vcc_lo
	v_cmp_eq_u32_e32 vcc_lo, 0, v28
	s_delay_alu instid0(VALU_DEP_2) | instskip(SKIP_1) | instid1(VALU_DEP_2)
	v_cndmask_b32_e64 v29, v19, 0x78, vcc_lo
	v_cndmask_b32_e32 v17, v21, v17, vcc_lo
	v_add_nc_u32_e32 v19, 20, v29
	v_add_nc_u32_e32 v21, 19, v29
	s_delay_alu instid0(VALU_DEP_2) | instskip(NEXT) | instid1(VALU_DEP_2)
	v_lshlrev_b64 v[19:20], v19, -1
	v_lshlrev_b64 v[21:22], v21, 1
	s_delay_alu instid0(VALU_DEP_2) | instskip(NEXT) | instid1(VALU_DEP_3)
	v_not_b32_e32 v20, v20
	v_not_b32_e32 v19, v19
	s_delay_alu instid0(VALU_DEP_2) | instskip(NEXT) | instid1(VALU_DEP_2)
	v_and_b32_e32 v31, 0, v20
	v_and_b32_e32 v30, v17, v19
	v_lshrrev_b64 v[19:20], v29, v[17:18]
	s_delay_alu instid0(VALU_DEP_2) | instskip(NEXT) | instid1(VALU_DEP_2)
	v_cmp_eq_u64_e64 s2, v[30:31], v[21:22]
	v_dual_mov_b32 v22, v20 :: v_dual_mov_b32 v21, v19
	s_delay_alu instid0(VALU_DEP_2)
	s_and_saveexec_b32 s31, s2
; %bb.34:                               ;   in Loop: Header=BB4_30 Depth=1
	v_bfe_u32 v17, v19, 20, 1
	s_delay_alu instid0(VALU_DEP_1) | instskip(NEXT) | instid1(VALU_DEP_1)
	v_add_co_u32 v17, s2, v19, v17
	v_add_co_u32 v21, s2, v17, -1
; %bb.35:                               ;   in Loop: Header=BB4_30 Depth=1
	s_or_b32 exec_lo, exec_lo, s31
	v_add_nc_u32_e32 v17, 0xffffff81, v28
	v_lshrrev_b32_e32 v22, 23, v19
	s_mov_b32 s2, exec_lo
	s_delay_alu instid0(VALU_DEP_2) | instskip(NEXT) | instid1(VALU_DEP_1)
	v_cndmask_b32_e64 v17, v17, 0xffffff82, vcc_lo
	v_add3_u32 v22, v29, v17, v22
	v_and_b32_e32 v17, 0xfffff, v21
	s_delay_alu instid0(VALU_DEP_2) | instskip(NEXT) | instid1(VALU_DEP_2)
	v_add_nc_u32_e32 v21, 6, v22
	v_add_co_u32 v19, vcc_lo, v17, v19
	v_add_co_ci_u32_e32 v20, vcc_lo, 0, v20, vcc_lo
                                        ; implicit-def: $vgpr17
	s_delay_alu instid0(VALU_DEP_3)
	v_cmpx_ne_u32_e32 0, v21
	s_xor_b32 s2, exec_lo, s2
; %bb.36:                               ;   in Loop: Header=BB4_30 Depth=1
	s_delay_alu instid0(VALU_DEP_2) | instskip(SKIP_1) | instid1(VALU_DEP_1)
	v_cmp_lt_u64_e32 vcc_lo, 0xffffff, v[19:20]
	v_add_nc_u32_e32 v17, 7, v22
	v_cndmask_b32_e32 v17, v21, v17, vcc_lo
	v_cndmask_b32_e64 v21, 0, 1, vcc_lo
	s_delay_alu instid0(VALU_DEP_1)
	v_lshrrev_b64 v[19:20], v21, v[19:20]
; %bb.37:                               ;   in Loop: Header=BB4_30 Depth=1
	s_and_not1_saveexec_b32 s2, s2
; %bb.38:                               ;   in Loop: Header=BB4_30 Depth=1
	s_delay_alu instid0(VALU_DEP_1)
	v_bfe_u32 v17, v19, 23, 1
; %bb.39:                               ;   in Loop: Header=BB4_30 Depth=1
	s_or_b32 exec_lo, exec_lo, s2
	s_delay_alu instid0(VALU_DEP_2) | instskip(NEXT) | instid1(VALU_DEP_2)
	v_lshrrev_b64 v[19:20], 20, v[19:20]
	v_cmp_gt_i32_e32 vcc_lo, 16, v17
	v_min_i32_e32 v21, 15, v17
	v_cmp_eq_u32_e64 s2, 0, v17
	s_delay_alu instid0(VALU_DEP_4) | instskip(NEXT) | instid1(VALU_DEP_3)
	v_dual_cndmask_b32 v20, 0, v20 :: v_dual_cndmask_b32 v19, 7, v19
	v_lshlrev_b32_e32 v21, 3, v21
	s_delay_alu instid0(VALU_DEP_2) | instskip(NEXT) | instid1(VALU_DEP_2)
	v_cmp_eq_u64_e32 vcc_lo, 0, v[19:20]
	v_and_or_b32 v17, v19, 7, v21
	s_and_b32 s2, s2, vcc_lo
	s_delay_alu instid0(VALU_DEP_1) | instid1(SALU_CYCLE_1)
	v_cndmask_b32_e64 v17, v17, 0, s2
	s_delay_alu instid0(VALU_DEP_1)
	v_or_b32_e32 v21, v17, v0
.LBB4_40:                               ;   in Loop: Header=BB4_30 Depth=1
	s_or_b32 exec_lo, exec_lo, s30
.LBB4_41:                               ;   in Loop: Header=BB4_30 Depth=1
	s_delay_alu instid0(SALU_CYCLE_1)
	s_or_b32 exec_lo, exec_lo, s29
                                        ; implicit-def: $vgpr20
.LBB4_42:                               ;   in Loop: Header=BB4_30 Depth=1
	s_and_not1_saveexec_b32 s2, s28
; %bb.43:                               ;   in Loop: Header=BB4_30 Depth=1
	v_cmp_eq_u64_e32 vcc_lo, 0, v[17:18]
	v_or_b32_e32 v0, 0x7f, v20
	s_delay_alu instid0(VALU_DEP_1)
	v_cndmask_b32_e32 v21, v0, v21, vcc_lo
; %bb.44:                               ;   in Loop: Header=BB4_30 Depth=1
	s_or_b32 exec_lo, exec_lo, s2
	v_div_scale_f32 v0, null, s7, s7, v1
	s_mov_b32 s2, exec_lo
	s_delay_alu instid0(VALU_DEP_1) | instskip(SKIP_2) | instid1(VALU_DEP_1)
	v_rcp_f32_e32 v17, v0
	s_waitcnt_depctr 0xfff
	v_fma_f32 v19, -v0, v17, 1.0
	v_fmac_f32_e32 v17, v19, v17
	v_div_scale_f32 v19, vcc_lo, v1, s7, v1
	s_delay_alu instid0(VALU_DEP_1) | instskip(NEXT) | instid1(VALU_DEP_1)
	v_mul_f32_e32 v20, v19, v17
	v_fma_f32 v22, -v0, v20, v19
	s_delay_alu instid0(VALU_DEP_1) | instskip(NEXT) | instid1(VALU_DEP_1)
	v_fmac_f32_e32 v20, v22, v17
	v_fma_f32 v0, -v0, v20, v19
	s_delay_alu instid0(VALU_DEP_1) | instskip(SKIP_1) | instid1(VALU_DEP_2)
	v_div_fmas_f32 v0, v0, v17, v20
	v_mov_b32_e32 v20, v18
	v_div_fixup_f32 v0, v0, s7, v1
	s_delay_alu instid0(VALU_DEP_1) | instskip(SKIP_2) | instid1(VALU_DEP_2)
	v_and_b32_e32 v17, 0x7fffff, v0
	v_lshrrev_b32_e32 v1, 24, v0
	v_and_b32_e32 v19, 0x7f800000, v0
	v_and_b32_e32 v28, 0x80, v1
	s_delay_alu instid0(VALU_DEP_1) | instskip(NEXT) | instid1(VALU_DEP_3)
	v_or_b32_e32 v22, 0x7e, v28
	v_cmpx_ne_u64_e32 0x7f800000, v[19:20]
	s_xor_b32 s28, exec_lo, s2
	s_cbranch_execz .LBB4_56
; %bb.45:                               ;   in Loop: Header=BB4_30 Depth=1
	v_dual_mov_b32 v20, v18 :: v_dual_and_b32 v19, 0x7fffffff, v0
	s_mov_b32 s29, exec_lo
	s_delay_alu instid0(VALU_DEP_1)
	v_cmpx_gt_u64_e32 0x43e00001, v[19:20]
	s_cbranch_execz .LBB4_55
; %bb.46:                               ;   in Loop: Header=BB4_30 Depth=1
	v_mov_b32_e32 v22, 0
	s_mov_b32 s30, exec_lo
	v_cmpx_ne_u32_e32 0, v0
	s_cbranch_execz .LBB4_54
; %bb.47:                               ;   in Loop: Header=BB4_30 Depth=1
	v_bfe_u32 v22, v0, 23, 8
	v_or_b32_e32 v19, 0x800000, v17
	s_delay_alu instid0(VALU_DEP_2) | instskip(SKIP_1) | instid1(VALU_DEP_2)
	v_sub_nc_u32_e32 v0, 0x79, v22
	v_cmp_gt_u32_e32 vcc_lo, 0x7a, v22
	v_cndmask_b32_e32 v0, 0, v0, vcc_lo
	v_cmp_eq_u32_e32 vcc_lo, 0, v22
	v_cndmask_b32_e32 v17, v19, v17, vcc_lo
	s_delay_alu instid0(VALU_DEP_3) | instskip(NEXT) | instid1(VALU_DEP_1)
	v_cndmask_b32_e64 v29, v0, 0x78, vcc_lo
	v_add_nc_u32_e32 v0, 20, v29
	v_add_nc_u32_e32 v19, 19, v29
	s_delay_alu instid0(VALU_DEP_2) | instskip(NEXT) | instid1(VALU_DEP_2)
	v_lshlrev_b64 v[0:1], v0, -1
	v_lshlrev_b64 v[19:20], v19, 1
	s_delay_alu instid0(VALU_DEP_2) | instskip(NEXT) | instid1(VALU_DEP_3)
	v_not_b32_e32 v1, v1
	v_not_b32_e32 v0, v0
	s_delay_alu instid0(VALU_DEP_2) | instskip(NEXT) | instid1(VALU_DEP_2)
	v_and_b32_e32 v31, 0, v1
	v_and_b32_e32 v30, v17, v0
	v_lshrrev_b64 v[0:1], v29, v[17:18]
	s_delay_alu instid0(VALU_DEP_2) | instskip(NEXT) | instid1(VALU_DEP_2)
	v_cmp_eq_u64_e64 s2, v[30:31], v[19:20]
	v_dual_mov_b32 v20, v1 :: v_dual_mov_b32 v19, v0
	s_delay_alu instid0(VALU_DEP_2)
	s_and_saveexec_b32 s31, s2
; %bb.48:                               ;   in Loop: Header=BB4_30 Depth=1
	v_bfe_u32 v17, v0, 20, 1
	s_delay_alu instid0(VALU_DEP_1) | instskip(NEXT) | instid1(VALU_DEP_1)
	v_add_co_u32 v17, s2, v0, v17
	v_add_co_u32 v19, s2, v17, -1
; %bb.49:                               ;   in Loop: Header=BB4_30 Depth=1
	s_or_b32 exec_lo, exec_lo, s31
	v_add_nc_u32_e32 v17, 0xffffff81, v22
	v_lshrrev_b32_e32 v20, 23, v0
	s_mov_b32 s2, exec_lo
	s_delay_alu instid0(VALU_DEP_2) | instskip(NEXT) | instid1(VALU_DEP_1)
	v_cndmask_b32_e64 v17, v17, 0xffffff82, vcc_lo
	v_add3_u32 v20, v29, v17, v20
	v_and_b32_e32 v17, 0xfffff, v19
	s_delay_alu instid0(VALU_DEP_2) | instskip(NEXT) | instid1(VALU_DEP_2)
	v_add_nc_u32_e32 v19, 6, v20
	v_add_co_u32 v0, vcc_lo, v17, v0
	v_add_co_ci_u32_e32 v1, vcc_lo, 0, v1, vcc_lo
                                        ; implicit-def: $vgpr17
	s_delay_alu instid0(VALU_DEP_3)
	v_cmpx_ne_u32_e32 0, v19
	s_xor_b32 s2, exec_lo, s2
; %bb.50:                               ;   in Loop: Header=BB4_30 Depth=1
	s_delay_alu instid0(VALU_DEP_2) | instskip(SKIP_1) | instid1(VALU_DEP_1)
	v_cmp_lt_u64_e32 vcc_lo, 0xffffff, v[0:1]
	v_add_nc_u32_e32 v17, 7, v20
	v_cndmask_b32_e32 v17, v19, v17, vcc_lo
	v_cndmask_b32_e64 v19, 0, 1, vcc_lo
	s_delay_alu instid0(VALU_DEP_1)
	v_lshrrev_b64 v[0:1], v19, v[0:1]
; %bb.51:                               ;   in Loop: Header=BB4_30 Depth=1
	s_and_not1_saveexec_b32 s2, s2
; %bb.52:                               ;   in Loop: Header=BB4_30 Depth=1
	s_delay_alu instid0(VALU_DEP_1)
	v_bfe_u32 v17, v0, 23, 1
; %bb.53:                               ;   in Loop: Header=BB4_30 Depth=1
	s_or_b32 exec_lo, exec_lo, s2
	s_delay_alu instid0(VALU_DEP_2) | instskip(NEXT) | instid1(VALU_DEP_2)
	v_lshrrev_b64 v[0:1], 20, v[0:1]
	v_cmp_gt_i32_e32 vcc_lo, 16, v17
	v_min_i32_e32 v19, 15, v17
	v_cmp_eq_u32_e64 s2, 0, v17
	s_delay_alu instid0(VALU_DEP_4) | instskip(NEXT) | instid1(VALU_DEP_3)
	v_dual_cndmask_b32 v1, 0, v1 :: v_dual_cndmask_b32 v0, 7, v0
	v_lshlrev_b32_e32 v19, 3, v19
	s_delay_alu instid0(VALU_DEP_2) | instskip(NEXT) | instid1(VALU_DEP_2)
	v_cmp_eq_u64_e32 vcc_lo, 0, v[0:1]
	v_and_or_b32 v0, v0, 7, v19
	s_and_b32 s2, s2, vcc_lo
	s_delay_alu instid0(VALU_DEP_1) | instid1(SALU_CYCLE_1)
	v_cndmask_b32_e64 v0, v0, 0, s2
	s_delay_alu instid0(VALU_DEP_1)
	v_or_b32_e32 v22, v0, v28
.LBB4_54:                               ;   in Loop: Header=BB4_30 Depth=1
	s_or_b32 exec_lo, exec_lo, s30
.LBB4_55:                               ;   in Loop: Header=BB4_30 Depth=1
	s_delay_alu instid0(SALU_CYCLE_1)
	s_or_b32 exec_lo, exec_lo, s29
                                        ; implicit-def: $vgpr1
.LBB4_56:                               ;   in Loop: Header=BB4_30 Depth=1
	s_and_not1_saveexec_b32 s2, s28
; %bb.57:                               ;   in Loop: Header=BB4_30 Depth=1
	v_cmp_eq_u64_e32 vcc_lo, 0, v[17:18]
	v_or_b32_e32 v0, 0x7f, v1
	s_delay_alu instid0(VALU_DEP_1)
	v_cndmask_b32_e32 v22, v0, v22, vcc_lo
; %bb.58:                               ;   in Loop: Header=BB4_30 Depth=1
	s_or_b32 exec_lo, exec_lo, s2
	v_div_scale_f32 v0, null, s7, s7, v2
	s_delay_alu instid0(VALU_DEP_1) | instskip(SKIP_2) | instid1(VALU_DEP_1)
	v_rcp_f32_e32 v1, v0
	s_waitcnt_depctr 0xfff
	v_fma_f32 v17, -v0, v1, 1.0
	v_fmac_f32_e32 v1, v17, v1
	v_div_scale_f32 v17, vcc_lo, v2, s7, v2
	s_delay_alu instid0(VALU_DEP_1) | instskip(NEXT) | instid1(VALU_DEP_1)
	v_mul_f32_e32 v19, v17, v1
	v_fma_f32 v20, -v0, v19, v17
	s_delay_alu instid0(VALU_DEP_1) | instskip(NEXT) | instid1(VALU_DEP_1)
	v_dual_fmac_f32 v19, v20, v1 :: v_dual_mov_b32 v20, v18
	v_fma_f32 v0, -v0, v19, v17
	s_delay_alu instid0(VALU_DEP_1) | instskip(NEXT) | instid1(VALU_DEP_1)
	v_div_fmas_f32 v0, v0, v1, v19
	v_div_fixup_f32 v0, v0, s7, v2
	s_delay_alu instid0(VALU_DEP_1) | instskip(SKIP_2) | instid1(VALU_DEP_3)
	v_lshrrev_b32_e32 v1, 24, v0
	v_and_b32_e32 v19, 0x7f800000, v0
	v_and_b32_e32 v17, 0x7fffff, v0
	;; [unrolled: 1-line block ×3, first 2 shown]
	s_delay_alu instid0(VALU_DEP_3) | instskip(NEXT) | instid1(VALU_DEP_2)
	v_cmp_ne_u64_e32 vcc_lo, 0x7f800000, v[19:20]
	v_or_b32_e32 v19, 0x7e, v2
	s_and_saveexec_b32 s2, vcc_lo
	s_delay_alu instid0(SALU_CYCLE_1)
	s_xor_b32 s28, exec_lo, s2
	s_cbranch_execz .LBB4_70
; %bb.59:                               ;   in Loop: Header=BB4_30 Depth=1
	v_dual_mov_b32 v29, v18 :: v_dual_and_b32 v28, 0x7fffffff, v0
	s_mov_b32 s29, exec_lo
	s_delay_alu instid0(VALU_DEP_1)
	v_cmpx_gt_u64_e32 0x43e00001, v[28:29]
	s_cbranch_execz .LBB4_69
; %bb.60:                               ;   in Loop: Header=BB4_30 Depth=1
	v_mov_b32_e32 v19, 0
	s_mov_b32 s30, exec_lo
	v_cmpx_ne_u32_e32 0, v0
	s_cbranch_execz .LBB4_68
; %bb.61:                               ;   in Loop: Header=BB4_30 Depth=1
	v_bfe_u32 v28, v0, 23, 8
	v_or_b32_e32 v19, 0x800000, v17
	s_delay_alu instid0(VALU_DEP_2) | instskip(SKIP_1) | instid1(VALU_DEP_2)
	v_sub_nc_u32_e32 v0, 0x79, v28
	v_cmp_gt_u32_e32 vcc_lo, 0x7a, v28
	v_cndmask_b32_e32 v0, 0, v0, vcc_lo
	v_cmp_eq_u32_e32 vcc_lo, 0, v28
	v_cndmask_b32_e32 v17, v19, v17, vcc_lo
	s_delay_alu instid0(VALU_DEP_3) | instskip(NEXT) | instid1(VALU_DEP_1)
	v_cndmask_b32_e64 v29, v0, 0x78, vcc_lo
	v_add_nc_u32_e32 v0, 20, v29
	v_add_nc_u32_e32 v19, 19, v29
	s_delay_alu instid0(VALU_DEP_2) | instskip(NEXT) | instid1(VALU_DEP_2)
	v_lshlrev_b64 v[0:1], v0, -1
	v_lshlrev_b64 v[19:20], v19, 1
	s_delay_alu instid0(VALU_DEP_2) | instskip(NEXT) | instid1(VALU_DEP_3)
	v_not_b32_e32 v1, v1
	v_not_b32_e32 v0, v0
	s_delay_alu instid0(VALU_DEP_2) | instskip(NEXT) | instid1(VALU_DEP_2)
	v_and_b32_e32 v31, 0, v1
	v_and_b32_e32 v30, v17, v0
	v_lshrrev_b64 v[0:1], v29, v[17:18]
	s_delay_alu instid0(VALU_DEP_2) | instskip(NEXT) | instid1(VALU_DEP_2)
	v_cmp_eq_u64_e64 s2, v[30:31], v[19:20]
	v_dual_mov_b32 v20, v1 :: v_dual_mov_b32 v19, v0
	s_delay_alu instid0(VALU_DEP_2)
	s_and_saveexec_b32 s31, s2
; %bb.62:                               ;   in Loop: Header=BB4_30 Depth=1
	v_bfe_u32 v17, v0, 20, 1
	s_delay_alu instid0(VALU_DEP_1) | instskip(NEXT) | instid1(VALU_DEP_1)
	v_add_co_u32 v17, s2, v0, v17
	v_add_co_u32 v19, s2, v17, -1
; %bb.63:                               ;   in Loop: Header=BB4_30 Depth=1
	s_or_b32 exec_lo, exec_lo, s31
	v_add_nc_u32_e32 v17, 0xffffff81, v28
	v_lshrrev_b32_e32 v20, 23, v0
	s_mov_b32 s2, exec_lo
	s_delay_alu instid0(VALU_DEP_2) | instskip(NEXT) | instid1(VALU_DEP_1)
	v_cndmask_b32_e64 v17, v17, 0xffffff82, vcc_lo
	v_add3_u32 v20, v29, v17, v20
	v_and_b32_e32 v17, 0xfffff, v19
	s_delay_alu instid0(VALU_DEP_2) | instskip(NEXT) | instid1(VALU_DEP_2)
	v_add_nc_u32_e32 v19, 6, v20
	v_add_co_u32 v0, vcc_lo, v17, v0
	v_add_co_ci_u32_e32 v1, vcc_lo, 0, v1, vcc_lo
                                        ; implicit-def: $vgpr17
	s_delay_alu instid0(VALU_DEP_3)
	v_cmpx_ne_u32_e32 0, v19
	s_xor_b32 s2, exec_lo, s2
; %bb.64:                               ;   in Loop: Header=BB4_30 Depth=1
	s_delay_alu instid0(VALU_DEP_2) | instskip(SKIP_1) | instid1(VALU_DEP_1)
	v_cmp_lt_u64_e32 vcc_lo, 0xffffff, v[0:1]
	v_add_nc_u32_e32 v17, 7, v20
	v_cndmask_b32_e32 v17, v19, v17, vcc_lo
	v_cndmask_b32_e64 v19, 0, 1, vcc_lo
	s_delay_alu instid0(VALU_DEP_1)
	v_lshrrev_b64 v[0:1], v19, v[0:1]
; %bb.65:                               ;   in Loop: Header=BB4_30 Depth=1
	s_and_not1_saveexec_b32 s2, s2
; %bb.66:                               ;   in Loop: Header=BB4_30 Depth=1
	s_delay_alu instid0(VALU_DEP_1)
	v_bfe_u32 v17, v0, 23, 1
; %bb.67:                               ;   in Loop: Header=BB4_30 Depth=1
	s_or_b32 exec_lo, exec_lo, s2
	s_delay_alu instid0(VALU_DEP_2) | instskip(NEXT) | instid1(VALU_DEP_2)
	v_lshrrev_b64 v[0:1], 20, v[0:1]
	v_cmp_gt_i32_e32 vcc_lo, 16, v17
	v_min_i32_e32 v19, 15, v17
	v_cmp_eq_u32_e64 s2, 0, v17
	s_delay_alu instid0(VALU_DEP_4) | instskip(NEXT) | instid1(VALU_DEP_3)
	v_dual_cndmask_b32 v1, 0, v1 :: v_dual_cndmask_b32 v0, 7, v0
	v_lshlrev_b32_e32 v19, 3, v19
	s_delay_alu instid0(VALU_DEP_2) | instskip(NEXT) | instid1(VALU_DEP_2)
	v_cmp_eq_u64_e32 vcc_lo, 0, v[0:1]
	v_and_or_b32 v0, v0, 7, v19
	s_and_b32 s2, s2, vcc_lo
	s_delay_alu instid0(VALU_DEP_1) | instid1(SALU_CYCLE_1)
	v_cndmask_b32_e64 v0, v0, 0, s2
	s_delay_alu instid0(VALU_DEP_1)
	v_or_b32_e32 v19, v0, v2
.LBB4_68:                               ;   in Loop: Header=BB4_30 Depth=1
	s_or_b32 exec_lo, exec_lo, s30
.LBB4_69:                               ;   in Loop: Header=BB4_30 Depth=1
	s_delay_alu instid0(SALU_CYCLE_1)
	s_or_b32 exec_lo, exec_lo, s29
                                        ; implicit-def: $vgpr1
.LBB4_70:                               ;   in Loop: Header=BB4_30 Depth=1
	s_and_not1_saveexec_b32 s2, s28
; %bb.71:                               ;   in Loop: Header=BB4_30 Depth=1
	v_cmp_eq_u64_e32 vcc_lo, 0, v[17:18]
	v_or_b32_e32 v0, 0x7f, v1
	s_delay_alu instid0(VALU_DEP_1)
	v_cndmask_b32_e32 v19, v0, v19, vcc_lo
; %bb.72:                               ;   in Loop: Header=BB4_30 Depth=1
	s_or_b32 exec_lo, exec_lo, s2
	v_div_scale_f32 v0, null, s7, s7, v3
	s_mov_b32 s2, exec_lo
	v_mov_b32_e32 v29, v18
	s_delay_alu instid0(VALU_DEP_2) | instskip(SKIP_2) | instid1(VALU_DEP_1)
	v_rcp_f32_e32 v1, v0
	s_waitcnt_depctr 0xfff
	v_fma_f32 v2, -v0, v1, 1.0
	v_fmac_f32_e32 v1, v2, v1
	v_div_scale_f32 v2, vcc_lo, v3, s7, v3
	s_delay_alu instid0(VALU_DEP_1) | instskip(NEXT) | instid1(VALU_DEP_1)
	v_mul_f32_e32 v17, v2, v1
	v_fma_f32 v20, -v0, v17, v2
	s_delay_alu instid0(VALU_DEP_1) | instskip(NEXT) | instid1(VALU_DEP_1)
	v_fmac_f32_e32 v17, v20, v1
	v_fma_f32 v0, -v0, v17, v2
	s_delay_alu instid0(VALU_DEP_1) | instskip(NEXT) | instid1(VALU_DEP_1)
	v_div_fmas_f32 v0, v0, v1, v17
	v_div_fixup_f32 v1, v0, s7, v3
	s_delay_alu instid0(VALU_DEP_1) | instskip(SKIP_2) | instid1(VALU_DEP_3)
	v_lshrrev_b32_e32 v2, 24, v1
	v_and_b32_e32 v28, 0x7f800000, v1
	v_and_b32_e32 v17, 0x7fffff, v1
	v_and_b32_e32 v20, 0x80, v2
	s_delay_alu instid0(VALU_DEP_1) | instskip(NEXT) | instid1(VALU_DEP_4)
	v_or_b32_e32 v0, 0x7e, v20
	v_cmpx_ne_u64_e32 0x7f800000, v[28:29]
	s_xor_b32 s28, exec_lo, s2
	s_cbranch_execz .LBB4_84
; %bb.73:                               ;   in Loop: Header=BB4_30 Depth=1
	v_dual_mov_b32 v3, v18 :: v_dual_and_b32 v2, 0x7fffffff, v1
	s_mov_b32 s29, exec_lo
	s_delay_alu instid0(VALU_DEP_1)
	v_cmpx_gt_u64_e32 0x43e00001, v[2:3]
	s_cbranch_execz .LBB4_83
; %bb.74:                               ;   in Loop: Header=BB4_30 Depth=1
	v_mov_b32_e32 v0, 0
	s_mov_b32 s30, exec_lo
	v_cmpx_ne_u32_e32 0, v1
	s_cbranch_execz .LBB4_82
; %bb.75:                               ;   in Loop: Header=BB4_30 Depth=1
	v_bfe_u32 v28, v1, 23, 8
	v_or_b32_e32 v2, 0x800000, v17
	s_delay_alu instid0(VALU_DEP_2) | instskip(SKIP_1) | instid1(VALU_DEP_2)
	v_sub_nc_u32_e32 v0, 0x79, v28
	v_cmp_gt_u32_e32 vcc_lo, 0x7a, v28
	v_cndmask_b32_e32 v0, 0, v0, vcc_lo
	v_cmp_eq_u32_e32 vcc_lo, 0, v28
	v_cndmask_b32_e32 v17, v2, v17, vcc_lo
	s_delay_alu instid0(VALU_DEP_3) | instskip(NEXT) | instid1(VALU_DEP_1)
	v_cndmask_b32_e64 v29, v0, 0x78, vcc_lo
	v_add_nc_u32_e32 v0, 20, v29
	v_add_nc_u32_e32 v2, 19, v29
	s_delay_alu instid0(VALU_DEP_2) | instskip(NEXT) | instid1(VALU_DEP_2)
	v_lshlrev_b64 v[0:1], v0, -1
	v_lshlrev_b64 v[2:3], v2, 1
	s_delay_alu instid0(VALU_DEP_2) | instskip(NEXT) | instid1(VALU_DEP_3)
	v_not_b32_e32 v1, v1
	v_not_b32_e32 v0, v0
	s_delay_alu instid0(VALU_DEP_2) | instskip(NEXT) | instid1(VALU_DEP_2)
	v_and_b32_e32 v31, 0, v1
	v_and_b32_e32 v30, v17, v0
	v_lshrrev_b64 v[0:1], v29, v[17:18]
	s_delay_alu instid0(VALU_DEP_2) | instskip(NEXT) | instid1(VALU_DEP_2)
	v_cmp_eq_u64_e64 s2, v[30:31], v[2:3]
	v_dual_mov_b32 v3, v1 :: v_dual_mov_b32 v2, v0
	s_delay_alu instid0(VALU_DEP_2)
	s_and_saveexec_b32 s31, s2
; %bb.76:                               ;   in Loop: Header=BB4_30 Depth=1
	v_bfe_u32 v2, v0, 20, 1
	s_delay_alu instid0(VALU_DEP_1) | instskip(NEXT) | instid1(VALU_DEP_1)
	v_add_co_u32 v2, s2, v0, v2
	v_add_co_u32 v2, s2, v2, -1
; %bb.77:                               ;   in Loop: Header=BB4_30 Depth=1
	s_or_b32 exec_lo, exec_lo, s31
	v_add_nc_u32_e32 v3, 0xffffff81, v28
	v_lshrrev_b32_e32 v17, 23, v0
	s_delay_alu instid0(VALU_DEP_3) | instskip(SKIP_1) | instid1(VALU_DEP_3)
	v_and_b32_e32 v2, 0xfffff, v2
	s_mov_b32 s2, exec_lo
	v_cndmask_b32_e64 v3, v3, 0xffffff82, vcc_lo
	s_delay_alu instid0(VALU_DEP_2) | instskip(SKIP_1) | instid1(VALU_DEP_3)
	v_add_co_u32 v0, vcc_lo, v2, v0
	v_add_co_ci_u32_e32 v1, vcc_lo, 0, v1, vcc_lo
	v_add3_u32 v3, v29, v3, v17
                                        ; implicit-def: $vgpr2
	s_delay_alu instid0(VALU_DEP_1) | instskip(NEXT) | instid1(VALU_DEP_1)
	v_add_nc_u32_e32 v17, 6, v3
	v_cmpx_ne_u32_e32 0, v17
	s_xor_b32 s2, exec_lo, s2
; %bb.78:                               ;   in Loop: Header=BB4_30 Depth=1
	v_cmp_lt_u64_e32 vcc_lo, 0xffffff, v[0:1]
	v_add_nc_u32_e32 v2, 7, v3
	v_cndmask_b32_e64 v3, 0, 1, vcc_lo
	s_delay_alu instid0(VALU_DEP_2) | instskip(NEXT) | instid1(VALU_DEP_2)
	v_cndmask_b32_e32 v2, v17, v2, vcc_lo
	v_lshrrev_b64 v[0:1], v3, v[0:1]
; %bb.79:                               ;   in Loop: Header=BB4_30 Depth=1
	s_and_not1_saveexec_b32 s2, s2
; %bb.80:                               ;   in Loop: Header=BB4_30 Depth=1
	s_delay_alu instid0(VALU_DEP_1)
	v_bfe_u32 v2, v0, 23, 1
; %bb.81:                               ;   in Loop: Header=BB4_30 Depth=1
	s_or_b32 exec_lo, exec_lo, s2
	s_delay_alu instid0(VALU_DEP_2) | instskip(NEXT) | instid1(VALU_DEP_2)
	v_lshrrev_b64 v[0:1], 20, v[0:1]
	v_cmp_gt_i32_e32 vcc_lo, 16, v2
	v_min_i32_e32 v3, 15, v2
	v_cmp_eq_u32_e64 s2, 0, v2
	s_delay_alu instid0(VALU_DEP_4) | instskip(NEXT) | instid1(VALU_DEP_3)
	v_dual_cndmask_b32 v1, 0, v1 :: v_dual_cndmask_b32 v0, 7, v0
	v_lshlrev_b32_e32 v3, 3, v3
	s_delay_alu instid0(VALU_DEP_2) | instskip(NEXT) | instid1(VALU_DEP_2)
	v_cmp_eq_u64_e32 vcc_lo, 0, v[0:1]
	v_and_or_b32 v0, v0, 7, v3
	s_and_b32 s2, s2, vcc_lo
	s_delay_alu instid0(VALU_DEP_1) | instid1(SALU_CYCLE_1)
	v_cndmask_b32_e64 v0, v0, 0, s2
	s_delay_alu instid0(VALU_DEP_1)
	v_or_b32_e32 v0, v0, v20
.LBB4_82:                               ;   in Loop: Header=BB4_30 Depth=1
	s_or_b32 exec_lo, exec_lo, s30
.LBB4_83:                               ;   in Loop: Header=BB4_30 Depth=1
	s_delay_alu instid0(SALU_CYCLE_1)
	s_or_b32 exec_lo, exec_lo, s29
                                        ; implicit-def: $vgpr2
.LBB4_84:                               ;   in Loop: Header=BB4_30 Depth=1
	s_and_not1_saveexec_b32 s2, s28
	s_cbranch_execz .LBB4_29
; %bb.85:                               ;   in Loop: Header=BB4_30 Depth=1
	v_cmp_eq_u64_e32 vcc_lo, 0, v[17:18]
	v_or_b32_e32 v1, 0x7f, v2
	s_delay_alu instid0(VALU_DEP_1)
	v_cndmask_b32_e32 v0, v1, v0, vcc_lo
	s_branch .LBB4_29
.LBB4_86:
	s_or_b32 exec_lo, exec_lo, s10
	s_delay_alu instid0(VALU_DEP_2) | instskip(SKIP_1) | instid1(VALU_DEP_1)
	v_lshlrev_b32_e32 v0, 2, v26
	s_mov_b32 s10, exec_lo
	v_cmpx_lt_i32_e64 v0, v25
	s_cbranch_execz .LBB4_107
; %bb.87:
	s_add_u32 s2, s15, -1
	s_addc_u32 s11, s4, -1
	s_mul_hi_u32 s28, s20, s2
	s_mul_i32 s11, s20, s11
	v_lshlrev_b64 v[1:2], 2, v[11:12]
	s_add_i32 s11, s28, s11
	s_mul_i32 s28, s20, s2
	s_mul_i32 s2, s21, s2
	;; [unrolled: 1-line block ×3, first 2 shown]
	s_mul_hi_u32 s30, s28, s18
	s_add_i32 s2, s11, s2
	s_add_i32 s11, s30, s29
	s_mul_i32 s2, s2, s18
	s_mul_i32 s28, s28, s18
	s_add_i32 s11, s11, s2
	v_add_co_u32 v1, vcc_lo, s26, v1
	s_add_u32 s2, s16, s28
	v_add_co_ci_u32_e32 v13, vcc_lo, s27, v2, vcc_lo
	v_mad_u64_u32 v[2:3], null, s2, s6, v[11:12]
	s_delay_alu instid0(VALU_DEP_3) | instskip(SKIP_1) | instid1(VALU_DEP_3)
	v_add_co_u32 v1, vcc_lo, v1, v7
	s_addc_u32 s11, s17, s11
	v_add_co_ci_u32_e32 v11, vcc_lo, v13, v8, vcc_lo
	s_mul_i32 s11, s11, s6
	s_mul_i32 s2, s2, s8
	v_add_co_u32 v12, vcc_lo, v1, v4
	s_delay_alu instid0(VALU_DEP_4) | instskip(SKIP_3) | instid1(VALU_DEP_4)
	v_add3_u32 v3, s2, s11, v3
	v_ashrrev_i32_e32 v1, 31, v0
	v_add_co_ci_u32_e32 v11, vcc_lo, v11, v5, vcc_lo
	v_add_co_u32 v13, vcc_lo, v2, v9
	v_add_co_ci_u32_e32 v14, vcc_lo, v3, v10, vcc_lo
	s_delay_alu instid0(VALU_DEP_4) | instskip(NEXT) | instid1(VALU_DEP_3)
	v_lshlrev_b64 v[2:3], 2, v[0:1]
	v_add_co_u32 v13, vcc_lo, v13, v23
	s_delay_alu instid0(VALU_DEP_3) | instskip(SKIP_1) | instid1(VALU_DEP_3)
	v_add_co_ci_u32_e32 v14, vcc_lo, v14, v24, vcc_lo
	s_mov_b32 s11, 0
	v_add_co_u32 v2, vcc_lo, v12, v2
	s_delay_alu instid0(VALU_DEP_4) | instskip(SKIP_2) | instid1(VALU_DEP_4)
	v_add_co_ci_u32_e32 v3, vcc_lo, v11, v3, vcc_lo
	v_add_co_u32 v11, vcc_lo, v13, v0
	v_add_co_ci_u32_e32 v12, vcc_lo, v14, v1, vcc_lo
	v_add_co_u32 v1, vcc_lo, s22, v2
	s_delay_alu instid0(VALU_DEP_4) | instskip(NEXT) | instid1(VALU_DEP_4)
	v_add_co_ci_u32_e32 v2, vcc_lo, s23, v3, vcc_lo
	v_add_co_u32 v11, vcc_lo, s24, v11
	s_delay_alu instid0(VALU_DEP_4)
	v_add_co_ci_u32_e32 v12, vcc_lo, s25, v12, vcc_lo
	v_mov_b32_e32 v14, 0
	s_branch .LBB4_89
.LBB4_88:                               ;   in Loop: Header=BB4_89 Depth=1
	s_or_b32 exec_lo, exec_lo, s2
	v_add_nc_u32_e32 v0, 1, v0
	v_add_co_u32 v1, vcc_lo, v1, 4
	v_add_co_ci_u32_e32 v2, vcc_lo, 0, v2, vcc_lo
	global_store_b8 v[11:12], v16, off
	v_cmp_ge_i32_e32 vcc_lo, v0, v25
	v_add_co_u32 v11, s2, v11, 1
	s_delay_alu instid0(VALU_DEP_1) | instskip(SKIP_1) | instid1(SALU_CYCLE_1)
	v_add_co_ci_u32_e64 v12, s2, 0, v12, s2
	s_or_b32 s11, vcc_lo, s11
	s_and_not1_b32 exec_lo, exec_lo, s11
	s_cbranch_execz .LBB4_107
.LBB4_89:                               ; =>This Inner Loop Header: Depth=1
	global_load_b32 v3, v[1:2], off
	s_mov_b32 s2, exec_lo
	v_mov_b32_e32 v19, v14
	s_waitcnt vmcnt(0) lgkmcnt(0)
	v_div_scale_f32 v13, null, s7, s7, v3
	s_delay_alu instid0(VALU_DEP_1) | instskip(SKIP_2) | instid1(VALU_DEP_1)
	v_rcp_f32_e32 v15, v13
	s_waitcnt_depctr 0xfff
	v_fma_f32 v16, -v13, v15, 1.0
	v_fmac_f32_e32 v15, v16, v15
	v_div_scale_f32 v16, vcc_lo, v3, s7, v3
	s_delay_alu instid0(VALU_DEP_1) | instskip(NEXT) | instid1(VALU_DEP_1)
	v_mul_f32_e32 v17, v16, v15
	v_fma_f32 v18, -v13, v17, v16
	s_delay_alu instid0(VALU_DEP_1) | instskip(NEXT) | instid1(VALU_DEP_1)
	v_fmac_f32_e32 v17, v18, v15
	v_fma_f32 v13, -v13, v17, v16
	s_delay_alu instid0(VALU_DEP_1) | instskip(NEXT) | instid1(VALU_DEP_1)
	v_div_fmas_f32 v13, v13, v15, v17
	v_div_fixup_f32 v15, v13, s7, v3
	s_delay_alu instid0(VALU_DEP_1) | instskip(SKIP_2) | instid1(VALU_DEP_3)
	v_lshrrev_b32_e32 v17, 24, v15
	v_and_b32_e32 v18, 0x7f800000, v15
	v_and_b32_e32 v13, 0x7fffff, v15
	v_and_b32_e32 v3, 0x80, v17
	s_delay_alu instid0(VALU_DEP_1) | instskip(NEXT) | instid1(VALU_DEP_4)
	v_or_b32_e32 v16, 0x7e, v3
	v_cmpx_ne_u64_e32 0x7f800000, v[18:19]
	s_xor_b32 s28, exec_lo, s2
	s_cbranch_execz .LBB4_105
; %bb.90:                               ;   in Loop: Header=BB4_89 Depth=1
	v_dual_mov_b32 v18, v14 :: v_dual_and_b32 v17, 0x7fffffff, v15
	s_mov_b32 s2, exec_lo
	s_delay_alu instid0(VALU_DEP_1)
	v_cmpx_gt_u64_e32 0x43e00001, v[17:18]
	s_xor_b32 s29, exec_lo, s2
	s_cbranch_execz .LBB4_104
; %bb.91:                               ;   in Loop: Header=BB4_89 Depth=1
	v_mov_b32_e32 v16, 0
	s_mov_b32 s30, exec_lo
	v_cmpx_ne_u32_e32 0, v15
	s_cbranch_execz .LBB4_103
; %bb.92:                               ;   in Loop: Header=BB4_89 Depth=1
	v_bfe_u32 v19, v15, 23, 8
	v_or_b32_e32 v17, 0x800000, v13
	s_delay_alu instid0(VALU_DEP_2) | instskip(SKIP_1) | instid1(VALU_DEP_2)
	v_sub_nc_u32_e32 v15, 0x79, v19
	v_cmp_gt_u32_e32 vcc_lo, 0x7a, v19
	v_cndmask_b32_e32 v15, 0, v15, vcc_lo
	v_cmp_eq_u32_e32 vcc_lo, 0, v19
	s_delay_alu instid0(VALU_DEP_2) | instskip(SKIP_1) | instid1(VALU_DEP_2)
	v_cndmask_b32_e64 v20, v15, 0x78, vcc_lo
	v_cndmask_b32_e32 v13, v17, v13, vcc_lo
	v_add_nc_u32_e32 v15, 20, v20
	v_add_nc_u32_e32 v17, 19, v20
	s_delay_alu instid0(VALU_DEP_2) | instskip(NEXT) | instid1(VALU_DEP_2)
	v_lshlrev_b64 v[15:16], v15, -1
	v_lshlrev_b64 v[17:18], v17, 1
	s_delay_alu instid0(VALU_DEP_2) | instskip(NEXT) | instid1(VALU_DEP_3)
	v_not_b32_e32 v16, v16
	v_not_b32_e32 v15, v15
	s_delay_alu instid0(VALU_DEP_2) | instskip(NEXT) | instid1(VALU_DEP_2)
	v_and_b32_e32 v22, 0, v16
	v_and_b32_e32 v21, v13, v15
	v_lshrrev_b64 v[15:16], v20, v[13:14]
	s_delay_alu instid0(VALU_DEP_2) | instskip(NEXT) | instid1(VALU_DEP_2)
	v_cmp_eq_u64_e64 s2, v[21:22], v[17:18]
	v_dual_mov_b32 v18, v16 :: v_dual_mov_b32 v17, v15
	s_delay_alu instid0(VALU_DEP_2)
	s_and_saveexec_b32 s31, s2
; %bb.93:                               ;   in Loop: Header=BB4_89 Depth=1
	v_bfe_u32 v13, v15, 20, 1
	s_delay_alu instid0(VALU_DEP_1) | instskip(NEXT) | instid1(VALU_DEP_1)
	v_add_co_u32 v13, s2, v15, v13
	v_add_co_u32 v17, s2, v13, -1
; %bb.94:                               ;   in Loop: Header=BB4_89 Depth=1
	s_or_b32 exec_lo, exec_lo, s31
	v_add_nc_u32_e32 v13, 0xffffff81, v19
	v_lshrrev_b32_e32 v18, 23, v15
	s_mov_b32 s2, exec_lo
	s_delay_alu instid0(VALU_DEP_2) | instskip(NEXT) | instid1(VALU_DEP_1)
	v_cndmask_b32_e64 v13, v13, 0xffffff82, vcc_lo
	v_add3_u32 v18, v20, v13, v18
	v_and_b32_e32 v13, 0xfffff, v17
	s_delay_alu instid0(VALU_DEP_2) | instskip(NEXT) | instid1(VALU_DEP_2)
	v_add_nc_u32_e32 v17, 6, v18
	v_add_co_u32 v15, vcc_lo, v13, v15
	v_add_co_ci_u32_e32 v16, vcc_lo, 0, v16, vcc_lo
                                        ; implicit-def: $vgpr13
	s_delay_alu instid0(VALU_DEP_3)
	v_cmpx_ne_u32_e32 0, v17
	s_xor_b32 s2, exec_lo, s2
; %bb.95:                               ;   in Loop: Header=BB4_89 Depth=1
	s_delay_alu instid0(VALU_DEP_2) | instskip(SKIP_1) | instid1(VALU_DEP_1)
	v_cmp_lt_u64_e32 vcc_lo, 0xffffff, v[15:16]
	v_add_nc_u32_e32 v13, 7, v18
	v_cndmask_b32_e32 v13, v17, v13, vcc_lo
	v_cndmask_b32_e64 v17, 0, 1, vcc_lo
	s_delay_alu instid0(VALU_DEP_1)
	v_lshrrev_b64 v[15:16], v17, v[15:16]
; %bb.96:                               ;   in Loop: Header=BB4_89 Depth=1
	s_and_not1_saveexec_b32 s2, s2
; %bb.97:                               ;   in Loop: Header=BB4_89 Depth=1
	s_delay_alu instid0(VALU_DEP_1)
	v_bfe_u32 v13, v15, 23, 1
; %bb.98:                               ;   in Loop: Header=BB4_89 Depth=1
	s_or_b32 exec_lo, exec_lo, s2
	s_delay_alu instid0(VALU_DEP_2) | instskip(NEXT) | instid1(VALU_DEP_2)
	v_lshrrev_b64 v[15:16], 20, v[15:16]
	v_cmp_gt_i32_e32 vcc_lo, 16, v13
	v_cmp_ne_u32_e64 s2, 0, v13
	s_delay_alu instid0(VALU_DEP_3) | instskip(NEXT) | instid1(VALU_DEP_1)
	v_dual_cndmask_b32 v16, 0, v16 :: v_dual_cndmask_b32 v15, 7, v15
	v_cmp_ne_u64_e32 vcc_lo, 0, v[15:16]
                                        ; implicit-def: $vgpr16
	s_delay_alu instid0(VALU_DEP_3) | instskip(NEXT) | instid1(SALU_CYCLE_1)
	s_or_b32 s2, s2, vcc_lo
	s_and_saveexec_b32 s31, s2
	s_delay_alu instid0(SALU_CYCLE_1)
	s_xor_b32 s2, exec_lo, s31
; %bb.99:                               ;   in Loop: Header=BB4_89 Depth=1
	v_min_i32_e32 v13, 15, v13
	s_delay_alu instid0(VALU_DEP_1) | instskip(NEXT) | instid1(VALU_DEP_1)
	v_lshl_or_b32 v3, v13, 3, v3
	v_and_or_b32 v16, v15, 7, v3
                                        ; implicit-def: $vgpr3
; %bb.100:                              ;   in Loop: Header=BB4_89 Depth=1
	s_and_not1_saveexec_b32 s2, s2
; %bb.101:                              ;   in Loop: Header=BB4_89 Depth=1
	v_mov_b32_e32 v16, v3
; %bb.102:                              ;   in Loop: Header=BB4_89 Depth=1
	s_or_b32 exec_lo, exec_lo, s2
.LBB4_103:                              ;   in Loop: Header=BB4_89 Depth=1
	s_delay_alu instid0(SALU_CYCLE_1)
	s_or_b32 exec_lo, exec_lo, s30
.LBB4_104:                              ;   in Loop: Header=BB4_89 Depth=1
	s_and_not1_saveexec_b32 s2, s29
	s_delay_alu instid0(SALU_CYCLE_1)
	s_or_b32 exec_lo, exec_lo, s2
                                        ; implicit-def: $vgpr17
.LBB4_105:                              ;   in Loop: Header=BB4_89 Depth=1
	s_and_not1_saveexec_b32 s2, s28
	s_cbranch_execz .LBB4_88
; %bb.106:                              ;   in Loop: Header=BB4_89 Depth=1
	v_cmp_eq_u64_e32 vcc_lo, 0, v[13:14]
	v_or_b32_e32 v3, 0x7f, v17
	s_delay_alu instid0(VALU_DEP_1)
	v_cndmask_b32_e32 v16, v3, v16, vcc_lo
	s_branch .LBB4_88
.LBB4_107:
	s_or_b32 exec_lo, exec_lo, s10
                                        ; implicit-def: $vgpr23
                                        ; implicit-def: $vgpr24
.LBB4_108:
	s_and_not1_saveexec_b32 s9, s9
	s_cbranch_execz .LBB4_168
; %bb.109:
	s_ashr_i32 s10, s13, 2
	s_delay_alu instid0(SALU_CYCLE_1)
	s_cmp_lt_i32 s10, 1
	s_cbranch_scc1 .LBB4_168
; %bb.110:
	s_add_u32 s2, s15, -1
	s_addc_u32 s11, s4, -1
	s_mul_hi_u32 s28, s20, s2
	s_mul_i32 s11, s20, s11
	s_mul_i32 s29, s20, s2
	s_add_i32 s11, s28, s11
	s_mul_i32 s2, s21, s2
	s_mul_i32 s28, s29, s19
	s_mul_hi_u32 s30, s29, s18
	s_add_i32 s2, s11, s2
	s_add_i32 s11, s30, s28
	s_mul_i32 s2, s2, s18
	s_mul_i32 s29, s29, s18
	s_add_i32 s11, s11, s2
	s_add_u32 s2, s16, s29
	v_add_co_u32 v2, vcc_lo, s26, v7
	v_mad_u64_u32 v[0:1], null, s2, s6, v[9:10]
	s_addc_u32 s11, s17, s11
	v_add_co_ci_u32_e32 v3, vcc_lo, s27, v8, vcc_lo
	s_mul_i32 s11, s11, s6
	s_mul_i32 s2, s2, s8
	v_add_co_u32 v2, vcc_lo, v2, v4
	s_delay_alu instid0(VALU_DEP_3) | instskip(SKIP_2) | instid1(VALU_DEP_3)
	v_add3_u32 v1, s2, s11, v1
	v_add_co_ci_u32_e32 v3, vcc_lo, v3, v5, vcc_lo
	v_add_co_u32 v0, vcc_lo, v0, v23
	v_add_co_ci_u32_e32 v1, vcc_lo, v1, v24, vcc_lo
	v_add_co_u32 v2, vcc_lo, v2, s22
	s_delay_alu instid0(VALU_DEP_4) | instskip(NEXT) | instid1(VALU_DEP_4)
	v_add_co_ci_u32_e32 v3, vcc_lo, s23, v3, vcc_lo
	v_add_co_u32 v11, vcc_lo, s24, v0
	s_delay_alu instid0(VALU_DEP_4) | instskip(NEXT) | instid1(VALU_DEP_4)
	v_add_co_ci_u32_e32 v12, vcc_lo, s25, v1, vcc_lo
	v_add_co_u32 v13, vcc_lo, v2, 8
	s_delay_alu instid0(VALU_DEP_4)
	v_add_co_ci_u32_e32 v14, vcc_lo, 0, v3, vcc_lo
	v_mov_b32_e32 v16, 0
	s_branch .LBB4_112
.LBB4_111:                              ;   in Loop: Header=BB4_112 Depth=1
	s_or_b32 exec_lo, exec_lo, s2
	v_lshlrev_b32_e32 v1, 16, v17
	v_lshlrev_b32_e32 v2, 8, v20
	v_and_b32_e32 v3, 0xff, v19
	s_add_i32 s10, s10, -1
	s_delay_alu instid0(SALU_CYCLE_1) | instskip(SKIP_2) | instid1(VALU_DEP_1)
	s_cmp_eq_u32 s10, 0
	v_perm_b32 v0, v0, v1, 0x4020c0c
	v_and_b32_e32 v1, 0xff00, v2
	v_or3_b32 v0, v0, v1, v3
	global_store_b32 v[11:12], v0, off
	v_add_co_u32 v11, vcc_lo, v11, 4
	v_add_co_ci_u32_e32 v12, vcc_lo, 0, v12, vcc_lo
	v_add_co_u32 v13, vcc_lo, v13, 16
	v_add_co_ci_u32_e32 v14, vcc_lo, 0, v14, vcc_lo
	s_cbranch_scc1 .LBB4_168
.LBB4_112:                              ; =>This Inner Loop Header: Depth=1
	global_load_b128 v[0:3], v[13:14], off offset:-8
	s_waitcnt vmcnt(0) lgkmcnt(0)
	v_div_scale_f32 v15, null, s7, s7, v0
	s_delay_alu instid0(VALU_DEP_1) | instskip(SKIP_2) | instid1(VALU_DEP_1)
	v_rcp_f32_e32 v17, v15
	s_waitcnt_depctr 0xfff
	v_fma_f32 v18, -v15, v17, 1.0
	v_fmac_f32_e32 v17, v18, v17
	v_div_scale_f32 v18, vcc_lo, v0, s7, v0
	s_delay_alu instid0(VALU_DEP_1) | instskip(NEXT) | instid1(VALU_DEP_1)
	v_mul_f32_e32 v19, v18, v17
	v_fma_f32 v20, -v15, v19, v18
	s_delay_alu instid0(VALU_DEP_1) | instskip(SKIP_1) | instid1(VALU_DEP_2)
	v_fmac_f32_e32 v19, v20, v17
	v_mov_b32_e32 v20, v16
	v_fma_f32 v15, -v15, v19, v18
	s_delay_alu instid0(VALU_DEP_1) | instskip(NEXT) | instid1(VALU_DEP_1)
	v_div_fmas_f32 v15, v15, v17, v19
	v_div_fixup_f32 v17, v15, s7, v0
	s_delay_alu instid0(VALU_DEP_1) | instskip(SKIP_2) | instid1(VALU_DEP_3)
	v_lshrrev_b32_e32 v18, 24, v17
	v_and_b32_e32 v19, 0x7f800000, v17
	v_and_b32_e32 v15, 0x7fffff, v17
	;; [unrolled: 1-line block ×3, first 2 shown]
	s_delay_alu instid0(VALU_DEP_3) | instskip(NEXT) | instid1(VALU_DEP_2)
	v_cmp_ne_u64_e32 vcc_lo, 0x7f800000, v[19:20]
	v_or_b32_e32 v19, 0x7e, v0
	s_and_saveexec_b32 s2, vcc_lo
	s_delay_alu instid0(SALU_CYCLE_1)
	s_xor_b32 s8, exec_lo, s2
	s_cbranch_execz .LBB4_124
; %bb.113:                              ;   in Loop: Header=BB4_112 Depth=1
	v_dual_mov_b32 v21, v16 :: v_dual_and_b32 v20, 0x7fffffff, v17
	s_mov_b32 s11, exec_lo
	s_delay_alu instid0(VALU_DEP_1)
	v_cmpx_gt_u64_e32 0x43e00001, v[20:21]
	s_cbranch_execz .LBB4_123
; %bb.114:                              ;   in Loop: Header=BB4_112 Depth=1
	v_mov_b32_e32 v19, 0
	s_mov_b32 s22, exec_lo
	v_cmpx_ne_u32_e32 0, v17
	s_cbranch_execz .LBB4_122
; %bb.115:                              ;   in Loop: Header=BB4_112 Depth=1
	v_bfe_u32 v21, v17, 23, 8
	v_or_b32_e32 v19, 0x800000, v15
	s_delay_alu instid0(VALU_DEP_2) | instskip(SKIP_1) | instid1(VALU_DEP_2)
	v_sub_nc_u32_e32 v17, 0x79, v21
	v_cmp_gt_u32_e32 vcc_lo, 0x7a, v21
	v_cndmask_b32_e32 v17, 0, v17, vcc_lo
	v_cmp_eq_u32_e32 vcc_lo, 0, v21
	s_delay_alu instid0(VALU_DEP_2) | instskip(SKIP_1) | instid1(VALU_DEP_2)
	v_cndmask_b32_e64 v22, v17, 0x78, vcc_lo
	v_cndmask_b32_e32 v15, v19, v15, vcc_lo
	v_add_nc_u32_e32 v17, 20, v22
	v_add_nc_u32_e32 v19, 19, v22
	s_delay_alu instid0(VALU_DEP_2) | instskip(NEXT) | instid1(VALU_DEP_2)
	v_lshlrev_b64 v[17:18], v17, -1
	v_lshlrev_b64 v[19:20], v19, 1
	s_delay_alu instid0(VALU_DEP_2) | instskip(NEXT) | instid1(VALU_DEP_3)
	v_not_b32_e32 v18, v18
	v_not_b32_e32 v17, v17
	s_delay_alu instid0(VALU_DEP_2) | instskip(NEXT) | instid1(VALU_DEP_2)
	v_and_b32_e32 v24, 0, v18
	v_and_b32_e32 v23, v15, v17
	v_lshrrev_b64 v[17:18], v22, v[15:16]
	s_delay_alu instid0(VALU_DEP_2) | instskip(NEXT) | instid1(VALU_DEP_2)
	v_cmp_eq_u64_e64 s2, v[23:24], v[19:20]
	v_dual_mov_b32 v20, v18 :: v_dual_mov_b32 v19, v17
	s_delay_alu instid0(VALU_DEP_2)
	s_and_saveexec_b32 s23, s2
; %bb.116:                              ;   in Loop: Header=BB4_112 Depth=1
	v_bfe_u32 v15, v17, 20, 1
	s_delay_alu instid0(VALU_DEP_1) | instskip(NEXT) | instid1(VALU_DEP_1)
	v_add_co_u32 v15, s2, v17, v15
	v_add_co_u32 v19, s2, v15, -1
; %bb.117:                              ;   in Loop: Header=BB4_112 Depth=1
	s_or_b32 exec_lo, exec_lo, s23
	v_add_nc_u32_e32 v15, 0xffffff81, v21
	v_lshrrev_b32_e32 v20, 23, v17
	s_mov_b32 s2, exec_lo
	s_delay_alu instid0(VALU_DEP_2) | instskip(NEXT) | instid1(VALU_DEP_1)
	v_cndmask_b32_e64 v15, v15, 0xffffff82, vcc_lo
	v_add3_u32 v20, v22, v15, v20
	v_and_b32_e32 v15, 0xfffff, v19
	s_delay_alu instid0(VALU_DEP_2) | instskip(NEXT) | instid1(VALU_DEP_2)
	v_add_nc_u32_e32 v19, 6, v20
	v_add_co_u32 v17, vcc_lo, v15, v17
	v_add_co_ci_u32_e32 v18, vcc_lo, 0, v18, vcc_lo
                                        ; implicit-def: $vgpr15
	s_delay_alu instid0(VALU_DEP_3)
	v_cmpx_ne_u32_e32 0, v19
	s_xor_b32 s2, exec_lo, s2
; %bb.118:                              ;   in Loop: Header=BB4_112 Depth=1
	s_delay_alu instid0(VALU_DEP_2) | instskip(SKIP_1) | instid1(VALU_DEP_1)
	v_cmp_lt_u64_e32 vcc_lo, 0xffffff, v[17:18]
	v_add_nc_u32_e32 v15, 7, v20
	v_cndmask_b32_e32 v15, v19, v15, vcc_lo
	v_cndmask_b32_e64 v19, 0, 1, vcc_lo
	s_delay_alu instid0(VALU_DEP_1)
	v_lshrrev_b64 v[17:18], v19, v[17:18]
; %bb.119:                              ;   in Loop: Header=BB4_112 Depth=1
	s_and_not1_saveexec_b32 s2, s2
; %bb.120:                              ;   in Loop: Header=BB4_112 Depth=1
	s_delay_alu instid0(VALU_DEP_1)
	v_bfe_u32 v15, v17, 23, 1
; %bb.121:                              ;   in Loop: Header=BB4_112 Depth=1
	s_or_b32 exec_lo, exec_lo, s2
	s_delay_alu instid0(VALU_DEP_2) | instskip(NEXT) | instid1(VALU_DEP_2)
	v_lshrrev_b64 v[17:18], 20, v[17:18]
	v_cmp_gt_i32_e32 vcc_lo, 16, v15
	v_min_i32_e32 v19, 15, v15
	v_cmp_eq_u32_e64 s2, 0, v15
	s_delay_alu instid0(VALU_DEP_4) | instskip(NEXT) | instid1(VALU_DEP_3)
	v_dual_cndmask_b32 v18, 0, v18 :: v_dual_cndmask_b32 v17, 7, v17
	v_lshlrev_b32_e32 v19, 3, v19
	s_delay_alu instid0(VALU_DEP_2) | instskip(NEXT) | instid1(VALU_DEP_2)
	v_cmp_eq_u64_e32 vcc_lo, 0, v[17:18]
	v_and_or_b32 v15, v17, 7, v19
	s_and_b32 s2, s2, vcc_lo
	s_delay_alu instid0(VALU_DEP_1) | instid1(SALU_CYCLE_1)
	v_cndmask_b32_e64 v15, v15, 0, s2
	s_delay_alu instid0(VALU_DEP_1)
	v_or_b32_e32 v19, v15, v0
.LBB4_122:                              ;   in Loop: Header=BB4_112 Depth=1
	s_or_b32 exec_lo, exec_lo, s22
.LBB4_123:                              ;   in Loop: Header=BB4_112 Depth=1
	s_delay_alu instid0(SALU_CYCLE_1)
	s_or_b32 exec_lo, exec_lo, s11
                                        ; implicit-def: $vgpr18
.LBB4_124:                              ;   in Loop: Header=BB4_112 Depth=1
	s_and_not1_saveexec_b32 s2, s8
; %bb.125:                              ;   in Loop: Header=BB4_112 Depth=1
	v_cmp_eq_u64_e32 vcc_lo, 0, v[15:16]
	v_or_b32_e32 v0, 0x7f, v18
	s_delay_alu instid0(VALU_DEP_1)
	v_cndmask_b32_e32 v19, v0, v19, vcc_lo
; %bb.126:                              ;   in Loop: Header=BB4_112 Depth=1
	s_or_b32 exec_lo, exec_lo, s2
	v_div_scale_f32 v0, null, s7, s7, v1
	s_mov_b32 s2, exec_lo
	s_delay_alu instid0(VALU_DEP_1) | instskip(SKIP_2) | instid1(VALU_DEP_1)
	v_rcp_f32_e32 v15, v0
	s_waitcnt_depctr 0xfff
	v_fma_f32 v17, -v0, v15, 1.0
	v_fmac_f32_e32 v15, v17, v15
	v_div_scale_f32 v17, vcc_lo, v1, s7, v1
	s_delay_alu instid0(VALU_DEP_1) | instskip(NEXT) | instid1(VALU_DEP_1)
	v_mul_f32_e32 v18, v17, v15
	v_fma_f32 v20, -v0, v18, v17
	s_delay_alu instid0(VALU_DEP_1) | instskip(NEXT) | instid1(VALU_DEP_1)
	v_fmac_f32_e32 v18, v20, v15
	v_fma_f32 v0, -v0, v18, v17
	s_delay_alu instid0(VALU_DEP_1) | instskip(SKIP_1) | instid1(VALU_DEP_2)
	v_div_fmas_f32 v0, v0, v15, v18
	v_mov_b32_e32 v18, v16
	v_div_fixup_f32 v0, v0, s7, v1
	s_delay_alu instid0(VALU_DEP_1) | instskip(SKIP_2) | instid1(VALU_DEP_3)
	v_lshrrev_b32_e32 v1, 24, v0
	v_and_b32_e32 v17, 0x7f800000, v0
	v_and_b32_e32 v15, 0x7fffff, v0
	;; [unrolled: 1-line block ×3, first 2 shown]
	s_delay_alu instid0(VALU_DEP_1) | instskip(NEXT) | instid1(VALU_DEP_4)
	v_or_b32_e32 v20, 0x7e, v21
	v_cmpx_ne_u64_e32 0x7f800000, v[17:18]
	s_xor_b32 s8, exec_lo, s2
	s_cbranch_execz .LBB4_138
; %bb.127:                              ;   in Loop: Header=BB4_112 Depth=1
	v_dual_mov_b32 v18, v16 :: v_dual_and_b32 v17, 0x7fffffff, v0
	s_mov_b32 s11, exec_lo
	s_delay_alu instid0(VALU_DEP_1)
	v_cmpx_gt_u64_e32 0x43e00001, v[17:18]
	s_cbranch_execz .LBB4_137
; %bb.128:                              ;   in Loop: Header=BB4_112 Depth=1
	v_mov_b32_e32 v20, 0
	s_mov_b32 s22, exec_lo
	v_cmpx_ne_u32_e32 0, v0
	s_cbranch_execz .LBB4_136
; %bb.129:                              ;   in Loop: Header=BB4_112 Depth=1
	v_bfe_u32 v20, v0, 23, 8
	v_or_b32_e32 v17, 0x800000, v15
	s_delay_alu instid0(VALU_DEP_2) | instskip(SKIP_1) | instid1(VALU_DEP_2)
	v_sub_nc_u32_e32 v0, 0x79, v20
	v_cmp_gt_u32_e32 vcc_lo, 0x7a, v20
	v_cndmask_b32_e32 v0, 0, v0, vcc_lo
	v_cmp_eq_u32_e32 vcc_lo, 0, v20
	v_cndmask_b32_e32 v15, v17, v15, vcc_lo
	s_delay_alu instid0(VALU_DEP_3) | instskip(NEXT) | instid1(VALU_DEP_1)
	v_cndmask_b32_e64 v22, v0, 0x78, vcc_lo
	v_add_nc_u32_e32 v0, 20, v22
	v_add_nc_u32_e32 v17, 19, v22
	s_delay_alu instid0(VALU_DEP_2) | instskip(NEXT) | instid1(VALU_DEP_2)
	v_lshlrev_b64 v[0:1], v0, -1
	v_lshlrev_b64 v[17:18], v17, 1
	s_delay_alu instid0(VALU_DEP_2) | instskip(NEXT) | instid1(VALU_DEP_3)
	v_not_b32_e32 v1, v1
	v_not_b32_e32 v0, v0
	s_delay_alu instid0(VALU_DEP_2) | instskip(NEXT) | instid1(VALU_DEP_2)
	v_and_b32_e32 v24, 0, v1
	v_and_b32_e32 v23, v15, v0
	v_lshrrev_b64 v[0:1], v22, v[15:16]
	s_delay_alu instid0(VALU_DEP_2) | instskip(NEXT) | instid1(VALU_DEP_2)
	v_cmp_eq_u64_e64 s2, v[23:24], v[17:18]
	v_dual_mov_b32 v18, v1 :: v_dual_mov_b32 v17, v0
	s_delay_alu instid0(VALU_DEP_2)
	s_and_saveexec_b32 s23, s2
; %bb.130:                              ;   in Loop: Header=BB4_112 Depth=1
	v_bfe_u32 v15, v0, 20, 1
	s_delay_alu instid0(VALU_DEP_1) | instskip(NEXT) | instid1(VALU_DEP_1)
	v_add_co_u32 v15, s2, v0, v15
	v_add_co_u32 v17, s2, v15, -1
; %bb.131:                              ;   in Loop: Header=BB4_112 Depth=1
	s_or_b32 exec_lo, exec_lo, s23
	v_add_nc_u32_e32 v15, 0xffffff81, v20
	v_lshrrev_b32_e32 v18, 23, v0
	s_mov_b32 s2, exec_lo
	s_delay_alu instid0(VALU_DEP_2) | instskip(NEXT) | instid1(VALU_DEP_1)
	v_cndmask_b32_e64 v15, v15, 0xffffff82, vcc_lo
	v_add3_u32 v18, v22, v15, v18
	v_and_b32_e32 v15, 0xfffff, v17
	s_delay_alu instid0(VALU_DEP_2) | instskip(NEXT) | instid1(VALU_DEP_2)
	v_add_nc_u32_e32 v17, 6, v18
	v_add_co_u32 v0, vcc_lo, v15, v0
	v_add_co_ci_u32_e32 v1, vcc_lo, 0, v1, vcc_lo
                                        ; implicit-def: $vgpr15
	s_delay_alu instid0(VALU_DEP_3)
	v_cmpx_ne_u32_e32 0, v17
	s_xor_b32 s2, exec_lo, s2
; %bb.132:                              ;   in Loop: Header=BB4_112 Depth=1
	s_delay_alu instid0(VALU_DEP_2) | instskip(SKIP_1) | instid1(VALU_DEP_1)
	v_cmp_lt_u64_e32 vcc_lo, 0xffffff, v[0:1]
	v_add_nc_u32_e32 v15, 7, v18
	v_cndmask_b32_e32 v15, v17, v15, vcc_lo
	v_cndmask_b32_e64 v17, 0, 1, vcc_lo
	s_delay_alu instid0(VALU_DEP_1)
	v_lshrrev_b64 v[0:1], v17, v[0:1]
; %bb.133:                              ;   in Loop: Header=BB4_112 Depth=1
	s_and_not1_saveexec_b32 s2, s2
; %bb.134:                              ;   in Loop: Header=BB4_112 Depth=1
	s_delay_alu instid0(VALU_DEP_1)
	v_bfe_u32 v15, v0, 23, 1
; %bb.135:                              ;   in Loop: Header=BB4_112 Depth=1
	s_or_b32 exec_lo, exec_lo, s2
	s_delay_alu instid0(VALU_DEP_2) | instskip(NEXT) | instid1(VALU_DEP_2)
	v_lshrrev_b64 v[0:1], 20, v[0:1]
	v_cmp_gt_i32_e32 vcc_lo, 16, v15
	v_min_i32_e32 v17, 15, v15
	v_cmp_eq_u32_e64 s2, 0, v15
	s_delay_alu instid0(VALU_DEP_4) | instskip(NEXT) | instid1(VALU_DEP_3)
	v_dual_cndmask_b32 v1, 0, v1 :: v_dual_cndmask_b32 v0, 7, v0
	v_lshlrev_b32_e32 v17, 3, v17
	s_delay_alu instid0(VALU_DEP_2) | instskip(NEXT) | instid1(VALU_DEP_2)
	v_cmp_eq_u64_e32 vcc_lo, 0, v[0:1]
	v_and_or_b32 v0, v0, 7, v17
	s_and_b32 s2, s2, vcc_lo
	s_delay_alu instid0(VALU_DEP_1) | instid1(SALU_CYCLE_1)
	v_cndmask_b32_e64 v0, v0, 0, s2
	s_delay_alu instid0(VALU_DEP_1)
	v_or_b32_e32 v20, v0, v21
.LBB4_136:                              ;   in Loop: Header=BB4_112 Depth=1
	s_or_b32 exec_lo, exec_lo, s22
.LBB4_137:                              ;   in Loop: Header=BB4_112 Depth=1
	s_delay_alu instid0(SALU_CYCLE_1)
	s_or_b32 exec_lo, exec_lo, s11
                                        ; implicit-def: $vgpr1
.LBB4_138:                              ;   in Loop: Header=BB4_112 Depth=1
	s_and_not1_saveexec_b32 s2, s8
; %bb.139:                              ;   in Loop: Header=BB4_112 Depth=1
	v_cmp_eq_u64_e32 vcc_lo, 0, v[15:16]
	v_or_b32_e32 v0, 0x7f, v1
	s_delay_alu instid0(VALU_DEP_1)
	v_cndmask_b32_e32 v20, v0, v20, vcc_lo
; %bb.140:                              ;   in Loop: Header=BB4_112 Depth=1
	s_or_b32 exec_lo, exec_lo, s2
	v_div_scale_f32 v0, null, s7, s7, v2
	s_delay_alu instid0(VALU_DEP_1) | instskip(SKIP_2) | instid1(VALU_DEP_1)
	v_rcp_f32_e32 v1, v0
	s_waitcnt_depctr 0xfff
	v_fma_f32 v15, -v0, v1, 1.0
	v_fmac_f32_e32 v1, v15, v1
	v_div_scale_f32 v15, vcc_lo, v2, s7, v2
	s_delay_alu instid0(VALU_DEP_1) | instskip(NEXT) | instid1(VALU_DEP_1)
	v_mul_f32_e32 v17, v15, v1
	v_fma_f32 v18, -v0, v17, v15
	s_delay_alu instid0(VALU_DEP_1) | instskip(NEXT) | instid1(VALU_DEP_1)
	v_dual_fmac_f32 v17, v18, v1 :: v_dual_mov_b32 v18, v16
	v_fma_f32 v0, -v0, v17, v15
	s_delay_alu instid0(VALU_DEP_1) | instskip(NEXT) | instid1(VALU_DEP_1)
	v_div_fmas_f32 v0, v0, v1, v17
	v_div_fixup_f32 v0, v0, s7, v2
	s_delay_alu instid0(VALU_DEP_1) | instskip(SKIP_2) | instid1(VALU_DEP_3)
	v_lshrrev_b32_e32 v1, 24, v0
	v_and_b32_e32 v17, 0x7f800000, v0
	v_and_b32_e32 v15, 0x7fffff, v0
	;; [unrolled: 1-line block ×3, first 2 shown]
	s_delay_alu instid0(VALU_DEP_3) | instskip(NEXT) | instid1(VALU_DEP_2)
	v_cmp_ne_u64_e32 vcc_lo, 0x7f800000, v[17:18]
	v_or_b32_e32 v17, 0x7e, v2
	s_and_saveexec_b32 s2, vcc_lo
	s_delay_alu instid0(SALU_CYCLE_1)
	s_xor_b32 s8, exec_lo, s2
	s_cbranch_execz .LBB4_152
; %bb.141:                              ;   in Loop: Header=BB4_112 Depth=1
	v_dual_mov_b32 v22, v16 :: v_dual_and_b32 v21, 0x7fffffff, v0
	s_mov_b32 s11, exec_lo
	s_delay_alu instid0(VALU_DEP_1)
	v_cmpx_gt_u64_e32 0x43e00001, v[21:22]
	s_cbranch_execz .LBB4_151
; %bb.142:                              ;   in Loop: Header=BB4_112 Depth=1
	v_mov_b32_e32 v17, 0
	s_mov_b32 s22, exec_lo
	v_cmpx_ne_u32_e32 0, v0
	s_cbranch_execz .LBB4_150
; %bb.143:                              ;   in Loop: Header=BB4_112 Depth=1
	v_bfe_u32 v21, v0, 23, 8
	v_or_b32_e32 v17, 0x800000, v15
	s_delay_alu instid0(VALU_DEP_2) | instskip(SKIP_1) | instid1(VALU_DEP_2)
	v_sub_nc_u32_e32 v0, 0x79, v21
	v_cmp_gt_u32_e32 vcc_lo, 0x7a, v21
	v_cndmask_b32_e32 v0, 0, v0, vcc_lo
	v_cmp_eq_u32_e32 vcc_lo, 0, v21
	v_cndmask_b32_e32 v15, v17, v15, vcc_lo
	s_delay_alu instid0(VALU_DEP_3) | instskip(NEXT) | instid1(VALU_DEP_1)
	v_cndmask_b32_e64 v22, v0, 0x78, vcc_lo
	v_add_nc_u32_e32 v0, 20, v22
	v_add_nc_u32_e32 v17, 19, v22
	s_delay_alu instid0(VALU_DEP_2) | instskip(NEXT) | instid1(VALU_DEP_2)
	v_lshlrev_b64 v[0:1], v0, -1
	v_lshlrev_b64 v[17:18], v17, 1
	s_delay_alu instid0(VALU_DEP_2) | instskip(NEXT) | instid1(VALU_DEP_3)
	v_not_b32_e32 v1, v1
	v_not_b32_e32 v0, v0
	s_delay_alu instid0(VALU_DEP_2) | instskip(NEXT) | instid1(VALU_DEP_2)
	v_and_b32_e32 v24, 0, v1
	v_and_b32_e32 v23, v15, v0
	v_lshrrev_b64 v[0:1], v22, v[15:16]
	s_delay_alu instid0(VALU_DEP_2) | instskip(NEXT) | instid1(VALU_DEP_2)
	v_cmp_eq_u64_e64 s2, v[23:24], v[17:18]
	v_dual_mov_b32 v18, v1 :: v_dual_mov_b32 v17, v0
	s_delay_alu instid0(VALU_DEP_2)
	s_and_saveexec_b32 s23, s2
; %bb.144:                              ;   in Loop: Header=BB4_112 Depth=1
	v_bfe_u32 v15, v0, 20, 1
	s_delay_alu instid0(VALU_DEP_1) | instskip(NEXT) | instid1(VALU_DEP_1)
	v_add_co_u32 v15, s2, v0, v15
	v_add_co_u32 v17, s2, v15, -1
; %bb.145:                              ;   in Loop: Header=BB4_112 Depth=1
	s_or_b32 exec_lo, exec_lo, s23
	v_add_nc_u32_e32 v15, 0xffffff81, v21
	v_lshrrev_b32_e32 v18, 23, v0
	s_mov_b32 s2, exec_lo
	s_delay_alu instid0(VALU_DEP_2) | instskip(NEXT) | instid1(VALU_DEP_1)
	v_cndmask_b32_e64 v15, v15, 0xffffff82, vcc_lo
	v_add3_u32 v18, v22, v15, v18
	v_and_b32_e32 v15, 0xfffff, v17
	s_delay_alu instid0(VALU_DEP_2) | instskip(NEXT) | instid1(VALU_DEP_2)
	v_add_nc_u32_e32 v17, 6, v18
	v_add_co_u32 v0, vcc_lo, v15, v0
	v_add_co_ci_u32_e32 v1, vcc_lo, 0, v1, vcc_lo
                                        ; implicit-def: $vgpr15
	s_delay_alu instid0(VALU_DEP_3)
	v_cmpx_ne_u32_e32 0, v17
	s_xor_b32 s2, exec_lo, s2
; %bb.146:                              ;   in Loop: Header=BB4_112 Depth=1
	s_delay_alu instid0(VALU_DEP_2) | instskip(SKIP_1) | instid1(VALU_DEP_1)
	v_cmp_lt_u64_e32 vcc_lo, 0xffffff, v[0:1]
	v_add_nc_u32_e32 v15, 7, v18
	v_cndmask_b32_e32 v15, v17, v15, vcc_lo
	v_cndmask_b32_e64 v17, 0, 1, vcc_lo
	s_delay_alu instid0(VALU_DEP_1)
	v_lshrrev_b64 v[0:1], v17, v[0:1]
; %bb.147:                              ;   in Loop: Header=BB4_112 Depth=1
	s_and_not1_saveexec_b32 s2, s2
; %bb.148:                              ;   in Loop: Header=BB4_112 Depth=1
	s_delay_alu instid0(VALU_DEP_1)
	v_bfe_u32 v15, v0, 23, 1
; %bb.149:                              ;   in Loop: Header=BB4_112 Depth=1
	s_or_b32 exec_lo, exec_lo, s2
	s_delay_alu instid0(VALU_DEP_2) | instskip(NEXT) | instid1(VALU_DEP_2)
	v_lshrrev_b64 v[0:1], 20, v[0:1]
	v_cmp_gt_i32_e32 vcc_lo, 16, v15
	v_min_i32_e32 v17, 15, v15
	v_cmp_eq_u32_e64 s2, 0, v15
	s_delay_alu instid0(VALU_DEP_4) | instskip(NEXT) | instid1(VALU_DEP_3)
	v_dual_cndmask_b32 v1, 0, v1 :: v_dual_cndmask_b32 v0, 7, v0
	v_lshlrev_b32_e32 v17, 3, v17
	s_delay_alu instid0(VALU_DEP_2) | instskip(NEXT) | instid1(VALU_DEP_2)
	v_cmp_eq_u64_e32 vcc_lo, 0, v[0:1]
	v_and_or_b32 v0, v0, 7, v17
	s_and_b32 s2, s2, vcc_lo
	s_delay_alu instid0(VALU_DEP_1) | instid1(SALU_CYCLE_1)
	v_cndmask_b32_e64 v0, v0, 0, s2
	s_delay_alu instid0(VALU_DEP_1)
	v_or_b32_e32 v17, v0, v2
.LBB4_150:                              ;   in Loop: Header=BB4_112 Depth=1
	s_or_b32 exec_lo, exec_lo, s22
.LBB4_151:                              ;   in Loop: Header=BB4_112 Depth=1
	s_delay_alu instid0(SALU_CYCLE_1)
	s_or_b32 exec_lo, exec_lo, s11
                                        ; implicit-def: $vgpr1
.LBB4_152:                              ;   in Loop: Header=BB4_112 Depth=1
	s_and_not1_saveexec_b32 s2, s8
; %bb.153:                              ;   in Loop: Header=BB4_112 Depth=1
	v_cmp_eq_u64_e32 vcc_lo, 0, v[15:16]
	v_or_b32_e32 v0, 0x7f, v1
	s_delay_alu instid0(VALU_DEP_1)
	v_cndmask_b32_e32 v17, v0, v17, vcc_lo
; %bb.154:                              ;   in Loop: Header=BB4_112 Depth=1
	s_or_b32 exec_lo, exec_lo, s2
	v_div_scale_f32 v0, null, s7, s7, v3
	s_mov_b32 s2, exec_lo
	v_mov_b32_e32 v22, v16
	s_delay_alu instid0(VALU_DEP_2) | instskip(SKIP_2) | instid1(VALU_DEP_1)
	v_rcp_f32_e32 v1, v0
	s_waitcnt_depctr 0xfff
	v_fma_f32 v2, -v0, v1, 1.0
	v_fmac_f32_e32 v1, v2, v1
	v_div_scale_f32 v2, vcc_lo, v3, s7, v3
	s_delay_alu instid0(VALU_DEP_1) | instskip(NEXT) | instid1(VALU_DEP_1)
	v_mul_f32_e32 v15, v2, v1
	v_fma_f32 v18, -v0, v15, v2
	s_delay_alu instid0(VALU_DEP_1) | instskip(NEXT) | instid1(VALU_DEP_1)
	v_fmac_f32_e32 v15, v18, v1
	v_fma_f32 v0, -v0, v15, v2
	s_delay_alu instid0(VALU_DEP_1) | instskip(NEXT) | instid1(VALU_DEP_1)
	v_div_fmas_f32 v0, v0, v1, v15
	v_div_fixup_f32 v1, v0, s7, v3
	s_delay_alu instid0(VALU_DEP_1) | instskip(SKIP_2) | instid1(VALU_DEP_3)
	v_lshrrev_b32_e32 v2, 24, v1
	v_and_b32_e32 v21, 0x7f800000, v1
	v_and_b32_e32 v15, 0x7fffff, v1
	;; [unrolled: 1-line block ×3, first 2 shown]
	s_delay_alu instid0(VALU_DEP_1) | instskip(NEXT) | instid1(VALU_DEP_4)
	v_or_b32_e32 v0, 0x7e, v18
	v_cmpx_ne_u64_e32 0x7f800000, v[21:22]
	s_xor_b32 s8, exec_lo, s2
	s_cbranch_execz .LBB4_166
; %bb.155:                              ;   in Loop: Header=BB4_112 Depth=1
	v_dual_mov_b32 v3, v16 :: v_dual_and_b32 v2, 0x7fffffff, v1
	s_mov_b32 s11, exec_lo
	s_delay_alu instid0(VALU_DEP_1)
	v_cmpx_gt_u64_e32 0x43e00001, v[2:3]
	s_cbranch_execz .LBB4_165
; %bb.156:                              ;   in Loop: Header=BB4_112 Depth=1
	v_mov_b32_e32 v0, 0
	s_mov_b32 s22, exec_lo
	v_cmpx_ne_u32_e32 0, v1
	s_cbranch_execz .LBB4_164
; %bb.157:                              ;   in Loop: Header=BB4_112 Depth=1
	v_bfe_u32 v21, v1, 23, 8
	v_or_b32_e32 v2, 0x800000, v15
	s_delay_alu instid0(VALU_DEP_2) | instskip(SKIP_1) | instid1(VALU_DEP_2)
	v_sub_nc_u32_e32 v0, 0x79, v21
	v_cmp_gt_u32_e32 vcc_lo, 0x7a, v21
	v_cndmask_b32_e32 v0, 0, v0, vcc_lo
	v_cmp_eq_u32_e32 vcc_lo, 0, v21
	v_cndmask_b32_e32 v15, v2, v15, vcc_lo
	s_delay_alu instid0(VALU_DEP_3) | instskip(NEXT) | instid1(VALU_DEP_1)
	v_cndmask_b32_e64 v22, v0, 0x78, vcc_lo
	v_add_nc_u32_e32 v0, 20, v22
	v_add_nc_u32_e32 v2, 19, v22
	s_delay_alu instid0(VALU_DEP_2) | instskip(NEXT) | instid1(VALU_DEP_2)
	v_lshlrev_b64 v[0:1], v0, -1
	v_lshlrev_b64 v[2:3], v2, 1
	s_delay_alu instid0(VALU_DEP_2) | instskip(NEXT) | instid1(VALU_DEP_3)
	v_not_b32_e32 v1, v1
	v_not_b32_e32 v0, v0
	s_delay_alu instid0(VALU_DEP_2) | instskip(NEXT) | instid1(VALU_DEP_2)
	v_and_b32_e32 v24, 0, v1
	v_and_b32_e32 v23, v15, v0
	v_lshrrev_b64 v[0:1], v22, v[15:16]
	s_delay_alu instid0(VALU_DEP_2) | instskip(NEXT) | instid1(VALU_DEP_2)
	v_cmp_eq_u64_e64 s2, v[23:24], v[2:3]
	v_dual_mov_b32 v3, v1 :: v_dual_mov_b32 v2, v0
	s_delay_alu instid0(VALU_DEP_2)
	s_and_saveexec_b32 s23, s2
; %bb.158:                              ;   in Loop: Header=BB4_112 Depth=1
	v_bfe_u32 v2, v0, 20, 1
	s_delay_alu instid0(VALU_DEP_1) | instskip(NEXT) | instid1(VALU_DEP_1)
	v_add_co_u32 v2, s2, v0, v2
	v_add_co_u32 v2, s2, v2, -1
; %bb.159:                              ;   in Loop: Header=BB4_112 Depth=1
	s_or_b32 exec_lo, exec_lo, s23
	v_add_nc_u32_e32 v3, 0xffffff81, v21
	v_lshrrev_b32_e32 v15, 23, v0
	s_delay_alu instid0(VALU_DEP_3) | instskip(SKIP_1) | instid1(VALU_DEP_3)
	v_and_b32_e32 v2, 0xfffff, v2
	s_mov_b32 s2, exec_lo
	v_cndmask_b32_e64 v3, v3, 0xffffff82, vcc_lo
	s_delay_alu instid0(VALU_DEP_2) | instskip(SKIP_1) | instid1(VALU_DEP_3)
	v_add_co_u32 v0, vcc_lo, v2, v0
	v_add_co_ci_u32_e32 v1, vcc_lo, 0, v1, vcc_lo
	v_add3_u32 v3, v22, v3, v15
                                        ; implicit-def: $vgpr2
	s_delay_alu instid0(VALU_DEP_1) | instskip(NEXT) | instid1(VALU_DEP_1)
	v_add_nc_u32_e32 v15, 6, v3
	v_cmpx_ne_u32_e32 0, v15
	s_xor_b32 s2, exec_lo, s2
; %bb.160:                              ;   in Loop: Header=BB4_112 Depth=1
	v_cmp_lt_u64_e32 vcc_lo, 0xffffff, v[0:1]
	v_add_nc_u32_e32 v2, 7, v3
	v_cndmask_b32_e64 v3, 0, 1, vcc_lo
	s_delay_alu instid0(VALU_DEP_2) | instskip(NEXT) | instid1(VALU_DEP_2)
	v_cndmask_b32_e32 v2, v15, v2, vcc_lo
	v_lshrrev_b64 v[0:1], v3, v[0:1]
; %bb.161:                              ;   in Loop: Header=BB4_112 Depth=1
	s_and_not1_saveexec_b32 s2, s2
; %bb.162:                              ;   in Loop: Header=BB4_112 Depth=1
	s_delay_alu instid0(VALU_DEP_1)
	v_bfe_u32 v2, v0, 23, 1
; %bb.163:                              ;   in Loop: Header=BB4_112 Depth=1
	s_or_b32 exec_lo, exec_lo, s2
	s_delay_alu instid0(VALU_DEP_2) | instskip(NEXT) | instid1(VALU_DEP_2)
	v_lshrrev_b64 v[0:1], 20, v[0:1]
	v_cmp_gt_i32_e32 vcc_lo, 16, v2
	v_min_i32_e32 v3, 15, v2
	v_cmp_eq_u32_e64 s2, 0, v2
	s_delay_alu instid0(VALU_DEP_4) | instskip(NEXT) | instid1(VALU_DEP_3)
	v_dual_cndmask_b32 v1, 0, v1 :: v_dual_cndmask_b32 v0, 7, v0
	v_lshlrev_b32_e32 v3, 3, v3
	s_delay_alu instid0(VALU_DEP_2) | instskip(NEXT) | instid1(VALU_DEP_2)
	v_cmp_eq_u64_e32 vcc_lo, 0, v[0:1]
	v_and_or_b32 v0, v0, 7, v3
	s_and_b32 s2, s2, vcc_lo
	s_delay_alu instid0(VALU_DEP_1) | instid1(SALU_CYCLE_1)
	v_cndmask_b32_e64 v0, v0, 0, s2
	s_delay_alu instid0(VALU_DEP_1)
	v_or_b32_e32 v0, v0, v18
.LBB4_164:                              ;   in Loop: Header=BB4_112 Depth=1
	s_or_b32 exec_lo, exec_lo, s22
.LBB4_165:                              ;   in Loop: Header=BB4_112 Depth=1
	s_delay_alu instid0(SALU_CYCLE_1)
	s_or_b32 exec_lo, exec_lo, s11
                                        ; implicit-def: $vgpr2
.LBB4_166:                              ;   in Loop: Header=BB4_112 Depth=1
	s_and_not1_saveexec_b32 s2, s8
	s_cbranch_execz .LBB4_111
; %bb.167:                              ;   in Loop: Header=BB4_112 Depth=1
	v_cmp_eq_u64_e32 vcc_lo, 0, v[15:16]
	v_or_b32_e32 v1, 0x7f, v2
	s_delay_alu instid0(VALU_DEP_1)
	v_cndmask_b32_e32 v0, v1, v0, vcc_lo
	s_branch .LBB4_111
.LBB4_168:
	s_or_b32 exec_lo, exec_lo, s9
	s_cmp_lt_i32 s13, 1
	s_cbranch_scc1 .LBB4_189
; %bb.169:
	s_clause 0x1
	s_load_b64 s[8:9], s[0:1], 0x8
	s_load_b64 s[0:1], s[0:1], 0x18
	s_mul_i32 s2, s20, s19
	s_waitcnt lgkmcnt(0)
	s_mul_hi_u32 s7, s20, s18
	s_mul_i32 s10, s20, s18
	s_add_i32 s2, s7, s2
	s_mul_i32 s7, s21, s18
	s_mul_hi_u32 s11, s15, s20
	s_add_i32 s2, s2, s7
	s_sub_u32 s7, s16, s10
	s_mul_i32 s10, s15, s21
	s_subb_u32 s2, s17, s2
	s_add_i32 s10, s11, s10
	s_mul_i32 s4, s4, s20
	s_mul_i32 s15, s15, s20
	;; [unrolled: 1-line block ×3, first 2 shown]
	s_add_i32 s10, s10, s4
	s_mul_hi_u32 s4, s11, s15
	s_mul_i32 s10, s11, s10
	s_mul_hi_i32 s6, s6, s18
	s_add_i32 s4, s4, s10
	s_mul_i32 s6, s6, s15
	s_mul_i32 s11, s11, s15
	s_add_i32 s4, s4, s6
	s_add_u32 s6, s0, s11
	v_mul_lo_u32 v0, v6, s12
	s_addc_u32 s4, s1, s4
	s_ashr_i32 s0, s5, 31
	s_mul_hi_u32 s1, s5, s14
	s_mul_i32 s0, s0, s14
	v_add_co_u32 v2, vcc_lo, s6, v9
	s_add_i32 s1, s1, s0
	s_mul_i32 s0, s5, s14
	v_add_co_ci_u32_e32 v3, vcc_lo, s4, v10, vcc_lo
	s_lshl_b64 s[0:1], s[0:1], 2
	v_ashrrev_i32_e32 v1, 31, v0
	v_add_co_u32 v6, vcc_lo, s0, v7
	v_add_co_ci_u32_e32 v7, vcc_lo, s1, v8, vcc_lo
	v_add_co_u32 v0, vcc_lo, v2, v0
	s_delay_alu instid0(VALU_DEP_4) | instskip(NEXT) | instid1(VALU_DEP_4)
	v_add_co_ci_u32_e32 v1, vcc_lo, v3, v1, vcc_lo
	v_add_co_u32 v2, vcc_lo, v6, v4
	s_delay_alu instid0(VALU_DEP_4) | instskip(NEXT) | instid1(VALU_DEP_4)
	;; [unrolled: 3-line block ×3, first 2 shown]
	v_add_co_ci_u32_e32 v9, vcc_lo, s2, v1, vcc_lo
	v_add_co_u32 v0, vcc_lo, s8, v2
	s_delay_alu instid0(VALU_DEP_4)
	v_add_co_ci_u32_e32 v1, vcc_lo, s9, v3, vcc_lo
	v_mov_b32_e32 v3, 0
	s_mov_b32 s1, 0
	s_branch .LBB4_171
.LBB4_170:                              ;   in Loop: Header=BB4_171 Depth=1
	s_or_b32 exec_lo, exec_lo, s0
	s_ashr_i32 s0, s1, 31
	v_add_co_u32 v6, vcc_lo, v8, s1
	v_add_co_ci_u32_e32 v7, vcc_lo, s0, v9, vcc_lo
	v_add_co_u32 v0, vcc_lo, v0, 4
	v_add_co_ci_u32_e32 v1, vcc_lo, 0, v1, vcc_lo
	s_add_i32 s13, s13, -1
	s_add_i32 s1, s1, s12
	s_cmp_lg_u32 s13, 0
	global_store_b8 v[6:7], v5, off
	s_cbranch_scc0 .LBB4_189
.LBB4_171:                              ; =>This Inner Loop Header: Depth=1
	global_load_b32 v2, v[0:1], off
	s_mov_b32 s0, exec_lo
	v_mov_b32_e32 v12, v3
	s_waitcnt vmcnt(0)
	v_div_scale_f32 v4, null, s3, s3, v2
	s_delay_alu instid0(VALU_DEP_1) | instskip(SKIP_2) | instid1(VALU_DEP_1)
	v_rcp_f32_e32 v5, v4
	s_waitcnt_depctr 0xfff
	v_fma_f32 v6, -v4, v5, 1.0
	v_fmac_f32_e32 v5, v6, v5
	v_div_scale_f32 v6, vcc_lo, v2, s3, v2
	s_delay_alu instid0(VALU_DEP_1) | instskip(NEXT) | instid1(VALU_DEP_1)
	v_mul_f32_e32 v7, v6, v5
	v_fma_f32 v10, -v4, v7, v6
	s_delay_alu instid0(VALU_DEP_1) | instskip(NEXT) | instid1(VALU_DEP_1)
	v_fmac_f32_e32 v7, v10, v5
	v_fma_f32 v4, -v4, v7, v6
	s_delay_alu instid0(VALU_DEP_1) | instskip(NEXT) | instid1(VALU_DEP_1)
	v_div_fmas_f32 v4, v4, v5, v7
	v_div_fixup_f32 v4, v4, s3, v2
	s_delay_alu instid0(VALU_DEP_1) | instskip(SKIP_2) | instid1(VALU_DEP_2)
	v_and_b32_e32 v2, 0x7fffff, v4
	v_lshrrev_b32_e32 v6, 24, v4
	v_and_b32_e32 v11, 0x7f800000, v4
	v_and_b32_e32 v10, 0x80, v6
	s_delay_alu instid0(VALU_DEP_1) | instskip(NEXT) | instid1(VALU_DEP_3)
	v_or_b32_e32 v5, 0x7e, v10
	v_cmpx_ne_u64_e32 0x7f800000, v[11:12]
	s_xor_b32 s2, exec_lo, s0
	s_cbranch_execz .LBB4_187
; %bb.172:                              ;   in Loop: Header=BB4_171 Depth=1
	v_dual_mov_b32 v7, v3 :: v_dual_and_b32 v6, 0x7fffffff, v4
	s_mov_b32 s0, exec_lo
	s_delay_alu instid0(VALU_DEP_1)
	v_cmpx_gt_u64_e32 0x43e00001, v[6:7]
	s_xor_b32 s4, exec_lo, s0
	s_cbranch_execz .LBB4_186
; %bb.173:                              ;   in Loop: Header=BB4_171 Depth=1
	v_mov_b32_e32 v5, 0
	s_mov_b32 s5, exec_lo
	v_cmpx_ne_u32_e32 0, v4
	s_cbranch_execz .LBB4_185
; %bb.174:                              ;   in Loop: Header=BB4_171 Depth=1
	v_bfe_u32 v11, v4, 23, 8
	v_or_b32_e32 v6, 0x800000, v2
	s_delay_alu instid0(VALU_DEP_2) | instskip(SKIP_1) | instid1(VALU_DEP_2)
	v_sub_nc_u32_e32 v4, 0x79, v11
	v_cmp_gt_u32_e32 vcc_lo, 0x7a, v11
	v_cndmask_b32_e32 v4, 0, v4, vcc_lo
	v_cmp_eq_u32_e32 vcc_lo, 0, v11
	s_delay_alu instid0(VALU_DEP_2) | instskip(SKIP_1) | instid1(VALU_DEP_2)
	v_cndmask_b32_e64 v12, v4, 0x78, vcc_lo
	v_cndmask_b32_e32 v2, v6, v2, vcc_lo
	v_add_nc_u32_e32 v4, 20, v12
	v_add_nc_u32_e32 v6, 19, v12
	s_delay_alu instid0(VALU_DEP_2) | instskip(NEXT) | instid1(VALU_DEP_2)
	v_lshlrev_b64 v[4:5], v4, -1
	v_lshlrev_b64 v[6:7], v6, 1
	s_delay_alu instid0(VALU_DEP_2) | instskip(NEXT) | instid1(VALU_DEP_3)
	v_not_b32_e32 v5, v5
	v_not_b32_e32 v4, v4
	s_delay_alu instid0(VALU_DEP_2) | instskip(NEXT) | instid1(VALU_DEP_2)
	v_and_b32_e32 v14, 0, v5
	v_and_b32_e32 v13, v2, v4
	v_lshrrev_b64 v[4:5], v12, v[2:3]
	s_delay_alu instid0(VALU_DEP_2) | instskip(NEXT) | instid1(VALU_DEP_2)
	v_cmp_eq_u64_e64 s0, v[13:14], v[6:7]
	v_dual_mov_b32 v7, v5 :: v_dual_mov_b32 v6, v4
	s_delay_alu instid0(VALU_DEP_2)
	s_and_saveexec_b32 s6, s0
; %bb.175:                              ;   in Loop: Header=BB4_171 Depth=1
	v_bfe_u32 v2, v4, 20, 1
	s_delay_alu instid0(VALU_DEP_1) | instskip(NEXT) | instid1(VALU_DEP_1)
	v_add_co_u32 v2, s0, v4, v2
	v_add_co_u32 v6, s0, v2, -1
; %bb.176:                              ;   in Loop: Header=BB4_171 Depth=1
	s_or_b32 exec_lo, exec_lo, s6
	v_add_nc_u32_e32 v2, 0xffffff81, v11
	v_lshrrev_b32_e32 v7, 23, v4
	s_mov_b32 s0, exec_lo
	s_delay_alu instid0(VALU_DEP_2) | instskip(NEXT) | instid1(VALU_DEP_1)
	v_cndmask_b32_e64 v2, v2, 0xffffff82, vcc_lo
	v_add3_u32 v7, v12, v2, v7
	v_and_b32_e32 v2, 0xfffff, v6
	s_delay_alu instid0(VALU_DEP_2) | instskip(NEXT) | instid1(VALU_DEP_2)
	v_add_nc_u32_e32 v6, 6, v7
	v_add_co_u32 v4, vcc_lo, v2, v4
	v_add_co_ci_u32_e32 v5, vcc_lo, 0, v5, vcc_lo
                                        ; implicit-def: $vgpr2
	s_delay_alu instid0(VALU_DEP_3)
	v_cmpx_ne_u32_e32 0, v6
	s_xor_b32 s0, exec_lo, s0
; %bb.177:                              ;   in Loop: Header=BB4_171 Depth=1
	s_delay_alu instid0(VALU_DEP_2) | instskip(SKIP_1) | instid1(VALU_DEP_1)
	v_cmp_lt_u64_e32 vcc_lo, 0xffffff, v[4:5]
	v_add_nc_u32_e32 v2, 7, v7
	v_cndmask_b32_e32 v2, v6, v2, vcc_lo
	v_cndmask_b32_e64 v6, 0, 1, vcc_lo
	s_delay_alu instid0(VALU_DEP_1)
	v_lshrrev_b64 v[4:5], v6, v[4:5]
; %bb.178:                              ;   in Loop: Header=BB4_171 Depth=1
	s_and_not1_saveexec_b32 s0, s0
; %bb.179:                              ;   in Loop: Header=BB4_171 Depth=1
	s_delay_alu instid0(VALU_DEP_1)
	v_bfe_u32 v2, v4, 23, 1
; %bb.180:                              ;   in Loop: Header=BB4_171 Depth=1
	s_or_b32 exec_lo, exec_lo, s0
	s_delay_alu instid0(VALU_DEP_2) | instskip(NEXT) | instid1(VALU_DEP_2)
	v_lshrrev_b64 v[4:5], 20, v[4:5]
	v_cmp_gt_i32_e32 vcc_lo, 16, v2
	v_cmp_ne_u32_e64 s0, 0, v2
	s_delay_alu instid0(VALU_DEP_3) | instskip(NEXT) | instid1(VALU_DEP_1)
	v_dual_cndmask_b32 v5, 0, v5 :: v_dual_cndmask_b32 v4, 7, v4
	v_cmp_ne_u64_e32 vcc_lo, 0, v[4:5]
                                        ; implicit-def: $vgpr5
	s_delay_alu instid0(VALU_DEP_3) | instskip(NEXT) | instid1(SALU_CYCLE_1)
	s_or_b32 s0, s0, vcc_lo
	s_and_saveexec_b32 s6, s0
	s_delay_alu instid0(SALU_CYCLE_1)
	s_xor_b32 s0, exec_lo, s6
; %bb.181:                              ;   in Loop: Header=BB4_171 Depth=1
	v_min_i32_e32 v2, 15, v2
	s_delay_alu instid0(VALU_DEP_1) | instskip(NEXT) | instid1(VALU_DEP_1)
	v_lshl_or_b32 v2, v2, 3, v10
                                        ; implicit-def: $vgpr10
	v_and_or_b32 v5, v4, 7, v2
; %bb.182:                              ;   in Loop: Header=BB4_171 Depth=1
	s_and_not1_saveexec_b32 s0, s0
; %bb.183:                              ;   in Loop: Header=BB4_171 Depth=1
	v_mov_b32_e32 v5, v10
; %bb.184:                              ;   in Loop: Header=BB4_171 Depth=1
	s_or_b32 exec_lo, exec_lo, s0
.LBB4_185:                              ;   in Loop: Header=BB4_171 Depth=1
	s_delay_alu instid0(SALU_CYCLE_1)
	s_or_b32 exec_lo, exec_lo, s5
.LBB4_186:                              ;   in Loop: Header=BB4_171 Depth=1
	s_and_not1_saveexec_b32 s0, s4
	s_delay_alu instid0(SALU_CYCLE_1)
	s_or_b32 exec_lo, exec_lo, s0
                                        ; implicit-def: $vgpr6
.LBB4_187:                              ;   in Loop: Header=BB4_171 Depth=1
	s_and_not1_saveexec_b32 s0, s2
	s_cbranch_execz .LBB4_170
; %bb.188:                              ;   in Loop: Header=BB4_171 Depth=1
	v_cmp_eq_u64_e32 vcc_lo, 0, v[2:3]
	v_or_b32_e32 v4, 0x7f, v6
	s_delay_alu instid0(VALU_DEP_1)
	v_cndmask_b32_e32 v5, v4, v5, vcc_lo
	s_branch .LBB4_170
.LBB4_189:
	s_nop 0
	s_sendmsg sendmsg(MSG_DEALLOC_VGPRS)
	s_endpgm
.LBB4_190:
                                        ; implicit-def: $sgpr20_sgpr21
	s_load_b64 s[24:25], s[0:1], 0x10
	s_branch .LBB4_4
	.section	.rodata,"a",@progbits
	.p2align	6, 0x0
	.amdhsa_kernel _ZN4vllm24reshape_and_cache_kernelIfhLNS_18Fp8KVCacheDataTypeE1EEEvPKT_S4_PT0_S6_PKliiiiiiPKfSA_
		.amdhsa_group_segment_fixed_size 0
		.amdhsa_private_segment_fixed_size 0
		.amdhsa_kernarg_size 80
		.amdhsa_user_sgpr_count 15
		.amdhsa_user_sgpr_dispatch_ptr 0
		.amdhsa_user_sgpr_queue_ptr 0
		.amdhsa_user_sgpr_kernarg_segment_ptr 1
		.amdhsa_user_sgpr_dispatch_id 0
		.amdhsa_user_sgpr_private_segment_size 0
		.amdhsa_wavefront_size32 1
		.amdhsa_uses_dynamic_stack 0
		.amdhsa_enable_private_segment 0
		.amdhsa_system_sgpr_workgroup_id_x 1
		.amdhsa_system_sgpr_workgroup_id_y 0
		.amdhsa_system_sgpr_workgroup_id_z 0
		.amdhsa_system_sgpr_workgroup_info 0
		.amdhsa_system_vgpr_workitem_id 0
		.amdhsa_next_free_vgpr 32
		.amdhsa_next_free_sgpr 35
		.amdhsa_reserve_vcc 1
		.amdhsa_float_round_mode_32 0
		.amdhsa_float_round_mode_16_64 0
		.amdhsa_float_denorm_mode_32 3
		.amdhsa_float_denorm_mode_16_64 3
		.amdhsa_dx10_clamp 1
		.amdhsa_ieee_mode 1
		.amdhsa_fp16_overflow 0
		.amdhsa_workgroup_processor_mode 1
		.amdhsa_memory_ordered 1
		.amdhsa_forward_progress 0
		.amdhsa_shared_vgpr_count 0
		.amdhsa_exception_fp_ieee_invalid_op 0
		.amdhsa_exception_fp_denorm_src 0
		.amdhsa_exception_fp_ieee_div_zero 0
		.amdhsa_exception_fp_ieee_overflow 0
		.amdhsa_exception_fp_ieee_underflow 0
		.amdhsa_exception_fp_ieee_inexact 0
		.amdhsa_exception_int_div_zero 0
	.end_amdhsa_kernel
	.section	.text._ZN4vllm24reshape_and_cache_kernelIfhLNS_18Fp8KVCacheDataTypeE1EEEvPKT_S4_PT0_S6_PKliiiiiiPKfSA_,"axG",@progbits,_ZN4vllm24reshape_and_cache_kernelIfhLNS_18Fp8KVCacheDataTypeE1EEEvPKT_S4_PT0_S6_PKliiiiiiPKfSA_,comdat
.Lfunc_end4:
	.size	_ZN4vllm24reshape_and_cache_kernelIfhLNS_18Fp8KVCacheDataTypeE1EEEvPKT_S4_PT0_S6_PKliiiiiiPKfSA_, .Lfunc_end4-_ZN4vllm24reshape_and_cache_kernelIfhLNS_18Fp8KVCacheDataTypeE1EEEvPKT_S4_PT0_S6_PKliiiiiiPKfSA_
                                        ; -- End function
	.section	.AMDGPU.csdata,"",@progbits
; Kernel info:
; codeLenInByte = 10380
; NumSgprs: 37
; NumVgprs: 32
; ScratchSize: 0
; MemoryBound: 0
; FloatMode: 240
; IeeeMode: 1
; LDSByteSize: 0 bytes/workgroup (compile time only)
; SGPRBlocks: 4
; VGPRBlocks: 3
; NumSGPRsForWavesPerEU: 37
; NumVGPRsForWavesPerEU: 32
; Occupancy: 16
; WaveLimiterHint : 0
; COMPUTE_PGM_RSRC2:SCRATCH_EN: 0
; COMPUTE_PGM_RSRC2:USER_SGPR: 15
; COMPUTE_PGM_RSRC2:TRAP_HANDLER: 0
; COMPUTE_PGM_RSRC2:TGID_X_EN: 1
; COMPUTE_PGM_RSRC2:TGID_Y_EN: 0
; COMPUTE_PGM_RSRC2:TGID_Z_EN: 0
; COMPUTE_PGM_RSRC2:TIDIG_COMP_CNT: 0
	.section	.text._ZN4vllm24reshape_and_cache_kernelIthLNS_18Fp8KVCacheDataTypeE1EEEvPKT_S4_PT0_S6_PKliiiiiiPKfSA_,"axG",@progbits,_ZN4vllm24reshape_and_cache_kernelIthLNS_18Fp8KVCacheDataTypeE1EEEvPKT_S4_PT0_S6_PKliiiiiiPKfSA_,comdat
	.protected	_ZN4vllm24reshape_and_cache_kernelIthLNS_18Fp8KVCacheDataTypeE1EEEvPKT_S4_PT0_S6_PKliiiiiiPKfSA_ ; -- Begin function _ZN4vllm24reshape_and_cache_kernelIthLNS_18Fp8KVCacheDataTypeE1EEEvPKT_S4_PT0_S6_PKliiiiiiPKfSA_
	.globl	_ZN4vllm24reshape_and_cache_kernelIthLNS_18Fp8KVCacheDataTypeE1EEEvPKT_S4_PT0_S6_PKliiiiiiPKfSA_
	.p2align	8
	.type	_ZN4vllm24reshape_and_cache_kernelIthLNS_18Fp8KVCacheDataTypeE1EEEvPKT_S4_PT0_S6_PKliiiiiiPKfSA_,@function
_ZN4vllm24reshape_and_cache_kernelIthLNS_18Fp8KVCacheDataTypeE1EEEvPKT_S4_PT0_S6_PKliiiiiiPKfSA_: ; @_ZN4vllm24reshape_and_cache_kernelIthLNS_18Fp8KVCacheDataTypeE1EEEvPKT_S4_PT0_S6_PKliiiiiiPKfSA_
; %bb.0:
	s_load_b64 s[2:3], s[0:1], 0x20
	s_mov_b32 s22, s15
	s_mov_b32 s23, 0
	s_delay_alu instid0(SALU_CYCLE_1)
	s_lshl_b64 s[4:5], s[22:23], 3
	s_waitcnt lgkmcnt(0)
	s_add_u32 s2, s2, s4
	s_addc_u32 s3, s3, s5
	s_load_b64 s[24:25], s[2:3], 0x0
	s_waitcnt lgkmcnt(0)
	v_cmp_lt_i64_e64 s2, s[24:25], 0
	s_delay_alu instid0(VALU_DEP_1)
	s_and_b32 vcc_lo, exec_lo, s2
	s_cbranch_vccnz .LBB5_378
; %bb.1:
	s_clause 0x1
	s_load_b64 s[20:21], s[0:1], 0x38
	s_load_b128 s[16:19], s[0:1], 0x28
	s_waitcnt lgkmcnt(0)
	s_abs_i32 s2, s21
	s_abs_i32 s5, s19
	v_cvt_f32_u32_e32 v1, s2
	s_sub_i32 s4, 0, s2
	s_delay_alu instid0(VALU_DEP_1) | instskip(SKIP_2) | instid1(VALU_DEP_1)
	v_rcp_iflag_f32_e32 v1, v1
	s_waitcnt_depctr 0xfff
	v_mul_f32_e32 v1, 0x4f7ffffe, v1
	v_cvt_u32_f32_e32 v1, v1
	s_delay_alu instid0(VALU_DEP_1) | instskip(NEXT) | instid1(VALU_DEP_1)
	v_readfirstlane_b32 s3, v1
	s_mul_i32 s4, s4, s3
	s_delay_alu instid0(SALU_CYCLE_1) | instskip(NEXT) | instid1(SALU_CYCLE_1)
	s_mul_hi_u32 s4, s3, s4
	s_add_i32 s3, s3, s4
	s_xor_b32 s4, s19, s21
	s_mul_hi_u32 s3, s5, s3
	s_ashr_i32 s4, s4, 31
	s_mul_i32 s6, s3, s2
	s_delay_alu instid0(SALU_CYCLE_1)
	s_sub_i32 s5, s5, s6
	s_add_i32 s6, s3, 1
	s_sub_i32 s7, s5, s2
	s_cmp_ge_u32 s5, s2
	s_cselect_b32 s3, s6, s3
	s_cselect_b32 s5, s7, s5
	s_add_i32 s6, s3, 1
	s_cmp_ge_u32 s5, s2
	s_cselect_b32 s2, s6, s3
	s_delay_alu instid0(SALU_CYCLE_1) | instskip(NEXT) | instid1(SALU_CYCLE_1)
	s_xor_b32 s2, s2, s4
	s_sub_i32 s8, s2, s4
	s_mov_b32 s2, exec_lo
	s_mul_i32 s38, s8, s18
	s_delay_alu instid0(SALU_CYCLE_1)
	v_cmpx_gt_i32_e64 s38, v0
	s_cbranch_execz .LBB5_378
; %bb.2:
	s_load_b64 s[34:35], s[0:1], 0x0
	s_ashr_i32 s27, s20, 31
	s_mov_b32 s26, s20
	s_delay_alu instid0(SALU_CYCLE_1) | instskip(SKIP_1) | instid1(SALU_CYCLE_1)
	s_or_b64 s[2:3], s[24:25], s[26:27]
	s_mov_b32 s2, 0
	s_cmp_lg_u64 s[2:3], 0
	s_cbranch_scc0 .LBB5_352
; %bb.3:
	s_add_u32 s6, s26, s27
	s_mov_b32 s4, s27
	s_mov_b32 s5, s27
	s_addc_u32 s7, s27, s27
	s_delay_alu instid0(SALU_CYCLE_1) | instskip(NEXT) | instid1(SALU_CYCLE_1)
	s_xor_b64 s[6:7], s[6:7], s[4:5]
	v_cvt_f32_u32_e32 v1, s6
	v_cvt_f32_u32_e32 v2, s7
	s_sub_u32 s10, 0, s6
	s_subb_u32 s11, 0, s7
	s_delay_alu instid0(VALU_DEP_1) | instskip(NEXT) | instid1(VALU_DEP_1)
	v_fmamk_f32 v1, v2, 0x4f800000, v1
	v_rcp_f32_e32 v1, v1
	s_waitcnt_depctr 0xfff
	v_mul_f32_e32 v1, 0x5f7ffffc, v1
	s_delay_alu instid0(VALU_DEP_1) | instskip(NEXT) | instid1(VALU_DEP_1)
	v_mul_f32_e32 v2, 0x2f800000, v1
	v_trunc_f32_e32 v2, v2
	s_delay_alu instid0(VALU_DEP_1) | instskip(SKIP_1) | instid1(VALU_DEP_2)
	v_fmamk_f32 v1, v2, 0xcf800000, v1
	v_cvt_u32_f32_e32 v2, v2
	v_cvt_u32_f32_e32 v1, v1
	s_delay_alu instid0(VALU_DEP_2) | instskip(NEXT) | instid1(VALU_DEP_2)
	v_readfirstlane_b32 s3, v2
	v_readfirstlane_b32 s9, v1
	s_delay_alu instid0(VALU_DEP_2) | instskip(NEXT) | instid1(VALU_DEP_1)
	s_mul_i32 s12, s10, s3
	s_mul_hi_u32 s14, s10, s9
	s_mul_i32 s13, s11, s9
	s_add_i32 s12, s14, s12
	s_mul_i32 s15, s10, s9
	s_add_i32 s12, s12, s13
	s_mul_hi_u32 s14, s9, s15
	s_mul_hi_u32 s23, s3, s15
	s_mul_i32 s13, s3, s15
	s_mul_hi_u32 s15, s9, s12
	s_mul_i32 s9, s9, s12
	s_mul_hi_u32 s28, s3, s12
	s_add_u32 s9, s14, s9
	s_addc_u32 s14, 0, s15
	s_add_u32 s9, s9, s13
	s_mul_i32 s12, s3, s12
	s_addc_u32 s9, s14, s23
	s_addc_u32 s13, s28, 0
	s_add_u32 s9, s9, s12
	s_addc_u32 s12, 0, s13
	v_add_co_u32 v1, s9, v1, s9
	s_delay_alu instid0(VALU_DEP_1) | instskip(SKIP_1) | instid1(VALU_DEP_1)
	s_cmp_lg_u32 s9, 0
	s_addc_u32 s3, s3, s12
	v_readfirstlane_b32 s9, v1
	s_mul_i32 s12, s10, s3
	s_delay_alu instid0(VALU_DEP_1)
	s_mul_hi_u32 s13, s10, s9
	s_mul_i32 s11, s11, s9
	s_add_i32 s12, s13, s12
	s_mul_i32 s10, s10, s9
	s_add_i32 s12, s12, s11
	s_mul_hi_u32 s13, s3, s10
	s_mul_i32 s14, s3, s10
	s_mul_hi_u32 s10, s9, s10
	s_mul_hi_u32 s15, s9, s12
	s_mul_i32 s9, s9, s12
	s_mul_hi_u32 s11, s3, s12
	s_add_u32 s9, s10, s9
	s_addc_u32 s10, 0, s15
	s_add_u32 s9, s9, s14
	s_mul_i32 s12, s3, s12
	s_addc_u32 s9, s10, s13
	s_addc_u32 s10, s11, 0
	s_add_u32 s9, s9, s12
	s_addc_u32 s10, 0, s10
	v_add_co_u32 v1, s9, v1, s9
	s_delay_alu instid0(VALU_DEP_1) | instskip(SKIP_2) | instid1(VALU_DEP_1)
	s_cmp_lg_u32 s9, 0
	s_addc_u32 s3, s3, s10
	s_ashr_i32 s10, s25, 31
	v_readfirstlane_b32 s9, v1
	s_add_u32 s12, s24, s10
	s_mov_b32 s11, s10
	s_addc_u32 s13, s25, s10
	s_delay_alu instid0(SALU_CYCLE_1) | instskip(NEXT) | instid1(SALU_CYCLE_1)
	s_xor_b64 s[12:13], s[12:13], s[10:11]
	s_mul_i32 s15, s12, s3
	s_mul_hi_u32 s23, s12, s9
	s_mul_hi_u32 s14, s12, s3
	;; [unrolled: 1-line block ×3, first 2 shown]
	s_mul_i32 s9, s13, s9
	s_add_u32 s15, s23, s15
	s_addc_u32 s14, 0, s14
	s_mul_hi_u32 s28, s13, s3
	s_add_u32 s9, s15, s9
	s_mul_i32 s3, s13, s3
	s_addc_u32 s9, s14, s29
	s_addc_u32 s14, s28, 0
	s_add_u32 s3, s9, s3
	s_addc_u32 s9, 0, s14
	s_mul_i32 s28, s6, s3
	s_mul_hi_u32 s14, s6, s3
	s_mul_i32 s23, s6, s9
	v_sub_co_u32 v1, s12, s12, s28
	s_mul_i32 s15, s7, s3
	s_add_i32 s14, s14, s23
	s_delay_alu instid0(SALU_CYCLE_1) | instskip(NEXT) | instid1(VALU_DEP_1)
	s_add_i32 s14, s14, s15
	v_sub_co_u32 v2, s23, v1, s6
	s_sub_i32 s15, s13, s14
	s_cmp_lg_u32 s12, 0
	s_subb_u32 s15, s15, s7
	s_cmp_lg_u32 s23, 0
	v_readfirstlane_b32 s23, v2
	s_subb_u32 s15, s15, 0
	s_delay_alu instid0(SALU_CYCLE_1) | instskip(SKIP_1) | instid1(VALU_DEP_1)
	s_cmp_ge_u32 s15, s7
	s_cselect_b32 s28, -1, 0
	s_cmp_ge_u32 s23, s6
	s_cselect_b32 s23, -1, 0
	s_cmp_eq_u32 s15, s7
	s_cselect_b32 s15, s23, s28
	s_add_u32 s23, s3, 1
	s_addc_u32 s28, s9, 0
	s_add_u32 s29, s3, 2
	s_addc_u32 s30, s9, 0
	s_cmp_lg_u32 s15, 0
	s_cselect_b32 s15, s29, s23
	s_cselect_b32 s23, s30, s28
	s_cmp_lg_u32 s12, 0
	v_readfirstlane_b32 s12, v1
	s_subb_u32 s13, s13, s14
	s_delay_alu instid0(SALU_CYCLE_1) | instskip(SKIP_1) | instid1(VALU_DEP_1)
	s_cmp_ge_u32 s13, s7
	s_cselect_b32 s14, -1, 0
	s_cmp_ge_u32 s12, s6
	s_cselect_b32 s6, -1, 0
	s_cmp_eq_u32 s13, s7
	s_cselect_b32 s6, s6, s14
	s_delay_alu instid0(SALU_CYCLE_1) | instskip(SKIP_3) | instid1(SALU_CYCLE_1)
	s_cmp_lg_u32 s6, 0
	s_cselect_b32 s7, s23, s9
	s_cselect_b32 s6, s15, s3
	s_xor_b64 s[4:5], s[10:11], s[4:5]
	s_xor_b64 s[6:7], s[6:7], s[4:5]
	s_delay_alu instid0(SALU_CYCLE_1)
	s_sub_u32 s30, s6, s4
	s_subb_u32 s31, s7, s5
	s_load_b64 s[28:29], s[0:1], 0x10
	s_and_not1_b32 vcc_lo, exec_lo, s2
	s_cbranch_vccnz .LBB5_5
.LBB5_4:
	v_cvt_f32_u32_e32 v1, s26
	s_sub_i32 s3, 0, s26
	s_mov_b32 s31, 0
	s_delay_alu instid0(VALU_DEP_1) | instskip(SKIP_2) | instid1(VALU_DEP_1)
	v_rcp_iflag_f32_e32 v1, v1
	s_waitcnt_depctr 0xfff
	v_mul_f32_e32 v1, 0x4f7ffffe, v1
	v_cvt_u32_f32_e32 v1, v1
	s_delay_alu instid0(VALU_DEP_1) | instskip(NEXT) | instid1(VALU_DEP_1)
	v_readfirstlane_b32 s2, v1
	s_mul_i32 s3, s3, s2
	s_delay_alu instid0(SALU_CYCLE_1) | instskip(NEXT) | instid1(SALU_CYCLE_1)
	s_mul_hi_u32 s3, s2, s3
	s_add_i32 s2, s2, s3
	s_delay_alu instid0(SALU_CYCLE_1) | instskip(NEXT) | instid1(SALU_CYCLE_1)
	s_mul_hi_u32 s2, s24, s2
	s_mul_i32 s3, s2, s26
	s_add_i32 s4, s2, 1
	s_sub_i32 s3, s24, s3
	s_delay_alu instid0(SALU_CYCLE_1)
	s_sub_i32 s5, s3, s26
	s_cmp_ge_u32 s3, s26
	s_cselect_b32 s2, s4, s2
	s_cselect_b32 s3, s5, s3
	s_add_i32 s4, s2, 1
	s_cmp_ge_u32 s3, s26
	s_cselect_b32 s30, s4, s2
.LBB5_5:
	s_delay_alu instid0(SALU_CYCLE_1)
	s_mul_i32 s2, s30, s27
	s_mul_hi_u32 s3, s30, s26
	s_mul_i32 s4, s30, s26
	s_add_i32 s2, s3, s2
	s_mul_i32 s3, s31, s26
	s_mul_hi_i32 s40, s8, s18
	s_add_i32 s2, s2, s3
	s_sub_u32 s33, s24, s4
	s_subb_u32 s36, s25, s2
	s_abs_i32 s2, s8
	s_load_b128 s[4:7], s[0:1], 0x40
	v_cvt_f32_u32_e32 v1, s2
	s_sub_i32 s3, 0, s2
	s_ashr_i32 s13, s16, 31
	s_mul_i32 s9, s38, s31
	s_mul_i32 s13, s13, s22
	v_rcp_iflag_f32_e32 v1, v1
	s_mul_i32 s12, s21, s20
	s_mul_i32 s14, s40, s30
	;; [unrolled: 1-line block ×4, first 2 shown]
	s_mul_hi_i32 s11, s21, s26
	s_mov_b32 s39, s21
	s_mul_i32 s11, s11, s10
	s_waitcnt_depctr 0xfff
	v_mul_f32_e32 v1, 0x4f7ffffe, v1
	s_waitcnt lgkmcnt(0)
	s_load_b32 s15, s[4:5], 0x0
	s_delay_alu instid0(VALU_DEP_1) | instskip(SKIP_1) | instid1(VALU_DEP_1)
	v_cvt_u32_f32_e32 v1, v1
	s_load_b32 s23, s[6:7], 0x0
	v_mul_lo_u32 v2, s3, v1
	s_mul_hi_u32 s3, s16, s22
	s_delay_alu instid0(SALU_CYCLE_1) | instskip(SKIP_1) | instid1(VALU_DEP_1)
	s_add_i32 s3, s3, s13
	s_mul_hi_u32 s13, s37, s10
	v_mul_hi_u32 v2, v1, v2
	s_delay_alu instid0(VALU_DEP_1) | instskip(NEXT) | instid1(VALU_DEP_1)
	v_add_nc_u32_e32 v1, v1, v2
	v_mul_hi_u32 v1, v0, v1
	s_delay_alu instid0(VALU_DEP_1) | instskip(SKIP_1) | instid1(VALU_DEP_2)
	v_mul_lo_u32 v2, v1, s2
	v_add_nc_u32_e32 v3, 1, v1
	v_sub_nc_u32_e32 v2, v0, v2
	s_delay_alu instid0(VALU_DEP_1) | instskip(SKIP_1) | instid1(VALU_DEP_2)
	v_subrev_nc_u32_e32 v4, s2, v2
	v_cmp_le_u32_e32 vcc_lo, s2, v2
	v_dual_cndmask_b32 v2, v2, v4 :: v_dual_cndmask_b32 v1, v1, v3
	s_delay_alu instid0(VALU_DEP_1) | instskip(NEXT) | instid1(VALU_DEP_2)
	v_cmp_le_u32_e32 vcc_lo, s2, v2
	v_add_nc_u32_e32 v3, 1, v1
	s_ashr_i32 s2, s8, 31
	s_delay_alu instid0(VALU_DEP_1) | instskip(NEXT) | instid1(VALU_DEP_1)
	v_cndmask_b32_e32 v1, v1, v3, vcc_lo
	v_xor_b32_e32 v1, s2, v1
	s_delay_alu instid0(VALU_DEP_1) | instskip(SKIP_1) | instid1(VALU_DEP_1)
	v_subrev_nc_u32_e32 v2, s2, v1
	s_mul_i32 s2, s16, s22
	v_mul_lo_u32 v10, v2, s8
	v_mul_lo_u32 v2, v2, s19
	s_lshl_b64 s[18:19], s[2:3], 1
	s_mul_hi_u32 s8, s38, s30
	s_add_u32 s2, s34, s18
	s_addc_u32 s3, s35, s19
	s_add_i32 s8, s8, s9
	s_ashr_i32 s41, s21, 31
	v_sub_nc_u32_e32 v11, v0, v10
	v_ashrrev_i32_e32 v3, 31, v2
	s_add_i32 s8, s8, s14
	s_delay_alu instid0(VALU_DEP_2) | instskip(NEXT) | instid1(VALU_DEP_2)
	v_mul_lo_u32 v8, v11, s21
	v_lshlrev_b64 v[4:5], 1, v[2:3]
	v_mul_lo_u32 v32, s12, v11
	s_delay_alu instid0(VALU_DEP_2) | instskip(NEXT) | instid1(VALU_DEP_4)
	v_add_co_u32 v0, vcc_lo, s2, v4
	v_ashrrev_i32_e32 v9, 31, v8
	s_delay_alu instid0(VALU_DEP_4) | instskip(SKIP_1) | instid1(VALU_DEP_4)
	v_add_co_ci_u32_e32 v2, vcc_lo, s3, v5, vcc_lo
	s_mul_i32 s2, s37, s8
	v_ashrrev_i32_e32 v33, 31, v32
	s_delay_alu instid0(VALU_DEP_3)
	v_lshlrev_b64 v[6:7], 1, v[8:9]
	v_mul_lo_u32 v9, s12, v10
	s_add_i32 s16, s13, s2
	s_and_b32 s2, s21, 7
	s_add_i32 s16, s16, s11
	s_cmp_lg_u32 s2, 0
	v_add_co_u32 v15, vcc_lo, v0, v6
	v_mov_b32_e32 v1, 0
	v_add_co_ci_u32_e32 v16, vcc_lo, v2, v7, vcc_lo
	s_delay_alu instid0(VALU_DEP_3) | instskip(SKIP_3) | instid1(VALU_DEP_2)
	v_and_b32_e32 v0, 15, v15
	v_ashrrev_i32_e32 v10, 31, v9
	s_cselect_b32 s2, -1, 0
	s_mul_i32 s37, s37, s10
	v_cmp_ne_u64_e32 vcc_lo, 0, v[0:1]
	s_or_b32 s2, s2, vcc_lo
	s_delay_alu instid0(SALU_CYCLE_1) | instskip(NEXT) | instid1(SALU_CYCLE_1)
	s_and_saveexec_b32 s3, s2
	s_xor_b32 s42, exec_lo, s3
	s_cbranch_execz .LBB5_201
; %bb.6:
	v_sub_nc_u32_e32 v0, 0, v15
	s_mov_b32 s3, exec_lo
	s_delay_alu instid0(VALU_DEP_1) | instskip(NEXT) | instid1(VALU_DEP_1)
	v_bfe_u32 v0, v0, 1, 3
	v_min_i32_e32 v11, s21, v0
	s_delay_alu instid0(VALU_DEP_1)
	v_cmpx_lt_i32_e32 0, v11
	s_cbranch_execz .LBB5_27
; %bb.7:
	s_add_u32 s2, s38, -1
	s_addc_u32 s4, s40, -1
	s_mul_hi_u32 s5, s30, s2
	s_mul_i32 s4, s30, s4
	s_mul_i32 s6, s30, s2
	s_add_i32 s4, s5, s4
	s_mul_i32 s2, s31, s2
	s_mul_i32 s5, s6, s27
	s_mul_hi_u32 s7, s6, s26
	s_add_i32 s2, s4, s2
	s_add_i32 s4, s7, s5
	s_mul_i32 s2, s2, s26
	s_mul_i32 s6, s6, s26
	s_add_i32 s4, s4, s2
	s_add_u32 s2, s24, s6
	s_addc_u32 s4, s25, s4
	v_mad_u64_u32 v[0:1], null, s2, s39, v[9:10]
	s_mul_i32 s2, s2, s41
	s_mul_i32 s4, s4, s39
	v_dual_mov_b32 v12, v15 :: v_dual_mov_b32 v13, v16
	v_mov_b32_e32 v14, v11
	s_delay_alu instid0(VALU_DEP_3) | instskip(NEXT) | instid1(VALU_DEP_4)
	v_add3_u32 v2, s2, s4, v1
	v_add_co_u32 v0, vcc_lo, v0, v32
	v_mov_b32_e32 v1, 0
	s_mov_b32 s4, 0
	s_delay_alu instid0(VALU_DEP_3) | instskip(NEXT) | instid1(VALU_DEP_3)
	v_add_co_ci_u32_e32 v3, vcc_lo, v2, v33, vcc_lo
	v_add_co_u32 v2, vcc_lo, s28, v0
	s_delay_alu instid0(VALU_DEP_2)
	v_add_co_ci_u32_e32 v3, vcc_lo, s29, v3, vcc_lo
	s_branch .LBB5_9
.LBB5_8:                                ;   in Loop: Header=BB5_9 Depth=1
	s_or_b32 exec_lo, exec_lo, s2
	v_add_nc_u32_e32 v14, -1, v14
	global_store_b8 v[2:3], v18, off
	v_add_co_u32 v2, vcc_lo, v2, 1
	v_add_co_ci_u32_e32 v3, vcc_lo, 0, v3, vcc_lo
	v_cmp_eq_u32_e32 vcc_lo, 0, v14
	v_add_co_u32 v12, s2, v12, 2
	s_delay_alu instid0(VALU_DEP_1) | instskip(SKIP_1) | instid1(SALU_CYCLE_1)
	v_add_co_ci_u32_e64 v13, s2, 0, v13, s2
	s_or_b32 s4, vcc_lo, s4
	s_and_not1_b32 exec_lo, exec_lo, s4
	s_cbranch_execz .LBB5_27
.LBB5_9:                                ; =>This Inner Loop Header: Depth=1
	global_load_u16 v0, v[12:13], off
	s_mov_b32 s2, exec_lo
	v_mov_b32_e32 v23, v1
	s_waitcnt vmcnt(0)
	v_cvt_f32_f16_e32 v0, v0
	s_waitcnt lgkmcnt(0)
	s_delay_alu instid0(VALU_DEP_1) | instskip(NEXT) | instid1(VALU_DEP_1)
	v_div_scale_f32 v17, null, s15, s15, v0
	v_rcp_f32_e32 v18, v17
	s_waitcnt_depctr 0xfff
	v_fma_f32 v19, -v17, v18, 1.0
	s_delay_alu instid0(VALU_DEP_1) | instskip(SKIP_1) | instid1(VALU_DEP_1)
	v_fmac_f32_e32 v18, v19, v18
	v_div_scale_f32 v19, vcc_lo, v0, s15, v0
	v_mul_f32_e32 v20, v19, v18
	s_delay_alu instid0(VALU_DEP_1) | instskip(NEXT) | instid1(VALU_DEP_1)
	v_fma_f32 v21, -v17, v20, v19
	v_fmac_f32_e32 v20, v21, v18
	s_delay_alu instid0(VALU_DEP_1) | instskip(NEXT) | instid1(VALU_DEP_1)
	v_fma_f32 v17, -v17, v20, v19
	v_div_fmas_f32 v17, v17, v18, v20
	s_delay_alu instid0(VALU_DEP_1) | instskip(NEXT) | instid1(VALU_DEP_1)
	v_div_fixup_f32 v0, v17, s15, v0
	v_cvt_f16_f32_e32 v0, v0
	s_delay_alu instid0(VALU_DEP_1) | instskip(NEXT) | instid1(VALU_DEP_1)
	v_cvt_f32_f16_e32 v17, v0
	v_lshrrev_b32_e32 v19, 24, v17
	v_and_b32_e32 v22, 0x7f800000, v17
	v_and_b32_e32 v0, 0x7fffff, v17
	s_delay_alu instid0(VALU_DEP_3) | instskip(NEXT) | instid1(VALU_DEP_1)
	v_and_b32_e32 v21, 0x80, v19
	v_or_b32_e32 v18, 0x7e, v21
	s_delay_alu instid0(VALU_DEP_4)
	v_cmpx_ne_u64_e32 0x7f800000, v[22:23]
	s_xor_b32 s5, exec_lo, s2
	s_cbranch_execz .LBB5_25
; %bb.10:                               ;   in Loop: Header=BB5_9 Depth=1
	v_dual_mov_b32 v20, v1 :: v_dual_and_b32 v19, 0x7fffffff, v17
	s_mov_b32 s2, exec_lo
	s_delay_alu instid0(VALU_DEP_1)
	v_cmpx_gt_u64_e32 0x43e00001, v[19:20]
	s_xor_b32 s6, exec_lo, s2
	s_cbranch_execz .LBB5_24
; %bb.11:                               ;   in Loop: Header=BB5_9 Depth=1
	v_mov_b32_e32 v18, 0
	s_mov_b32 s7, exec_lo
	v_cmpx_ne_u32_e32 0, v17
	s_cbranch_execz .LBB5_23
; %bb.12:                               ;   in Loop: Header=BB5_9 Depth=1
	v_bfe_u32 v22, v17, 23, 8
	v_or_b32_e32 v19, 0x800000, v0
	s_delay_alu instid0(VALU_DEP_2) | instskip(SKIP_1) | instid1(VALU_DEP_2)
	v_sub_nc_u32_e32 v17, 0x79, v22
	v_cmp_gt_u32_e32 vcc_lo, 0x7a, v22
	v_cndmask_b32_e32 v17, 0, v17, vcc_lo
	v_cmp_eq_u32_e32 vcc_lo, 0, v22
	v_cndmask_b32_e32 v0, v19, v0, vcc_lo
	s_delay_alu instid0(VALU_DEP_3) | instskip(NEXT) | instid1(VALU_DEP_1)
	v_cndmask_b32_e64 v23, v17, 0x78, vcc_lo
	v_add_nc_u32_e32 v17, 20, v23
	v_add_nc_u32_e32 v19, 19, v23
	s_delay_alu instid0(VALU_DEP_2) | instskip(NEXT) | instid1(VALU_DEP_2)
	v_lshlrev_b64 v[17:18], v17, -1
	v_lshlrev_b64 v[19:20], v19, 1
	s_delay_alu instid0(VALU_DEP_2) | instskip(NEXT) | instid1(VALU_DEP_3)
	v_not_b32_e32 v18, v18
	v_not_b32_e32 v17, v17
	s_delay_alu instid0(VALU_DEP_2) | instskip(NEXT) | instid1(VALU_DEP_2)
	v_and_b32_e32 v25, 0, v18
	v_and_b32_e32 v24, v0, v17
	v_lshrrev_b64 v[17:18], v23, v[0:1]
	s_delay_alu instid0(VALU_DEP_2) | instskip(NEXT) | instid1(VALU_DEP_2)
	v_cmp_eq_u64_e64 s2, v[24:25], v[19:20]
	v_dual_mov_b32 v20, v18 :: v_dual_mov_b32 v19, v17
	s_delay_alu instid0(VALU_DEP_2)
	s_and_saveexec_b32 s8, s2
; %bb.13:                               ;   in Loop: Header=BB5_9 Depth=1
	v_bfe_u32 v0, v17, 20, 1
	s_delay_alu instid0(VALU_DEP_1) | instskip(NEXT) | instid1(VALU_DEP_1)
	v_add_co_u32 v0, s2, v17, v0
	v_add_co_u32 v19, s2, v0, -1
; %bb.14:                               ;   in Loop: Header=BB5_9 Depth=1
	s_or_b32 exec_lo, exec_lo, s8
	v_add_nc_u32_e32 v0, 0xffffff81, v22
	v_lshrrev_b32_e32 v20, 23, v17
	s_mov_b32 s2, exec_lo
	s_delay_alu instid0(VALU_DEP_2) | instskip(NEXT) | instid1(VALU_DEP_1)
	v_cndmask_b32_e64 v0, v0, 0xffffff82, vcc_lo
	v_add3_u32 v20, v23, v0, v20
	v_and_b32_e32 v0, 0xfffff, v19
	s_delay_alu instid0(VALU_DEP_2) | instskip(NEXT) | instid1(VALU_DEP_2)
	v_add_nc_u32_e32 v19, 6, v20
	v_add_co_u32 v17, vcc_lo, v0, v17
	v_add_co_ci_u32_e32 v18, vcc_lo, 0, v18, vcc_lo
                                        ; implicit-def: $vgpr0
	s_delay_alu instid0(VALU_DEP_3)
	v_cmpx_ne_u32_e32 0, v19
	s_xor_b32 s2, exec_lo, s2
; %bb.15:                               ;   in Loop: Header=BB5_9 Depth=1
	s_delay_alu instid0(VALU_DEP_2) | instskip(SKIP_1) | instid1(VALU_DEP_1)
	v_cmp_lt_u64_e32 vcc_lo, 0xffffff, v[17:18]
	v_add_nc_u32_e32 v0, 7, v20
	v_cndmask_b32_e32 v0, v19, v0, vcc_lo
	v_cndmask_b32_e64 v19, 0, 1, vcc_lo
	s_delay_alu instid0(VALU_DEP_1)
	v_lshrrev_b64 v[17:18], v19, v[17:18]
; %bb.16:                               ;   in Loop: Header=BB5_9 Depth=1
	s_and_not1_saveexec_b32 s2, s2
; %bb.17:                               ;   in Loop: Header=BB5_9 Depth=1
	s_delay_alu instid0(VALU_DEP_1)
	v_bfe_u32 v0, v17, 23, 1
; %bb.18:                               ;   in Loop: Header=BB5_9 Depth=1
	s_or_b32 exec_lo, exec_lo, s2
	s_delay_alu instid0(VALU_DEP_2) | instskip(NEXT) | instid1(VALU_DEP_2)
	v_lshrrev_b64 v[17:18], 20, v[17:18]
	v_cmp_gt_i32_e32 vcc_lo, 16, v0
	v_cmp_ne_u32_e64 s2, 0, v0
	s_delay_alu instid0(VALU_DEP_3) | instskip(NEXT) | instid1(VALU_DEP_1)
	v_dual_cndmask_b32 v18, 0, v18 :: v_dual_cndmask_b32 v17, 7, v17
	v_cmp_ne_u64_e32 vcc_lo, 0, v[17:18]
                                        ; implicit-def: $vgpr18
	s_delay_alu instid0(VALU_DEP_3) | instskip(NEXT) | instid1(SALU_CYCLE_1)
	s_or_b32 s2, s2, vcc_lo
	s_and_saveexec_b32 s8, s2
	s_delay_alu instid0(SALU_CYCLE_1)
	s_xor_b32 s2, exec_lo, s8
; %bb.19:                               ;   in Loop: Header=BB5_9 Depth=1
	v_min_i32_e32 v0, 15, v0
	s_delay_alu instid0(VALU_DEP_1) | instskip(NEXT) | instid1(VALU_DEP_1)
	v_lshl_or_b32 v0, v0, 3, v21
                                        ; implicit-def: $vgpr21
	v_and_or_b32 v18, v17, 7, v0
; %bb.20:                               ;   in Loop: Header=BB5_9 Depth=1
	s_and_not1_saveexec_b32 s2, s2
; %bb.21:                               ;   in Loop: Header=BB5_9 Depth=1
	v_mov_b32_e32 v18, v21
; %bb.22:                               ;   in Loop: Header=BB5_9 Depth=1
	s_or_b32 exec_lo, exec_lo, s2
.LBB5_23:                               ;   in Loop: Header=BB5_9 Depth=1
	s_delay_alu instid0(SALU_CYCLE_1)
	s_or_b32 exec_lo, exec_lo, s7
.LBB5_24:                               ;   in Loop: Header=BB5_9 Depth=1
	s_and_not1_saveexec_b32 s2, s6
	s_delay_alu instid0(SALU_CYCLE_1)
	s_or_b32 exec_lo, exec_lo, s2
                                        ; implicit-def: $vgpr19
.LBB5_25:                               ;   in Loop: Header=BB5_9 Depth=1
	s_and_not1_saveexec_b32 s2, s5
	s_cbranch_execz .LBB5_8
; %bb.26:                               ;   in Loop: Header=BB5_9 Depth=1
	v_cmp_eq_u64_e32 vcc_lo, 0, v[0:1]
	v_or_b32_e32 v17, 0x7f, v19
	s_delay_alu instid0(VALU_DEP_1)
	v_cndmask_b32_e32 v18, v17, v18, vcc_lo
	s_branch .LBB5_8
.LBB5_27:
	s_or_b32 exec_lo, exec_lo, s3
	v_sub_nc_u32_e32 v34, s21, v11
	v_ashrrev_i32_e32 v12, 31, v11
	s_mov_b32 s3, exec_lo
	s_delay_alu instid0(VALU_DEP_2) | instskip(NEXT) | instid1(VALU_DEP_2)
	v_ashrrev_i32_e32 v0, 31, v34
	v_lshlrev_b64 v[13:14], 1, v[11:12]
	s_delay_alu instid0(VALU_DEP_2) | instskip(NEXT) | instid1(VALU_DEP_2)
	v_lshrrev_b32_e32 v0, 29, v0
	v_add_co_u32 v15, vcc_lo, v15, v13
	s_delay_alu instid0(VALU_DEP_3) | instskip(NEXT) | instid1(VALU_DEP_3)
	v_add_co_ci_u32_e32 v16, vcc_lo, v16, v14, vcc_lo
	v_add_nc_u32_e32 v0, v34, v0
	s_delay_alu instid0(VALU_DEP_1)
	v_ashrrev_i32_e32 v35, 3, v0
	v_cmpx_lt_i32_e32 7, v34
	s_cbranch_execz .LBB5_174
; %bb.28:
	s_add_u32 s2, s38, -1
	s_addc_u32 s4, s40, -1
	s_mul_hi_u32 s5, s30, s2
	s_mul_i32 s4, s30, s4
	s_mul_i32 s6, s30, s2
	s_add_i32 s4, s5, s4
	s_mul_i32 s2, s31, s2
	s_mul_i32 s5, s6, s27
	s_mul_hi_u32 s7, s6, s26
	s_add_i32 s2, s4, s2
	s_add_i32 s4, s7, s5
	s_mul_i32 s2, s2, s26
	s_mul_i32 s6, s6, s26
	s_add_i32 s4, s4, s2
	s_add_u32 s2, s24, s6
	s_addc_u32 s4, s25, s4
	v_mad_u64_u32 v[0:1], null, s2, s39, v[11:12]
	s_mul_i32 s2, s2, s41
	s_mul_i32 s4, s4, s39
	v_mov_b32_e32 v20, v16
	v_dual_mov_b32 v18, 0 :: v_dual_mov_b32 v19, v15
	v_mov_b32_e32 v36, v35
	s_delay_alu instid0(VALU_DEP_4) | instskip(SKIP_2) | instid1(VALU_DEP_2)
	v_add3_u32 v1, s2, s4, v1
	v_add_co_u32 v0, vcc_lo, v0, v9
	s_mov_b32 s4, 0
	v_add_co_ci_u32_e32 v1, vcc_lo, v1, v10, vcc_lo
	s_delay_alu instid0(VALU_DEP_2) | instskip(NEXT) | instid1(VALU_DEP_2)
	v_add_co_u32 v0, vcc_lo, v0, v32
	v_add_co_ci_u32_e32 v1, vcc_lo, v1, v33, vcc_lo
	s_delay_alu instid0(VALU_DEP_2) | instskip(NEXT) | instid1(VALU_DEP_2)
	v_add_co_u32 v21, vcc_lo, s28, v0
	v_add_co_ci_u32_e32 v22, vcc_lo, s29, v1, vcc_lo
	s_branch .LBB5_30
.LBB5_29:                               ;   in Loop: Header=BB5_30 Depth=1
	s_or_b32 exec_lo, exec_lo, s2
	v_lshlrev_b32_e32 v2, 16, v27
	v_lshlrev_b32_e32 v3, 16, v25
	;; [unrolled: 1-line block ×5, first 2 shown]
	v_and_b32_e32 v2, 0xff0000, v2
	v_perm_b32 v0, v0, v3, 0x4020c0c
	v_and_b32_e32 v3, 0xff, v26
	v_and_b32_e32 v23, 0xff, v23
	;; [unrolled: 1-line block ×3, first 2 shown]
	v_or_b32_e32 v2, v17, v2
	v_and_or_b32 v0, 0xff00, v24, v0
	v_add_nc_u32_e32 v36, -1, v36
	s_delay_alu instid0(VALU_DEP_3) | instskip(NEXT) | instid1(VALU_DEP_3)
	v_or3_b32 v1, v2, v1, v3
	v_or_b32_e32 v0, v0, v23
	s_delay_alu instid0(VALU_DEP_3) | instskip(SKIP_2) | instid1(VALU_DEP_1)
	v_cmp_eq_u32_e32 vcc_lo, 0, v36
	global_store_b64 v[21:22], v[0:1], off
	v_add_co_u32 v21, s2, v21, 8
	v_add_co_ci_u32_e64 v22, s2, 0, v22, s2
	v_add_co_u32 v19, s2, v19, 16
	s_delay_alu instid0(VALU_DEP_1) | instskip(SKIP_1) | instid1(SALU_CYCLE_1)
	v_add_co_ci_u32_e64 v20, s2, 0, v20, s2
	s_or_b32 s4, vcc_lo, s4
	s_and_not1_b32 exec_lo, exec_lo, s4
	s_cbranch_execz .LBB5_174
.LBB5_30:                               ; =>This Inner Loop Header: Depth=1
	global_load_b128 v[0:3], v[19:20], off
	s_mov_b32 s2, exec_lo
	s_waitcnt vmcnt(0)
	v_cvt_f32_f16_e32 v17, v0
	s_waitcnt lgkmcnt(0)
	s_delay_alu instid0(VALU_DEP_1) | instskip(NEXT) | instid1(VALU_DEP_1)
	v_div_scale_f32 v23, null, s15, s15, v17
	v_rcp_f32_e32 v24, v23
	s_waitcnt_depctr 0xfff
	v_fma_f32 v25, -v23, v24, 1.0
	s_delay_alu instid0(VALU_DEP_1) | instskip(SKIP_1) | instid1(VALU_DEP_1)
	v_fmac_f32_e32 v24, v25, v24
	v_div_scale_f32 v25, vcc_lo, v17, s15, v17
	v_mul_f32_e32 v26, v25, v24
	s_delay_alu instid0(VALU_DEP_1) | instskip(NEXT) | instid1(VALU_DEP_1)
	v_fma_f32 v27, -v23, v26, v25
	v_fmac_f32_e32 v26, v27, v24
	s_delay_alu instid0(VALU_DEP_1) | instskip(NEXT) | instid1(VALU_DEP_1)
	v_fma_f32 v23, -v23, v26, v25
	v_div_fmas_f32 v23, v23, v24, v26
	s_delay_alu instid0(VALU_DEP_1) | instskip(NEXT) | instid1(VALU_DEP_1)
	v_div_fixup_f32 v17, v23, s15, v17
	v_cvt_f16_f32_e32 v17, v17
	s_delay_alu instid0(VALU_DEP_1) | instskip(NEXT) | instid1(VALU_DEP_1)
	v_cvt_f32_f16_e32 v26, v17
	v_and_b32_e32 v27, 0x7f800000, v26
	v_lshrrev_b32_e32 v24, 24, v26
	v_dual_mov_b32 v28, v18 :: v_dual_and_b32 v17, 0x7fffff, v26
	s_delay_alu instid0(VALU_DEP_2) | instskip(NEXT) | instid1(VALU_DEP_1)
	v_and_b32_e32 v25, 0x80, v24
	v_or_b32_e32 v23, 0x7e, v25
	s_delay_alu instid0(VALU_DEP_3)
	v_cmpx_ne_u64_e32 0x7f800000, v[27:28]
	s_xor_b32 s5, exec_lo, s2
	s_cbranch_execz .LBB5_46
; %bb.31:                               ;   in Loop: Header=BB5_30 Depth=1
	v_dual_mov_b32 v28, v18 :: v_dual_and_b32 v27, 0x7fffffff, v26
	s_mov_b32 s2, exec_lo
	s_delay_alu instid0(VALU_DEP_1)
	v_cmpx_gt_u64_e32 0x43e00001, v[27:28]
	s_xor_b32 s6, exec_lo, s2
	s_cbranch_execz .LBB5_45
; %bb.32:                               ;   in Loop: Header=BB5_30 Depth=1
	s_mov_b32 s7, exec_lo
	v_mov_b32_e32 v23, 0
	v_mov_b32_e32 v24, 0
	v_cmpx_ne_u32_e32 0, v26
	s_cbranch_execz .LBB5_44
; %bb.33:                               ;   in Loop: Header=BB5_30 Depth=1
	v_bfe_u32 v28, v26, 23, 8
	v_or_b32_e32 v26, 0x800000, v17
	s_delay_alu instid0(VALU_DEP_2) | instskip(SKIP_1) | instid1(VALU_DEP_2)
	v_sub_nc_u32_e32 v23, 0x79, v28
	v_cmp_gt_u32_e32 vcc_lo, 0x7a, v28
	v_cndmask_b32_e32 v23, 0, v23, vcc_lo
	v_cmp_eq_u32_e32 vcc_lo, 0, v28
	s_delay_alu instid0(VALU_DEP_2) | instskip(SKIP_1) | instid1(VALU_DEP_2)
	v_cndmask_b32_e64 v29, v23, 0x78, vcc_lo
	v_cndmask_b32_e32 v17, v26, v17, vcc_lo
	v_add_nc_u32_e32 v23, 20, v29
	v_add_nc_u32_e32 v26, 19, v29
	s_delay_alu instid0(VALU_DEP_2) | instskip(NEXT) | instid1(VALU_DEP_2)
	v_lshlrev_b64 v[23:24], v23, -1
	v_lshlrev_b64 v[26:27], v26, 1
	s_delay_alu instid0(VALU_DEP_2) | instskip(NEXT) | instid1(VALU_DEP_3)
	v_not_b32_e32 v24, v24
	v_not_b32_e32 v23, v23
	s_delay_alu instid0(VALU_DEP_2) | instskip(NEXT) | instid1(VALU_DEP_2)
	v_and_b32_e32 v31, 0, v24
	v_and_b32_e32 v30, v17, v23
	v_lshrrev_b64 v[23:24], v29, v[17:18]
	s_delay_alu instid0(VALU_DEP_2) | instskip(NEXT) | instid1(VALU_DEP_2)
	v_cmp_eq_u64_e64 s2, v[30:31], v[26:27]
	v_dual_mov_b32 v27, v24 :: v_dual_mov_b32 v26, v23
	s_delay_alu instid0(VALU_DEP_2)
	s_and_saveexec_b32 s8, s2
; %bb.34:                               ;   in Loop: Header=BB5_30 Depth=1
	v_bfe_u32 v17, v23, 20, 1
	s_delay_alu instid0(VALU_DEP_1) | instskip(NEXT) | instid1(VALU_DEP_1)
	v_add_co_u32 v17, s2, v23, v17
	v_add_co_u32 v26, s2, v17, -1
; %bb.35:                               ;   in Loop: Header=BB5_30 Depth=1
	s_or_b32 exec_lo, exec_lo, s8
	v_add_nc_u32_e32 v17, 0xffffff81, v28
	v_lshrrev_b32_e32 v27, 23, v23
	s_mov_b32 s2, exec_lo
	s_delay_alu instid0(VALU_DEP_2) | instskip(NEXT) | instid1(VALU_DEP_1)
	v_cndmask_b32_e64 v17, v17, 0xffffff82, vcc_lo
	v_add3_u32 v27, v29, v17, v27
	v_and_b32_e32 v17, 0xfffff, v26
	s_delay_alu instid0(VALU_DEP_2) | instskip(NEXT) | instid1(VALU_DEP_2)
	v_add_nc_u32_e32 v26, 6, v27
	v_add_co_u32 v23, vcc_lo, v17, v23
	v_add_co_ci_u32_e32 v24, vcc_lo, 0, v24, vcc_lo
                                        ; implicit-def: $vgpr17
	s_delay_alu instid0(VALU_DEP_3)
	v_cmpx_ne_u32_e32 0, v26
	s_xor_b32 s2, exec_lo, s2
; %bb.36:                               ;   in Loop: Header=BB5_30 Depth=1
	s_delay_alu instid0(VALU_DEP_2) | instskip(SKIP_1) | instid1(VALU_DEP_1)
	v_cmp_lt_u64_e32 vcc_lo, 0xffffff, v[23:24]
	v_add_nc_u32_e32 v17, 7, v27
	v_cndmask_b32_e32 v17, v26, v17, vcc_lo
	v_cndmask_b32_e64 v26, 0, 1, vcc_lo
	s_delay_alu instid0(VALU_DEP_1)
	v_lshrrev_b64 v[23:24], v26, v[23:24]
; %bb.37:                               ;   in Loop: Header=BB5_30 Depth=1
	s_and_not1_saveexec_b32 s2, s2
; %bb.38:                               ;   in Loop: Header=BB5_30 Depth=1
	s_delay_alu instid0(VALU_DEP_1)
	v_bfe_u32 v17, v23, 23, 1
; %bb.39:                               ;   in Loop: Header=BB5_30 Depth=1
	s_or_b32 exec_lo, exec_lo, s2
	s_delay_alu instid0(VALU_DEP_2) | instskip(NEXT) | instid1(VALU_DEP_2)
	v_lshrrev_b64 v[23:24], 20, v[23:24]
	v_cmp_gt_i32_e32 vcc_lo, 16, v17
	v_cmp_ne_u32_e64 s2, 0, v17
	s_delay_alu instid0(VALU_DEP_3) | instskip(NEXT) | instid1(VALU_DEP_1)
	v_dual_cndmask_b32 v27, 0, v24 :: v_dual_cndmask_b32 v26, 7, v23
                                        ; implicit-def: $vgpr23_vgpr24
	v_cmp_ne_u64_e32 vcc_lo, 0, v[26:27]
	s_delay_alu instid0(VALU_DEP_3) | instskip(NEXT) | instid1(SALU_CYCLE_1)
	s_or_b32 s2, s2, vcc_lo
	s_and_saveexec_b32 s8, s2
	s_delay_alu instid0(SALU_CYCLE_1)
	s_xor_b32 s2, exec_lo, s8
; %bb.40:                               ;   in Loop: Header=BB5_30 Depth=1
	v_min_i32_e32 v17, 15, v17
	s_delay_alu instid0(VALU_DEP_1) | instskip(NEXT) | instid1(VALU_DEP_1)
	v_lshl_or_b32 v17, v17, 3, v25
                                        ; implicit-def: $vgpr25
	v_and_or_b32 v23, v26, 7, v17
; %bb.41:                               ;   in Loop: Header=BB5_30 Depth=1
	s_and_not1_saveexec_b32 s2, s2
; %bb.42:                               ;   in Loop: Header=BB5_30 Depth=1
	v_dual_mov_b32 v23, v25 :: v_dual_mov_b32 v24, v26
; %bb.43:                               ;   in Loop: Header=BB5_30 Depth=1
	s_or_b32 exec_lo, exec_lo, s2
.LBB5_44:                               ;   in Loop: Header=BB5_30 Depth=1
	s_delay_alu instid0(SALU_CYCLE_1)
	s_or_b32 exec_lo, exec_lo, s7
.LBB5_45:                               ;   in Loop: Header=BB5_30 Depth=1
	s_and_not1_saveexec_b32 s2, s6
	s_delay_alu instid0(SALU_CYCLE_1)
	s_or_b32 exec_lo, exec_lo, s2
                                        ; implicit-def: $vgpr24
.LBB5_46:                               ;   in Loop: Header=BB5_30 Depth=1
	s_and_not1_saveexec_b32 s2, s5
; %bb.47:                               ;   in Loop: Header=BB5_30 Depth=1
	v_cmp_eq_u64_e32 vcc_lo, 0, v[17:18]
	v_or_b32_e32 v24, 0x7f, v24
	s_delay_alu instid0(VALU_DEP_1)
	v_cndmask_b32_e32 v23, v24, v23, vcc_lo
; %bb.48:                               ;   in Loop: Header=BB5_30 Depth=1
	s_or_b32 exec_lo, exec_lo, s2
	v_lshrrev_b32_e32 v0, 16, v0
	s_mov_b32 s2, exec_lo
	s_delay_alu instid0(VALU_DEP_1) | instskip(NEXT) | instid1(VALU_DEP_1)
	v_cvt_f32_f16_e32 v0, v0
	v_div_scale_f32 v17, null, s15, s15, v0
	s_delay_alu instid0(VALU_DEP_1) | instskip(SKIP_2) | instid1(VALU_DEP_1)
	v_rcp_f32_e32 v24, v17
	s_waitcnt_depctr 0xfff
	v_fma_f32 v25, -v17, v24, 1.0
	v_fmac_f32_e32 v24, v25, v24
	v_div_scale_f32 v25, vcc_lo, v0, s15, v0
	s_delay_alu instid0(VALU_DEP_1) | instskip(NEXT) | instid1(VALU_DEP_1)
	v_mul_f32_e32 v26, v25, v24
	v_fma_f32 v27, -v17, v26, v25
	s_delay_alu instid0(VALU_DEP_1) | instskip(NEXT) | instid1(VALU_DEP_1)
	v_fmac_f32_e32 v26, v27, v24
	v_fma_f32 v17, -v17, v26, v25
	s_delay_alu instid0(VALU_DEP_1) | instskip(NEXT) | instid1(VALU_DEP_1)
	v_div_fmas_f32 v17, v17, v24, v26
	v_div_fixup_f32 v0, v17, s15, v0
	s_delay_alu instid0(VALU_DEP_1) | instskip(NEXT) | instid1(VALU_DEP_1)
	v_cvt_f16_f32_e32 v0, v0
	v_cvt_f32_f16_e32 v26, v0
	s_delay_alu instid0(VALU_DEP_1) | instskip(SKIP_2) | instid1(VALU_DEP_2)
	v_dual_mov_b32 v28, v18 :: v_dual_and_b32 v17, 0x7fffff, v26
	v_lshrrev_b32_e32 v25, 24, v26
	v_and_b32_e32 v27, 0x7f800000, v26
	v_and_b32_e32 v0, 0x80, v25
	s_delay_alu instid0(VALU_DEP_1) | instskip(NEXT) | instid1(VALU_DEP_3)
	v_or_b32_e32 v24, 0x7e, v0
	v_cmpx_ne_u64_e32 0x7f800000, v[27:28]
	s_xor_b32 s5, exec_lo, s2
	s_cbranch_execz .LBB5_64
; %bb.49:                               ;   in Loop: Header=BB5_30 Depth=1
	v_dual_mov_b32 v28, v18 :: v_dual_and_b32 v27, 0x7fffffff, v26
	s_mov_b32 s2, exec_lo
	s_delay_alu instid0(VALU_DEP_1)
	v_cmpx_gt_u64_e32 0x43e00001, v[27:28]
	s_xor_b32 s6, exec_lo, s2
	s_cbranch_execz .LBB5_63
; %bb.50:                               ;   in Loop: Header=BB5_30 Depth=1
	s_mov_b32 s7, exec_lo
	v_mov_b32_e32 v24, 0
	v_mov_b32_e32 v25, 0
	v_cmpx_ne_u32_e32 0, v26
	s_cbranch_execz .LBB5_62
; %bb.51:                               ;   in Loop: Header=BB5_30 Depth=1
	v_bfe_u32 v28, v26, 23, 8
	v_or_b32_e32 v26, 0x800000, v17
	s_delay_alu instid0(VALU_DEP_2) | instskip(SKIP_1) | instid1(VALU_DEP_2)
	v_sub_nc_u32_e32 v24, 0x79, v28
	v_cmp_gt_u32_e32 vcc_lo, 0x7a, v28
	v_cndmask_b32_e32 v24, 0, v24, vcc_lo
	v_cmp_eq_u32_e32 vcc_lo, 0, v28
	v_cndmask_b32_e32 v17, v26, v17, vcc_lo
	s_delay_alu instid0(VALU_DEP_3) | instskip(NEXT) | instid1(VALU_DEP_1)
	v_cndmask_b32_e64 v29, v24, 0x78, vcc_lo
	v_add_nc_u32_e32 v24, 20, v29
	v_add_nc_u32_e32 v26, 19, v29
	s_delay_alu instid0(VALU_DEP_2) | instskip(NEXT) | instid1(VALU_DEP_2)
	v_lshlrev_b64 v[24:25], v24, -1
	v_lshlrev_b64 v[26:27], v26, 1
	s_delay_alu instid0(VALU_DEP_2) | instskip(NEXT) | instid1(VALU_DEP_3)
	v_not_b32_e32 v25, v25
	v_not_b32_e32 v24, v24
	s_delay_alu instid0(VALU_DEP_2) | instskip(NEXT) | instid1(VALU_DEP_2)
	v_and_b32_e32 v31, 0, v25
	v_and_b32_e32 v30, v17, v24
	v_lshrrev_b64 v[24:25], v29, v[17:18]
	s_delay_alu instid0(VALU_DEP_2) | instskip(NEXT) | instid1(VALU_DEP_2)
	v_cmp_eq_u64_e64 s2, v[30:31], v[26:27]
	v_dual_mov_b32 v27, v25 :: v_dual_mov_b32 v26, v24
	s_delay_alu instid0(VALU_DEP_2)
	s_and_saveexec_b32 s8, s2
; %bb.52:                               ;   in Loop: Header=BB5_30 Depth=1
	v_bfe_u32 v17, v24, 20, 1
	s_delay_alu instid0(VALU_DEP_1) | instskip(NEXT) | instid1(VALU_DEP_1)
	v_add_co_u32 v17, s2, v24, v17
	v_add_co_u32 v26, s2, v17, -1
; %bb.53:                               ;   in Loop: Header=BB5_30 Depth=1
	s_or_b32 exec_lo, exec_lo, s8
	v_add_nc_u32_e32 v17, 0xffffff81, v28
	v_lshrrev_b32_e32 v27, 23, v24
	s_mov_b32 s2, exec_lo
	s_delay_alu instid0(VALU_DEP_2) | instskip(NEXT) | instid1(VALU_DEP_1)
	v_cndmask_b32_e64 v17, v17, 0xffffff82, vcc_lo
	v_add3_u32 v27, v29, v17, v27
	v_and_b32_e32 v17, 0xfffff, v26
	s_delay_alu instid0(VALU_DEP_2) | instskip(NEXT) | instid1(VALU_DEP_2)
	v_add_nc_u32_e32 v26, 6, v27
	v_add_co_u32 v24, vcc_lo, v17, v24
	v_add_co_ci_u32_e32 v25, vcc_lo, 0, v25, vcc_lo
                                        ; implicit-def: $vgpr17
	s_delay_alu instid0(VALU_DEP_3)
	v_cmpx_ne_u32_e32 0, v26
	s_xor_b32 s2, exec_lo, s2
; %bb.54:                               ;   in Loop: Header=BB5_30 Depth=1
	s_delay_alu instid0(VALU_DEP_2) | instskip(SKIP_1) | instid1(VALU_DEP_1)
	v_cmp_lt_u64_e32 vcc_lo, 0xffffff, v[24:25]
	v_add_nc_u32_e32 v17, 7, v27
	v_cndmask_b32_e32 v17, v26, v17, vcc_lo
	v_cndmask_b32_e64 v26, 0, 1, vcc_lo
	s_delay_alu instid0(VALU_DEP_1)
	v_lshrrev_b64 v[24:25], v26, v[24:25]
; %bb.55:                               ;   in Loop: Header=BB5_30 Depth=1
	s_and_not1_saveexec_b32 s2, s2
; %bb.56:                               ;   in Loop: Header=BB5_30 Depth=1
	s_delay_alu instid0(VALU_DEP_1)
	v_bfe_u32 v17, v24, 23, 1
; %bb.57:                               ;   in Loop: Header=BB5_30 Depth=1
	s_or_b32 exec_lo, exec_lo, s2
	s_delay_alu instid0(VALU_DEP_2) | instskip(NEXT) | instid1(VALU_DEP_2)
	v_lshrrev_b64 v[24:25], 20, v[24:25]
	v_cmp_gt_i32_e32 vcc_lo, 16, v17
	v_cmp_ne_u32_e64 s2, 0, v17
	s_delay_alu instid0(VALU_DEP_3) | instskip(NEXT) | instid1(VALU_DEP_1)
	v_dual_cndmask_b32 v27, 0, v25 :: v_dual_cndmask_b32 v26, 7, v24
                                        ; implicit-def: $vgpr24_vgpr25
	v_cmp_ne_u64_e32 vcc_lo, 0, v[26:27]
	s_delay_alu instid0(VALU_DEP_3) | instskip(NEXT) | instid1(SALU_CYCLE_1)
	s_or_b32 s2, s2, vcc_lo
	s_and_saveexec_b32 s8, s2
	s_delay_alu instid0(SALU_CYCLE_1)
	s_xor_b32 s2, exec_lo, s8
; %bb.58:                               ;   in Loop: Header=BB5_30 Depth=1
	v_min_i32_e32 v17, 15, v17
	s_delay_alu instid0(VALU_DEP_1) | instskip(NEXT) | instid1(VALU_DEP_1)
	v_lshl_or_b32 v0, v17, 3, v0
	v_and_or_b32 v24, v26, 7, v0
                                        ; implicit-def: $vgpr0
; %bb.59:                               ;   in Loop: Header=BB5_30 Depth=1
	s_and_not1_saveexec_b32 s2, s2
; %bb.60:                               ;   in Loop: Header=BB5_30 Depth=1
	v_dual_mov_b32 v25, v1 :: v_dual_mov_b32 v24, v0
; %bb.61:                               ;   in Loop: Header=BB5_30 Depth=1
	s_or_b32 exec_lo, exec_lo, s2
.LBB5_62:                               ;   in Loop: Header=BB5_30 Depth=1
	s_delay_alu instid0(SALU_CYCLE_1)
	s_or_b32 exec_lo, exec_lo, s7
.LBB5_63:                               ;   in Loop: Header=BB5_30 Depth=1
	s_and_not1_saveexec_b32 s2, s6
	s_delay_alu instid0(SALU_CYCLE_1)
	s_or_b32 exec_lo, exec_lo, s2
                                        ; implicit-def: $vgpr25
.LBB5_64:                               ;   in Loop: Header=BB5_30 Depth=1
	s_and_not1_saveexec_b32 s2, s5
; %bb.65:                               ;   in Loop: Header=BB5_30 Depth=1
	v_cmp_eq_u64_e32 vcc_lo, 0, v[17:18]
	v_or_b32_e32 v0, 0x7f, v25
	s_delay_alu instid0(VALU_DEP_1)
	v_cndmask_b32_e32 v24, v0, v24, vcc_lo
; %bb.66:                               ;   in Loop: Header=BB5_30 Depth=1
	s_or_b32 exec_lo, exec_lo, s2
	v_cvt_f32_f16_e32 v0, v1
	v_mov_b32_e32 v29, v18
	s_mov_b32 s2, exec_lo
	s_delay_alu instid0(VALU_DEP_2) | instskip(NEXT) | instid1(VALU_DEP_1)
	v_div_scale_f32 v17, null, s15, s15, v0
	v_rcp_f32_e32 v25, v17
	s_waitcnt_depctr 0xfff
	v_fma_f32 v26, -v17, v25, 1.0
	s_delay_alu instid0(VALU_DEP_1) | instskip(SKIP_1) | instid1(VALU_DEP_1)
	v_fmac_f32_e32 v25, v26, v25
	v_div_scale_f32 v26, vcc_lo, v0, s15, v0
	v_mul_f32_e32 v27, v26, v25
	s_delay_alu instid0(VALU_DEP_1) | instskip(NEXT) | instid1(VALU_DEP_1)
	v_fma_f32 v28, -v17, v27, v26
	v_fmac_f32_e32 v27, v28, v25
	s_delay_alu instid0(VALU_DEP_1) | instskip(NEXT) | instid1(VALU_DEP_1)
	v_fma_f32 v17, -v17, v27, v26
	v_div_fmas_f32 v17, v17, v25, v27
	s_delay_alu instid0(VALU_DEP_1) | instskip(NEXT) | instid1(VALU_DEP_1)
	v_div_fixup_f32 v0, v17, s15, v0
	v_cvt_f16_f32_e32 v0, v0
	s_delay_alu instid0(VALU_DEP_1) | instskip(NEXT) | instid1(VALU_DEP_1)
	v_cvt_f32_f16_e32 v27, v0
	v_lshrrev_b32_e32 v26, 24, v27
	v_and_b32_e32 v28, 0x7f800000, v27
	v_and_b32_e32 v17, 0x7fffff, v27
	s_delay_alu instid0(VALU_DEP_3) | instskip(NEXT) | instid1(VALU_DEP_1)
	v_and_b32_e32 v0, 0x80, v26
	v_or_b32_e32 v25, 0x7e, v0
	s_delay_alu instid0(VALU_DEP_4)
	v_cmpx_ne_u64_e32 0x7f800000, v[28:29]
	s_xor_b32 s5, exec_lo, s2
	s_cbranch_execz .LBB5_82
; %bb.67:                               ;   in Loop: Header=BB5_30 Depth=1
	v_dual_mov_b32 v29, v18 :: v_dual_and_b32 v28, 0x7fffffff, v27
	s_mov_b32 s2, exec_lo
	s_delay_alu instid0(VALU_DEP_1)
	v_cmpx_gt_u64_e32 0x43e00001, v[28:29]
	s_xor_b32 s6, exec_lo, s2
	s_cbranch_execz .LBB5_81
; %bb.68:                               ;   in Loop: Header=BB5_30 Depth=1
	s_mov_b32 s7, exec_lo
	v_mov_b32_e32 v25, 0
	v_mov_b32_e32 v26, 0
	v_cmpx_ne_u32_e32 0, v27
	s_cbranch_execz .LBB5_80
; %bb.69:                               ;   in Loop: Header=BB5_30 Depth=1
	v_bfe_u32 v29, v27, 23, 8
	v_or_b32_e32 v27, 0x800000, v17
	s_delay_alu instid0(VALU_DEP_2) | instskip(SKIP_1) | instid1(VALU_DEP_2)
	v_sub_nc_u32_e32 v25, 0x79, v29
	v_cmp_gt_u32_e32 vcc_lo, 0x7a, v29
	v_cndmask_b32_e32 v25, 0, v25, vcc_lo
	v_cmp_eq_u32_e32 vcc_lo, 0, v29
	s_delay_alu instid0(VALU_DEP_2) | instskip(SKIP_1) | instid1(VALU_DEP_2)
	v_cndmask_b32_e64 v30, v25, 0x78, vcc_lo
	v_cndmask_b32_e32 v17, v27, v17, vcc_lo
	v_add_nc_u32_e32 v25, 20, v30
	v_add_nc_u32_e32 v27, 19, v30
	s_delay_alu instid0(VALU_DEP_2) | instskip(NEXT) | instid1(VALU_DEP_2)
	v_lshlrev_b64 v[25:26], v25, -1
	v_lshlrev_b64 v[27:28], v27, 1
	s_delay_alu instid0(VALU_DEP_2) | instskip(NEXT) | instid1(VALU_DEP_3)
	v_not_b32_e32 v26, v26
	v_not_b32_e32 v25, v25
	s_delay_alu instid0(VALU_DEP_2) | instskip(NEXT) | instid1(VALU_DEP_2)
	v_and_b32_e32 v38, 0, v26
	v_and_b32_e32 v37, v17, v25
	v_lshrrev_b64 v[25:26], v30, v[17:18]
	s_delay_alu instid0(VALU_DEP_2) | instskip(NEXT) | instid1(VALU_DEP_2)
	v_cmp_eq_u64_e64 s2, v[37:38], v[27:28]
	v_dual_mov_b32 v28, v26 :: v_dual_mov_b32 v27, v25
	s_delay_alu instid0(VALU_DEP_2)
	s_and_saveexec_b32 s8, s2
; %bb.70:                               ;   in Loop: Header=BB5_30 Depth=1
	v_bfe_u32 v17, v25, 20, 1
	s_delay_alu instid0(VALU_DEP_1) | instskip(NEXT) | instid1(VALU_DEP_1)
	v_add_co_u32 v17, s2, v25, v17
	v_add_co_u32 v27, s2, v17, -1
; %bb.71:                               ;   in Loop: Header=BB5_30 Depth=1
	s_or_b32 exec_lo, exec_lo, s8
	v_add_nc_u32_e32 v17, 0xffffff81, v29
	v_lshrrev_b32_e32 v28, 23, v25
	s_mov_b32 s2, exec_lo
	s_delay_alu instid0(VALU_DEP_2) | instskip(NEXT) | instid1(VALU_DEP_1)
	v_cndmask_b32_e64 v17, v17, 0xffffff82, vcc_lo
	v_add3_u32 v28, v30, v17, v28
	v_and_b32_e32 v17, 0xfffff, v27
	s_delay_alu instid0(VALU_DEP_2) | instskip(NEXT) | instid1(VALU_DEP_2)
	v_add_nc_u32_e32 v27, 6, v28
	v_add_co_u32 v25, vcc_lo, v17, v25
	v_add_co_ci_u32_e32 v26, vcc_lo, 0, v26, vcc_lo
                                        ; implicit-def: $vgpr17
	s_delay_alu instid0(VALU_DEP_3)
	v_cmpx_ne_u32_e32 0, v27
	s_xor_b32 s2, exec_lo, s2
; %bb.72:                               ;   in Loop: Header=BB5_30 Depth=1
	s_delay_alu instid0(VALU_DEP_2) | instskip(SKIP_1) | instid1(VALU_DEP_1)
	v_cmp_lt_u64_e32 vcc_lo, 0xffffff, v[25:26]
	v_add_nc_u32_e32 v17, 7, v28
	v_cndmask_b32_e32 v17, v27, v17, vcc_lo
	v_cndmask_b32_e64 v27, 0, 1, vcc_lo
	s_delay_alu instid0(VALU_DEP_1)
	v_lshrrev_b64 v[25:26], v27, v[25:26]
; %bb.73:                               ;   in Loop: Header=BB5_30 Depth=1
	s_and_not1_saveexec_b32 s2, s2
; %bb.74:                               ;   in Loop: Header=BB5_30 Depth=1
	s_delay_alu instid0(VALU_DEP_1)
	v_bfe_u32 v17, v25, 23, 1
; %bb.75:                               ;   in Loop: Header=BB5_30 Depth=1
	s_or_b32 exec_lo, exec_lo, s2
	s_delay_alu instid0(VALU_DEP_2) | instskip(NEXT) | instid1(VALU_DEP_2)
	v_lshrrev_b64 v[25:26], 20, v[25:26]
	v_cmp_gt_i32_e32 vcc_lo, 16, v17
	v_cmp_ne_u32_e64 s2, 0, v17
	s_delay_alu instid0(VALU_DEP_3) | instskip(NEXT) | instid1(VALU_DEP_1)
	v_dual_cndmask_b32 v28, 0, v26 :: v_dual_cndmask_b32 v27, 7, v25
                                        ; implicit-def: $vgpr25_vgpr26
	v_cmp_ne_u64_e32 vcc_lo, 0, v[27:28]
	s_delay_alu instid0(VALU_DEP_3) | instskip(NEXT) | instid1(SALU_CYCLE_1)
	s_or_b32 s2, s2, vcc_lo
	s_and_saveexec_b32 s8, s2
	s_delay_alu instid0(SALU_CYCLE_1)
	s_xor_b32 s2, exec_lo, s8
; %bb.76:                               ;   in Loop: Header=BB5_30 Depth=1
	v_min_i32_e32 v17, 15, v17
	s_delay_alu instid0(VALU_DEP_1) | instskip(NEXT) | instid1(VALU_DEP_1)
	v_lshl_or_b32 v0, v17, 3, v0
	v_and_or_b32 v25, v27, 7, v0
                                        ; implicit-def: $vgpr0
; %bb.77:                               ;   in Loop: Header=BB5_30 Depth=1
	s_and_not1_saveexec_b32 s2, s2
; %bb.78:                               ;   in Loop: Header=BB5_30 Depth=1
	v_dual_mov_b32 v26, v1 :: v_dual_mov_b32 v25, v0
; %bb.79:                               ;   in Loop: Header=BB5_30 Depth=1
	s_or_b32 exec_lo, exec_lo, s2
.LBB5_80:                               ;   in Loop: Header=BB5_30 Depth=1
	s_delay_alu instid0(SALU_CYCLE_1)
	s_or_b32 exec_lo, exec_lo, s7
.LBB5_81:                               ;   in Loop: Header=BB5_30 Depth=1
	s_and_not1_saveexec_b32 s2, s6
	s_delay_alu instid0(SALU_CYCLE_1)
	s_or_b32 exec_lo, exec_lo, s2
                                        ; implicit-def: $vgpr26
.LBB5_82:                               ;   in Loop: Header=BB5_30 Depth=1
	s_and_not1_saveexec_b32 s2, s5
; %bb.83:                               ;   in Loop: Header=BB5_30 Depth=1
	v_cmp_eq_u64_e32 vcc_lo, 0, v[17:18]
	v_or_b32_e32 v0, 0x7f, v26
	s_delay_alu instid0(VALU_DEP_1)
	v_cndmask_b32_e32 v25, v0, v25, vcc_lo
; %bb.84:                               ;   in Loop: Header=BB5_30 Depth=1
	s_or_b32 exec_lo, exec_lo, s2
	v_lshrrev_b32_e32 v0, 16, v1
	s_mov_b32 s2, exec_lo
	s_delay_alu instid0(VALU_DEP_1) | instskip(NEXT) | instid1(VALU_DEP_1)
	v_cvt_f32_f16_e32 v0, v0
	v_div_scale_f32 v1, null, s15, s15, v0
	s_delay_alu instid0(VALU_DEP_1) | instskip(SKIP_2) | instid1(VALU_DEP_1)
	v_rcp_f32_e32 v17, v1
	s_waitcnt_depctr 0xfff
	v_fma_f32 v26, -v1, v17, 1.0
	v_fmac_f32_e32 v17, v26, v17
	v_div_scale_f32 v26, vcc_lo, v0, s15, v0
	s_delay_alu instid0(VALU_DEP_1) | instskip(NEXT) | instid1(VALU_DEP_1)
	v_mul_f32_e32 v27, v26, v17
	v_fma_f32 v28, -v1, v27, v26
	s_delay_alu instid0(VALU_DEP_1) | instskip(NEXT) | instid1(VALU_DEP_1)
	v_fmac_f32_e32 v27, v28, v17
	v_fma_f32 v1, -v1, v27, v26
	s_delay_alu instid0(VALU_DEP_1) | instskip(NEXT) | instid1(VALU_DEP_1)
	v_div_fmas_f32 v1, v1, v17, v27
	v_div_fixup_f32 v0, v1, s15, v0
	s_delay_alu instid0(VALU_DEP_1) | instskip(NEXT) | instid1(VALU_DEP_1)
	v_cvt_f16_f32_e32 v0, v0
	v_cvt_f32_f16_e32 v27, v0
	s_delay_alu instid0(VALU_DEP_1) | instskip(SKIP_3) | instid1(VALU_DEP_3)
	v_and_b32_e32 v28, 0x7f800000, v27
	v_lshrrev_b32_e32 v1, 24, v27
	v_mov_b32_e32 v29, v18
	v_and_b32_e32 v17, 0x7fffff, v27
	v_and_b32_e32 v26, 0x80, v1
	s_delay_alu instid0(VALU_DEP_1) | instskip(NEXT) | instid1(VALU_DEP_4)
	v_or_b32_e32 v0, 0x7e, v26
	v_cmpx_ne_u64_e32 0x7f800000, v[28:29]
	s_xor_b32 s5, exec_lo, s2
	s_cbranch_execz .LBB5_100
; %bb.85:                               ;   in Loop: Header=BB5_30 Depth=1
	v_dual_mov_b32 v29, v18 :: v_dual_and_b32 v28, 0x7fffffff, v27
	s_mov_b32 s2, exec_lo
	s_delay_alu instid0(VALU_DEP_1)
	v_cmpx_gt_u64_e32 0x43e00001, v[28:29]
	s_xor_b32 s6, exec_lo, s2
	s_cbranch_execz .LBB5_99
; %bb.86:                               ;   in Loop: Header=BB5_30 Depth=1
	s_mov_b32 s7, exec_lo
	v_mov_b32_e32 v0, 0
	v_mov_b32_e32 v1, 0
	v_cmpx_ne_u32_e32 0, v27
	s_cbranch_execz .LBB5_98
; %bb.87:                               ;   in Loop: Header=BB5_30 Depth=1
	v_bfe_u32 v29, v27, 23, 8
	v_or_b32_e32 v27, 0x800000, v17
	s_delay_alu instid0(VALU_DEP_2) | instskip(SKIP_1) | instid1(VALU_DEP_2)
	v_sub_nc_u32_e32 v0, 0x79, v29
	v_cmp_gt_u32_e32 vcc_lo, 0x7a, v29
	v_cndmask_b32_e32 v0, 0, v0, vcc_lo
	v_cmp_eq_u32_e32 vcc_lo, 0, v29
	v_cndmask_b32_e32 v17, v27, v17, vcc_lo
	s_delay_alu instid0(VALU_DEP_3) | instskip(NEXT) | instid1(VALU_DEP_1)
	v_cndmask_b32_e64 v30, v0, 0x78, vcc_lo
	v_add_nc_u32_e32 v0, 20, v30
	v_add_nc_u32_e32 v27, 19, v30
	s_delay_alu instid0(VALU_DEP_2) | instskip(NEXT) | instid1(VALU_DEP_2)
	v_lshlrev_b64 v[0:1], v0, -1
	v_lshlrev_b64 v[27:28], v27, 1
	s_delay_alu instid0(VALU_DEP_2) | instskip(NEXT) | instid1(VALU_DEP_3)
	v_not_b32_e32 v1, v1
	v_not_b32_e32 v0, v0
	s_delay_alu instid0(VALU_DEP_2) | instskip(NEXT) | instid1(VALU_DEP_2)
	v_and_b32_e32 v38, 0, v1
	v_and_b32_e32 v37, v17, v0
	v_lshrrev_b64 v[0:1], v30, v[17:18]
	s_delay_alu instid0(VALU_DEP_2) | instskip(NEXT) | instid1(VALU_DEP_2)
	v_cmp_eq_u64_e64 s2, v[37:38], v[27:28]
	v_dual_mov_b32 v28, v1 :: v_dual_mov_b32 v27, v0
	s_delay_alu instid0(VALU_DEP_2)
	s_and_saveexec_b32 s8, s2
; %bb.88:                               ;   in Loop: Header=BB5_30 Depth=1
	v_bfe_u32 v17, v0, 20, 1
	s_delay_alu instid0(VALU_DEP_1) | instskip(NEXT) | instid1(VALU_DEP_1)
	v_add_co_u32 v17, s2, v0, v17
	v_add_co_u32 v27, s2, v17, -1
; %bb.89:                               ;   in Loop: Header=BB5_30 Depth=1
	s_or_b32 exec_lo, exec_lo, s8
	v_add_nc_u32_e32 v17, 0xffffff81, v29
	v_lshrrev_b32_e32 v28, 23, v0
	s_mov_b32 s2, exec_lo
	s_delay_alu instid0(VALU_DEP_2) | instskip(NEXT) | instid1(VALU_DEP_1)
	v_cndmask_b32_e64 v17, v17, 0xffffff82, vcc_lo
	v_add3_u32 v28, v30, v17, v28
	v_and_b32_e32 v17, 0xfffff, v27
	s_delay_alu instid0(VALU_DEP_2) | instskip(NEXT) | instid1(VALU_DEP_2)
	v_add_nc_u32_e32 v27, 6, v28
	v_add_co_u32 v0, vcc_lo, v17, v0
	v_add_co_ci_u32_e32 v1, vcc_lo, 0, v1, vcc_lo
                                        ; implicit-def: $vgpr17
	s_delay_alu instid0(VALU_DEP_3)
	v_cmpx_ne_u32_e32 0, v27
	s_xor_b32 s2, exec_lo, s2
; %bb.90:                               ;   in Loop: Header=BB5_30 Depth=1
	s_delay_alu instid0(VALU_DEP_2) | instskip(SKIP_1) | instid1(VALU_DEP_1)
	v_cmp_lt_u64_e32 vcc_lo, 0xffffff, v[0:1]
	v_add_nc_u32_e32 v17, 7, v28
	v_cndmask_b32_e32 v17, v27, v17, vcc_lo
	v_cndmask_b32_e64 v27, 0, 1, vcc_lo
	s_delay_alu instid0(VALU_DEP_1)
	v_lshrrev_b64 v[0:1], v27, v[0:1]
; %bb.91:                               ;   in Loop: Header=BB5_30 Depth=1
	s_and_not1_saveexec_b32 s2, s2
; %bb.92:                               ;   in Loop: Header=BB5_30 Depth=1
	s_delay_alu instid0(VALU_DEP_1)
	v_bfe_u32 v17, v0, 23, 1
; %bb.93:                               ;   in Loop: Header=BB5_30 Depth=1
	s_or_b32 exec_lo, exec_lo, s2
	s_delay_alu instid0(VALU_DEP_2) | instskip(NEXT) | instid1(VALU_DEP_2)
	v_lshrrev_b64 v[0:1], 20, v[0:1]
	v_cmp_gt_i32_e32 vcc_lo, 16, v17
	v_cmp_ne_u32_e64 s2, 0, v17
	s_delay_alu instid0(VALU_DEP_3) | instskip(NEXT) | instid1(VALU_DEP_1)
	v_dual_cndmask_b32 v28, 0, v1 :: v_dual_cndmask_b32 v27, 7, v0
                                        ; implicit-def: $vgpr0_vgpr1
	v_cmp_ne_u64_e32 vcc_lo, 0, v[27:28]
	s_delay_alu instid0(VALU_DEP_3) | instskip(NEXT) | instid1(SALU_CYCLE_1)
	s_or_b32 s2, s2, vcc_lo
	s_and_saveexec_b32 s8, s2
	s_delay_alu instid0(SALU_CYCLE_1)
	s_xor_b32 s2, exec_lo, s8
; %bb.94:                               ;   in Loop: Header=BB5_30 Depth=1
	v_min_i32_e32 v0, 15, v17
	s_delay_alu instid0(VALU_DEP_1) | instskip(NEXT) | instid1(VALU_DEP_1)
	v_lshl_or_b32 v0, v0, 3, v26
                                        ; implicit-def: $vgpr26
	v_and_or_b32 v0, v27, 7, v0
; %bb.95:                               ;   in Loop: Header=BB5_30 Depth=1
	s_and_not1_saveexec_b32 s2, s2
; %bb.96:                               ;   in Loop: Header=BB5_30 Depth=1
	v_dual_mov_b32 v0, v26 :: v_dual_mov_b32 v1, v27
; %bb.97:                               ;   in Loop: Header=BB5_30 Depth=1
	s_or_b32 exec_lo, exec_lo, s2
.LBB5_98:                               ;   in Loop: Header=BB5_30 Depth=1
	s_delay_alu instid0(SALU_CYCLE_1)
	s_or_b32 exec_lo, exec_lo, s7
.LBB5_99:                               ;   in Loop: Header=BB5_30 Depth=1
	s_and_not1_saveexec_b32 s2, s6
	s_delay_alu instid0(SALU_CYCLE_1)
	s_or_b32 exec_lo, exec_lo, s2
                                        ; implicit-def: $vgpr1
.LBB5_100:                              ;   in Loop: Header=BB5_30 Depth=1
	s_and_not1_saveexec_b32 s2, s5
; %bb.101:                              ;   in Loop: Header=BB5_30 Depth=1
	v_cmp_eq_u64_e32 vcc_lo, 0, v[17:18]
	v_or_b32_e32 v1, 0x7f, v1
	s_delay_alu instid0(VALU_DEP_1)
	v_cndmask_b32_e32 v0, v1, v0, vcc_lo
; %bb.102:                              ;   in Loop: Header=BB5_30 Depth=1
	s_or_b32 exec_lo, exec_lo, s2
	v_cvt_f32_f16_e32 v1, v2
	s_mov_b32 s2, exec_lo
	s_delay_alu instid0(VALU_DEP_1) | instskip(NEXT) | instid1(VALU_DEP_1)
	v_div_scale_f32 v17, null, s15, s15, v1
	v_rcp_f32_e32 v26, v17
	s_waitcnt_depctr 0xfff
	v_fma_f32 v27, -v17, v26, 1.0
	s_delay_alu instid0(VALU_DEP_1) | instskip(SKIP_1) | instid1(VALU_DEP_1)
	v_fmac_f32_e32 v26, v27, v26
	v_div_scale_f32 v27, vcc_lo, v1, s15, v1
	v_mul_f32_e32 v28, v27, v26
	s_delay_alu instid0(VALU_DEP_1) | instskip(NEXT) | instid1(VALU_DEP_1)
	v_fma_f32 v29, -v17, v28, v27
	v_fmac_f32_e32 v28, v29, v26
	s_delay_alu instid0(VALU_DEP_1) | instskip(NEXT) | instid1(VALU_DEP_1)
	v_fma_f32 v17, -v17, v28, v27
	v_div_fmas_f32 v17, v17, v26, v28
	s_delay_alu instid0(VALU_DEP_1) | instskip(NEXT) | instid1(VALU_DEP_1)
	v_div_fixup_f32 v1, v17, s15, v1
	v_cvt_f16_f32_e32 v1, v1
	s_delay_alu instid0(VALU_DEP_1) | instskip(NEXT) | instid1(VALU_DEP_1)
	v_cvt_f32_f16_e32 v28, v1
	v_dual_mov_b32 v30, v18 :: v_dual_and_b32 v17, 0x7fffff, v28
	v_lshrrev_b32_e32 v27, 24, v28
	v_and_b32_e32 v29, 0x7f800000, v28
	s_delay_alu instid0(VALU_DEP_2) | instskip(NEXT) | instid1(VALU_DEP_1)
	v_and_b32_e32 v1, 0x80, v27
	v_or_b32_e32 v26, 0x7e, v1
	s_delay_alu instid0(VALU_DEP_3)
	v_cmpx_ne_u64_e32 0x7f800000, v[29:30]
	s_xor_b32 s5, exec_lo, s2
	s_cbranch_execz .LBB5_118
; %bb.103:                              ;   in Loop: Header=BB5_30 Depth=1
	v_dual_mov_b32 v30, v18 :: v_dual_and_b32 v29, 0x7fffffff, v28
	s_mov_b32 s2, exec_lo
	s_delay_alu instid0(VALU_DEP_1)
	v_cmpx_gt_u64_e32 0x43e00001, v[29:30]
	s_xor_b32 s6, exec_lo, s2
	s_cbranch_execz .LBB5_117
; %bb.104:                              ;   in Loop: Header=BB5_30 Depth=1
	s_mov_b32 s7, exec_lo
	v_mov_b32_e32 v26, 0
	v_mov_b32_e32 v27, 0
	v_cmpx_ne_u32_e32 0, v28
	s_cbranch_execz .LBB5_116
; %bb.105:                              ;   in Loop: Header=BB5_30 Depth=1
	v_bfe_u32 v30, v28, 23, 8
	v_or_b32_e32 v28, 0x800000, v17
	s_delay_alu instid0(VALU_DEP_2) | instskip(SKIP_1) | instid1(VALU_DEP_2)
	v_sub_nc_u32_e32 v26, 0x79, v30
	v_cmp_gt_u32_e32 vcc_lo, 0x7a, v30
	v_cndmask_b32_e32 v26, 0, v26, vcc_lo
	v_cmp_eq_u32_e32 vcc_lo, 0, v30
	v_cndmask_b32_e32 v17, v28, v17, vcc_lo
	s_delay_alu instid0(VALU_DEP_3) | instskip(NEXT) | instid1(VALU_DEP_1)
	v_cndmask_b32_e64 v31, v26, 0x78, vcc_lo
	v_add_nc_u32_e32 v26, 20, v31
	v_add_nc_u32_e32 v28, 19, v31
	s_delay_alu instid0(VALU_DEP_2) | instskip(NEXT) | instid1(VALU_DEP_2)
	v_lshlrev_b64 v[26:27], v26, -1
	v_lshlrev_b64 v[28:29], v28, 1
	s_delay_alu instid0(VALU_DEP_2) | instskip(NEXT) | instid1(VALU_DEP_3)
	v_not_b32_e32 v27, v27
	v_not_b32_e32 v26, v26
	s_delay_alu instid0(VALU_DEP_2) | instskip(NEXT) | instid1(VALU_DEP_2)
	v_and_b32_e32 v38, 0, v27
	v_and_b32_e32 v37, v17, v26
	v_lshrrev_b64 v[26:27], v31, v[17:18]
	s_delay_alu instid0(VALU_DEP_2) | instskip(NEXT) | instid1(VALU_DEP_2)
	v_cmp_eq_u64_e64 s2, v[37:38], v[28:29]
	v_dual_mov_b32 v29, v27 :: v_dual_mov_b32 v28, v26
	s_delay_alu instid0(VALU_DEP_2)
	s_and_saveexec_b32 s8, s2
; %bb.106:                              ;   in Loop: Header=BB5_30 Depth=1
	v_bfe_u32 v17, v26, 20, 1
	s_delay_alu instid0(VALU_DEP_1) | instskip(NEXT) | instid1(VALU_DEP_1)
	v_add_co_u32 v17, s2, v26, v17
	v_add_co_u32 v28, s2, v17, -1
; %bb.107:                              ;   in Loop: Header=BB5_30 Depth=1
	s_or_b32 exec_lo, exec_lo, s8
	v_add_nc_u32_e32 v17, 0xffffff81, v30
	v_lshrrev_b32_e32 v29, 23, v26
	s_mov_b32 s2, exec_lo
	s_delay_alu instid0(VALU_DEP_2) | instskip(NEXT) | instid1(VALU_DEP_1)
	v_cndmask_b32_e64 v17, v17, 0xffffff82, vcc_lo
	v_add3_u32 v29, v31, v17, v29
	v_and_b32_e32 v17, 0xfffff, v28
	s_delay_alu instid0(VALU_DEP_2) | instskip(NEXT) | instid1(VALU_DEP_2)
	v_add_nc_u32_e32 v28, 6, v29
	v_add_co_u32 v26, vcc_lo, v17, v26
	v_add_co_ci_u32_e32 v27, vcc_lo, 0, v27, vcc_lo
                                        ; implicit-def: $vgpr17
	s_delay_alu instid0(VALU_DEP_3)
	v_cmpx_ne_u32_e32 0, v28
	s_xor_b32 s2, exec_lo, s2
; %bb.108:                              ;   in Loop: Header=BB5_30 Depth=1
	s_delay_alu instid0(VALU_DEP_2) | instskip(SKIP_1) | instid1(VALU_DEP_1)
	v_cmp_lt_u64_e32 vcc_lo, 0xffffff, v[26:27]
	v_add_nc_u32_e32 v17, 7, v29
	v_cndmask_b32_e32 v17, v28, v17, vcc_lo
	v_cndmask_b32_e64 v28, 0, 1, vcc_lo
	s_delay_alu instid0(VALU_DEP_1)
	v_lshrrev_b64 v[26:27], v28, v[26:27]
; %bb.109:                              ;   in Loop: Header=BB5_30 Depth=1
	s_and_not1_saveexec_b32 s2, s2
; %bb.110:                              ;   in Loop: Header=BB5_30 Depth=1
	s_delay_alu instid0(VALU_DEP_1)
	v_bfe_u32 v17, v26, 23, 1
; %bb.111:                              ;   in Loop: Header=BB5_30 Depth=1
	s_or_b32 exec_lo, exec_lo, s2
	s_delay_alu instid0(VALU_DEP_2) | instskip(NEXT) | instid1(VALU_DEP_2)
	v_lshrrev_b64 v[26:27], 20, v[26:27]
	v_cmp_gt_i32_e32 vcc_lo, 16, v17
	v_cmp_ne_u32_e64 s2, 0, v17
	s_delay_alu instid0(VALU_DEP_3) | instskip(NEXT) | instid1(VALU_DEP_1)
	v_dual_cndmask_b32 v29, 0, v27 :: v_dual_cndmask_b32 v28, 7, v26
                                        ; implicit-def: $vgpr26_vgpr27
	v_cmp_ne_u64_e32 vcc_lo, 0, v[28:29]
	s_delay_alu instid0(VALU_DEP_3) | instskip(NEXT) | instid1(SALU_CYCLE_1)
	s_or_b32 s2, s2, vcc_lo
	s_and_saveexec_b32 s8, s2
	s_delay_alu instid0(SALU_CYCLE_1)
	s_xor_b32 s2, exec_lo, s8
; %bb.112:                              ;   in Loop: Header=BB5_30 Depth=1
	v_min_i32_e32 v17, 15, v17
	s_delay_alu instid0(VALU_DEP_1) | instskip(NEXT) | instid1(VALU_DEP_1)
	v_lshl_or_b32 v1, v17, 3, v1
	v_and_or_b32 v26, v28, 7, v1
                                        ; implicit-def: $vgpr1
; %bb.113:                              ;   in Loop: Header=BB5_30 Depth=1
	s_and_not1_saveexec_b32 s2, s2
; %bb.114:                              ;   in Loop: Header=BB5_30 Depth=1
	v_dual_mov_b32 v27, v2 :: v_dual_mov_b32 v26, v1
; %bb.115:                              ;   in Loop: Header=BB5_30 Depth=1
	s_or_b32 exec_lo, exec_lo, s2
.LBB5_116:                              ;   in Loop: Header=BB5_30 Depth=1
	s_delay_alu instid0(SALU_CYCLE_1)
	s_or_b32 exec_lo, exec_lo, s7
.LBB5_117:                              ;   in Loop: Header=BB5_30 Depth=1
	s_and_not1_saveexec_b32 s2, s6
	s_delay_alu instid0(SALU_CYCLE_1)
	s_or_b32 exec_lo, exec_lo, s2
                                        ; implicit-def: $vgpr27
.LBB5_118:                              ;   in Loop: Header=BB5_30 Depth=1
	s_and_not1_saveexec_b32 s2, s5
; %bb.119:                              ;   in Loop: Header=BB5_30 Depth=1
	v_cmp_eq_u64_e32 vcc_lo, 0, v[17:18]
	v_or_b32_e32 v1, 0x7f, v27
	s_delay_alu instid0(VALU_DEP_1)
	v_cndmask_b32_e32 v26, v1, v26, vcc_lo
; %bb.120:                              ;   in Loop: Header=BB5_30 Depth=1
	s_or_b32 exec_lo, exec_lo, s2
	v_lshrrev_b32_e32 v1, 16, v2
	s_mov_b32 s2, exec_lo
	v_mov_b32_e32 v30, v18
	s_delay_alu instid0(VALU_DEP_2) | instskip(NEXT) | instid1(VALU_DEP_1)
	v_cvt_f32_f16_e32 v1, v1
	v_div_scale_f32 v2, null, s15, s15, v1
	s_delay_alu instid0(VALU_DEP_1) | instskip(SKIP_2) | instid1(VALU_DEP_1)
	v_rcp_f32_e32 v17, v2
	s_waitcnt_depctr 0xfff
	v_fma_f32 v27, -v2, v17, 1.0
	v_fmac_f32_e32 v17, v27, v17
	v_div_scale_f32 v27, vcc_lo, v1, s15, v1
	s_delay_alu instid0(VALU_DEP_1) | instskip(NEXT) | instid1(VALU_DEP_1)
	v_mul_f32_e32 v28, v27, v17
	v_fma_f32 v29, -v2, v28, v27
	s_delay_alu instid0(VALU_DEP_1) | instskip(NEXT) | instid1(VALU_DEP_1)
	v_fmac_f32_e32 v28, v29, v17
	v_fma_f32 v2, -v2, v28, v27
	s_delay_alu instid0(VALU_DEP_1) | instskip(NEXT) | instid1(VALU_DEP_1)
	v_div_fmas_f32 v2, v2, v17, v28
	v_div_fixup_f32 v1, v2, s15, v1
	s_delay_alu instid0(VALU_DEP_1) | instskip(NEXT) | instid1(VALU_DEP_1)
	v_cvt_f16_f32_e32 v1, v1
	v_cvt_f32_f16_e32 v28, v1
	s_delay_alu instid0(VALU_DEP_1) | instskip(SKIP_2) | instid1(VALU_DEP_3)
	v_lshrrev_b32_e32 v2, 24, v28
	v_and_b32_e32 v29, 0x7f800000, v28
	v_and_b32_e32 v17, 0x7fffff, v28
	;; [unrolled: 1-line block ×3, first 2 shown]
	s_delay_alu instid0(VALU_DEP_1) | instskip(NEXT) | instid1(VALU_DEP_4)
	v_or_b32_e32 v1, 0x7e, v27
	v_cmpx_ne_u64_e32 0x7f800000, v[29:30]
	s_xor_b32 s5, exec_lo, s2
	s_cbranch_execz .LBB5_136
; %bb.121:                              ;   in Loop: Header=BB5_30 Depth=1
	v_dual_mov_b32 v30, v18 :: v_dual_and_b32 v29, 0x7fffffff, v28
	s_mov_b32 s2, exec_lo
	s_delay_alu instid0(VALU_DEP_1)
	v_cmpx_gt_u64_e32 0x43e00001, v[29:30]
	s_xor_b32 s6, exec_lo, s2
	s_cbranch_execz .LBB5_135
; %bb.122:                              ;   in Loop: Header=BB5_30 Depth=1
	s_mov_b32 s7, exec_lo
	v_mov_b32_e32 v1, 0
	v_mov_b32_e32 v2, 0
	v_cmpx_ne_u32_e32 0, v28
	s_cbranch_execz .LBB5_134
; %bb.123:                              ;   in Loop: Header=BB5_30 Depth=1
	v_bfe_u32 v30, v28, 23, 8
	v_or_b32_e32 v28, 0x800000, v17
	s_delay_alu instid0(VALU_DEP_2) | instskip(SKIP_1) | instid1(VALU_DEP_2)
	v_sub_nc_u32_e32 v1, 0x79, v30
	v_cmp_gt_u32_e32 vcc_lo, 0x7a, v30
	v_cndmask_b32_e32 v1, 0, v1, vcc_lo
	v_cmp_eq_u32_e32 vcc_lo, 0, v30
	s_delay_alu instid0(VALU_DEP_2) | instskip(NEXT) | instid1(VALU_DEP_1)
	v_cndmask_b32_e64 v31, v1, 0x78, vcc_lo
	v_add_nc_u32_e32 v1, 20, v31
	s_delay_alu instid0(VALU_DEP_1) | instskip(NEXT) | instid1(VALU_DEP_1)
	v_lshlrev_b64 v[1:2], v1, -1
	v_not_b32_e32 v2, v2
	v_dual_cndmask_b32 v17, v28, v17 :: v_dual_add_nc_u32 v28, 19, v31
	s_delay_alu instid0(VALU_DEP_3) | instskip(NEXT) | instid1(VALU_DEP_3)
	v_not_b32_e32 v1, v1
	v_and_b32_e32 v38, 0, v2
	s_delay_alu instid0(VALU_DEP_3) | instskip(NEXT) | instid1(VALU_DEP_3)
	v_lshlrev_b64 v[28:29], v28, 1
	v_and_b32_e32 v37, v17, v1
	v_lshrrev_b64 v[1:2], v31, v[17:18]
	s_delay_alu instid0(VALU_DEP_2) | instskip(NEXT) | instid1(VALU_DEP_2)
	v_cmp_eq_u64_e64 s2, v[37:38], v[28:29]
	v_dual_mov_b32 v29, v2 :: v_dual_mov_b32 v28, v1
	s_delay_alu instid0(VALU_DEP_2)
	s_and_saveexec_b32 s8, s2
; %bb.124:                              ;   in Loop: Header=BB5_30 Depth=1
	v_bfe_u32 v17, v1, 20, 1
	s_delay_alu instid0(VALU_DEP_1) | instskip(NEXT) | instid1(VALU_DEP_1)
	v_add_co_u32 v17, s2, v1, v17
	v_add_co_u32 v28, s2, v17, -1
; %bb.125:                              ;   in Loop: Header=BB5_30 Depth=1
	s_or_b32 exec_lo, exec_lo, s8
	v_add_nc_u32_e32 v17, 0xffffff81, v30
	v_lshrrev_b32_e32 v29, 23, v1
	s_mov_b32 s2, exec_lo
	s_delay_alu instid0(VALU_DEP_2) | instskip(NEXT) | instid1(VALU_DEP_1)
	v_cndmask_b32_e64 v17, v17, 0xffffff82, vcc_lo
	v_add3_u32 v29, v31, v17, v29
	v_and_b32_e32 v17, 0xfffff, v28
	s_delay_alu instid0(VALU_DEP_2) | instskip(NEXT) | instid1(VALU_DEP_2)
	v_add_nc_u32_e32 v28, 6, v29
	v_add_co_u32 v1, vcc_lo, v17, v1
	v_add_co_ci_u32_e32 v2, vcc_lo, 0, v2, vcc_lo
                                        ; implicit-def: $vgpr17
	s_delay_alu instid0(VALU_DEP_3)
	v_cmpx_ne_u32_e32 0, v28
	s_xor_b32 s2, exec_lo, s2
; %bb.126:                              ;   in Loop: Header=BB5_30 Depth=1
	s_delay_alu instid0(VALU_DEP_2) | instskip(SKIP_1) | instid1(VALU_DEP_1)
	v_cmp_lt_u64_e32 vcc_lo, 0xffffff, v[1:2]
	v_add_nc_u32_e32 v17, 7, v29
	v_cndmask_b32_e32 v17, v28, v17, vcc_lo
	v_cndmask_b32_e64 v28, 0, 1, vcc_lo
	s_delay_alu instid0(VALU_DEP_1)
	v_lshrrev_b64 v[1:2], v28, v[1:2]
; %bb.127:                              ;   in Loop: Header=BB5_30 Depth=1
	s_and_not1_saveexec_b32 s2, s2
; %bb.128:                              ;   in Loop: Header=BB5_30 Depth=1
	s_delay_alu instid0(VALU_DEP_1)
	v_bfe_u32 v17, v1, 23, 1
; %bb.129:                              ;   in Loop: Header=BB5_30 Depth=1
	s_or_b32 exec_lo, exec_lo, s2
	s_delay_alu instid0(VALU_DEP_2) | instskip(NEXT) | instid1(VALU_DEP_2)
	v_lshrrev_b64 v[1:2], 20, v[1:2]
	v_cmp_gt_i32_e32 vcc_lo, 16, v17
	v_cmp_ne_u32_e64 s2, 0, v17
	s_delay_alu instid0(VALU_DEP_3) | instskip(NEXT) | instid1(VALU_DEP_1)
	v_dual_cndmask_b32 v29, 0, v2 :: v_dual_cndmask_b32 v28, 7, v1
                                        ; implicit-def: $vgpr1_vgpr2
	v_cmp_ne_u64_e32 vcc_lo, 0, v[28:29]
	s_delay_alu instid0(VALU_DEP_3) | instskip(NEXT) | instid1(SALU_CYCLE_1)
	s_or_b32 s2, s2, vcc_lo
	s_and_saveexec_b32 s8, s2
	s_delay_alu instid0(SALU_CYCLE_1)
	s_xor_b32 s2, exec_lo, s8
; %bb.130:                              ;   in Loop: Header=BB5_30 Depth=1
	v_min_i32_e32 v1, 15, v17
	s_delay_alu instid0(VALU_DEP_1) | instskip(NEXT) | instid1(VALU_DEP_1)
	v_lshl_or_b32 v1, v1, 3, v27
                                        ; implicit-def: $vgpr27
	v_and_or_b32 v1, v28, 7, v1
; %bb.131:                              ;   in Loop: Header=BB5_30 Depth=1
	s_and_not1_saveexec_b32 s2, s2
; %bb.132:                              ;   in Loop: Header=BB5_30 Depth=1
	v_dual_mov_b32 v1, v27 :: v_dual_mov_b32 v2, v28
; %bb.133:                              ;   in Loop: Header=BB5_30 Depth=1
	s_or_b32 exec_lo, exec_lo, s2
.LBB5_134:                              ;   in Loop: Header=BB5_30 Depth=1
	s_delay_alu instid0(SALU_CYCLE_1)
	s_or_b32 exec_lo, exec_lo, s7
.LBB5_135:                              ;   in Loop: Header=BB5_30 Depth=1
	s_and_not1_saveexec_b32 s2, s6
	s_delay_alu instid0(SALU_CYCLE_1)
	s_or_b32 exec_lo, exec_lo, s2
                                        ; implicit-def: $vgpr2
.LBB5_136:                              ;   in Loop: Header=BB5_30 Depth=1
	s_and_not1_saveexec_b32 s2, s5
; %bb.137:                              ;   in Loop: Header=BB5_30 Depth=1
	v_cmp_eq_u64_e32 vcc_lo, 0, v[17:18]
	v_or_b32_e32 v2, 0x7f, v2
	s_delay_alu instid0(VALU_DEP_1)
	v_cndmask_b32_e32 v1, v2, v1, vcc_lo
; %bb.138:                              ;   in Loop: Header=BB5_30 Depth=1
	s_or_b32 exec_lo, exec_lo, s2
	v_cvt_f32_f16_e32 v2, v3
	v_mov_b32_e32 v31, v18
	s_mov_b32 s2, exec_lo
	s_delay_alu instid0(VALU_DEP_2) | instskip(NEXT) | instid1(VALU_DEP_1)
	v_div_scale_f32 v17, null, s15, s15, v2
	v_rcp_f32_e32 v27, v17
	s_waitcnt_depctr 0xfff
	v_fma_f32 v28, -v17, v27, 1.0
	s_delay_alu instid0(VALU_DEP_1) | instskip(SKIP_1) | instid1(VALU_DEP_1)
	v_fmac_f32_e32 v27, v28, v27
	v_div_scale_f32 v28, vcc_lo, v2, s15, v2
	v_mul_f32_e32 v29, v28, v27
	s_delay_alu instid0(VALU_DEP_1) | instskip(NEXT) | instid1(VALU_DEP_1)
	v_fma_f32 v30, -v17, v29, v28
	v_fmac_f32_e32 v29, v30, v27
	s_delay_alu instid0(VALU_DEP_1) | instskip(NEXT) | instid1(VALU_DEP_1)
	v_fma_f32 v17, -v17, v29, v28
	v_div_fmas_f32 v17, v17, v27, v29
	s_delay_alu instid0(VALU_DEP_1) | instskip(NEXT) | instid1(VALU_DEP_1)
	v_div_fixup_f32 v2, v17, s15, v2
	v_cvt_f16_f32_e32 v2, v2
	s_delay_alu instid0(VALU_DEP_1) | instskip(NEXT) | instid1(VALU_DEP_1)
	v_cvt_f32_f16_e32 v29, v2
	v_lshrrev_b32_e32 v28, 24, v29
	v_and_b32_e32 v30, 0x7f800000, v29
	v_and_b32_e32 v17, 0x7fffff, v29
	s_delay_alu instid0(VALU_DEP_3) | instskip(NEXT) | instid1(VALU_DEP_1)
	v_and_b32_e32 v2, 0x80, v28
	v_or_b32_e32 v27, 0x7e, v2
	s_delay_alu instid0(VALU_DEP_4)
	v_cmpx_ne_u64_e32 0x7f800000, v[30:31]
	s_xor_b32 s5, exec_lo, s2
	s_cbranch_execz .LBB5_154
; %bb.139:                              ;   in Loop: Header=BB5_30 Depth=1
	v_dual_mov_b32 v31, v18 :: v_dual_and_b32 v30, 0x7fffffff, v29
	s_mov_b32 s2, exec_lo
	s_delay_alu instid0(VALU_DEP_1)
	v_cmpx_gt_u64_e32 0x43e00001, v[30:31]
	s_xor_b32 s6, exec_lo, s2
	s_cbranch_execz .LBB5_153
; %bb.140:                              ;   in Loop: Header=BB5_30 Depth=1
	s_mov_b32 s7, exec_lo
	v_mov_b32_e32 v27, 0
	v_mov_b32_e32 v28, 0
	v_cmpx_ne_u32_e32 0, v29
	s_cbranch_execz .LBB5_152
; %bb.141:                              ;   in Loop: Header=BB5_30 Depth=1
	v_bfe_u32 v31, v29, 23, 8
	v_or_b32_e32 v29, 0x800000, v17
	s_delay_alu instid0(VALU_DEP_2) | instskip(SKIP_1) | instid1(VALU_DEP_2)
	v_sub_nc_u32_e32 v27, 0x79, v31
	v_cmp_gt_u32_e32 vcc_lo, 0x7a, v31
	v_cndmask_b32_e32 v27, 0, v27, vcc_lo
	v_cmp_eq_u32_e32 vcc_lo, 0, v31
	s_delay_alu instid0(VALU_DEP_2) | instskip(SKIP_1) | instid1(VALU_DEP_2)
	v_cndmask_b32_e64 v37, v27, 0x78, vcc_lo
	v_cndmask_b32_e32 v17, v29, v17, vcc_lo
	v_add_nc_u32_e32 v27, 20, v37
	v_add_nc_u32_e32 v29, 19, v37
	s_delay_alu instid0(VALU_DEP_2) | instskip(NEXT) | instid1(VALU_DEP_2)
	v_lshlrev_b64 v[27:28], v27, -1
	v_lshlrev_b64 v[29:30], v29, 1
	s_delay_alu instid0(VALU_DEP_2) | instskip(NEXT) | instid1(VALU_DEP_3)
	v_not_b32_e32 v28, v28
	v_not_b32_e32 v27, v27
	s_delay_alu instid0(VALU_DEP_2) | instskip(NEXT) | instid1(VALU_DEP_2)
	v_and_b32_e32 v39, 0, v28
	v_and_b32_e32 v38, v17, v27
	v_lshrrev_b64 v[27:28], v37, v[17:18]
	s_delay_alu instid0(VALU_DEP_2) | instskip(NEXT) | instid1(VALU_DEP_2)
	v_cmp_eq_u64_e64 s2, v[38:39], v[29:30]
	v_dual_mov_b32 v30, v28 :: v_dual_mov_b32 v29, v27
	s_delay_alu instid0(VALU_DEP_2)
	s_and_saveexec_b32 s8, s2
; %bb.142:                              ;   in Loop: Header=BB5_30 Depth=1
	v_bfe_u32 v17, v27, 20, 1
	s_delay_alu instid0(VALU_DEP_1) | instskip(NEXT) | instid1(VALU_DEP_1)
	v_add_co_u32 v17, s2, v27, v17
	v_add_co_u32 v29, s2, v17, -1
; %bb.143:                              ;   in Loop: Header=BB5_30 Depth=1
	s_or_b32 exec_lo, exec_lo, s8
	v_add_nc_u32_e32 v17, 0xffffff81, v31
	v_lshrrev_b32_e32 v30, 23, v27
	s_mov_b32 s2, exec_lo
	s_delay_alu instid0(VALU_DEP_2) | instskip(NEXT) | instid1(VALU_DEP_1)
	v_cndmask_b32_e64 v17, v17, 0xffffff82, vcc_lo
	v_add3_u32 v30, v37, v17, v30
	v_and_b32_e32 v17, 0xfffff, v29
	s_delay_alu instid0(VALU_DEP_2) | instskip(NEXT) | instid1(VALU_DEP_2)
	v_add_nc_u32_e32 v29, 6, v30
	v_add_co_u32 v27, vcc_lo, v17, v27
	v_add_co_ci_u32_e32 v28, vcc_lo, 0, v28, vcc_lo
                                        ; implicit-def: $vgpr17
	s_delay_alu instid0(VALU_DEP_3)
	v_cmpx_ne_u32_e32 0, v29
	s_xor_b32 s2, exec_lo, s2
; %bb.144:                              ;   in Loop: Header=BB5_30 Depth=1
	s_delay_alu instid0(VALU_DEP_2) | instskip(SKIP_1) | instid1(VALU_DEP_1)
	v_cmp_lt_u64_e32 vcc_lo, 0xffffff, v[27:28]
	v_add_nc_u32_e32 v17, 7, v30
	v_cndmask_b32_e32 v17, v29, v17, vcc_lo
	v_cndmask_b32_e64 v29, 0, 1, vcc_lo
	s_delay_alu instid0(VALU_DEP_1)
	v_lshrrev_b64 v[27:28], v29, v[27:28]
; %bb.145:                              ;   in Loop: Header=BB5_30 Depth=1
	s_and_not1_saveexec_b32 s2, s2
; %bb.146:                              ;   in Loop: Header=BB5_30 Depth=1
	s_delay_alu instid0(VALU_DEP_1)
	v_bfe_u32 v17, v27, 23, 1
; %bb.147:                              ;   in Loop: Header=BB5_30 Depth=1
	s_or_b32 exec_lo, exec_lo, s2
	s_delay_alu instid0(VALU_DEP_2) | instskip(NEXT) | instid1(VALU_DEP_2)
	v_lshrrev_b64 v[27:28], 20, v[27:28]
	v_cmp_gt_i32_e32 vcc_lo, 16, v17
	v_cmp_ne_u32_e64 s2, 0, v17
	s_delay_alu instid0(VALU_DEP_3) | instskip(NEXT) | instid1(VALU_DEP_1)
	v_dual_cndmask_b32 v30, 0, v28 :: v_dual_cndmask_b32 v29, 7, v27
                                        ; implicit-def: $vgpr27_vgpr28
	v_cmp_ne_u64_e32 vcc_lo, 0, v[29:30]
	s_delay_alu instid0(VALU_DEP_3) | instskip(NEXT) | instid1(SALU_CYCLE_1)
	s_or_b32 s2, s2, vcc_lo
	s_and_saveexec_b32 s8, s2
	s_delay_alu instid0(SALU_CYCLE_1)
	s_xor_b32 s2, exec_lo, s8
; %bb.148:                              ;   in Loop: Header=BB5_30 Depth=1
	v_min_i32_e32 v17, 15, v17
	s_delay_alu instid0(VALU_DEP_1) | instskip(NEXT) | instid1(VALU_DEP_1)
	v_lshl_or_b32 v2, v17, 3, v2
	v_and_or_b32 v27, v29, 7, v2
                                        ; implicit-def: $vgpr2
; %bb.149:                              ;   in Loop: Header=BB5_30 Depth=1
	s_and_not1_saveexec_b32 s2, s2
; %bb.150:                              ;   in Loop: Header=BB5_30 Depth=1
	v_dual_mov_b32 v28, v3 :: v_dual_mov_b32 v27, v2
; %bb.151:                              ;   in Loop: Header=BB5_30 Depth=1
	s_or_b32 exec_lo, exec_lo, s2
.LBB5_152:                              ;   in Loop: Header=BB5_30 Depth=1
	s_delay_alu instid0(SALU_CYCLE_1)
	s_or_b32 exec_lo, exec_lo, s7
.LBB5_153:                              ;   in Loop: Header=BB5_30 Depth=1
	s_and_not1_saveexec_b32 s2, s6
	s_delay_alu instid0(SALU_CYCLE_1)
	s_or_b32 exec_lo, exec_lo, s2
                                        ; implicit-def: $vgpr28
.LBB5_154:                              ;   in Loop: Header=BB5_30 Depth=1
	s_and_not1_saveexec_b32 s2, s5
; %bb.155:                              ;   in Loop: Header=BB5_30 Depth=1
	v_cmp_eq_u64_e32 vcc_lo, 0, v[17:18]
	v_or_b32_e32 v2, 0x7f, v28
	s_delay_alu instid0(VALU_DEP_1)
	v_cndmask_b32_e32 v27, v2, v27, vcc_lo
; %bb.156:                              ;   in Loop: Header=BB5_30 Depth=1
	s_or_b32 exec_lo, exec_lo, s2
	v_lshrrev_b32_e32 v2, 16, v3
	s_mov_b32 s2, exec_lo
	s_delay_alu instid0(VALU_DEP_1) | instskip(NEXT) | instid1(VALU_DEP_1)
	v_cvt_f32_f16_e32 v2, v2
	v_div_scale_f32 v3, null, s15, s15, v2
	s_delay_alu instid0(VALU_DEP_1) | instskip(SKIP_2) | instid1(VALU_DEP_1)
	v_rcp_f32_e32 v17, v3
	s_waitcnt_depctr 0xfff
	v_fma_f32 v28, -v3, v17, 1.0
	v_fmac_f32_e32 v17, v28, v17
	v_div_scale_f32 v28, vcc_lo, v2, s15, v2
	s_delay_alu instid0(VALU_DEP_1) | instskip(NEXT) | instid1(VALU_DEP_1)
	v_mul_f32_e32 v29, v28, v17
	v_fma_f32 v30, -v3, v29, v28
	s_delay_alu instid0(VALU_DEP_1) | instskip(NEXT) | instid1(VALU_DEP_1)
	v_fmac_f32_e32 v29, v30, v17
	v_fma_f32 v3, -v3, v29, v28
	s_delay_alu instid0(VALU_DEP_1) | instskip(NEXT) | instid1(VALU_DEP_1)
	v_div_fmas_f32 v3, v3, v17, v29
	v_div_fixup_f32 v2, v3, s15, v2
	s_delay_alu instid0(VALU_DEP_1) | instskip(NEXT) | instid1(VALU_DEP_1)
	v_cvt_f16_f32_e32 v2, v2
	v_cvt_f32_f16_e32 v3, v2
	s_delay_alu instid0(VALU_DEP_1) | instskip(SKIP_3) | instid1(VALU_DEP_3)
	v_and_b32_e32 v30, 0x7f800000, v3
	v_lshrrev_b32_e32 v29, 24, v3
	v_mov_b32_e32 v31, v18
	v_and_b32_e32 v17, 0x7fffff, v3
	v_and_b32_e32 v2, 0x80, v29
	s_delay_alu instid0(VALU_DEP_1) | instskip(NEXT) | instid1(VALU_DEP_4)
	v_or_b32_e32 v28, 0x7e, v2
	v_cmpx_ne_u64_e32 0x7f800000, v[30:31]
	s_xor_b32 s5, exec_lo, s2
	s_cbranch_execz .LBB5_172
; %bb.157:                              ;   in Loop: Header=BB5_30 Depth=1
	v_dual_mov_b32 v30, v18 :: v_dual_and_b32 v29, 0x7fffffff, v3
	s_mov_b32 s2, exec_lo
	s_delay_alu instid0(VALU_DEP_1)
	v_cmpx_gt_u64_e32 0x43e00001, v[29:30]
	s_xor_b32 s6, exec_lo, s2
	s_cbranch_execz .LBB5_171
; %bb.158:                              ;   in Loop: Header=BB5_30 Depth=1
	s_mov_b32 s7, exec_lo
	v_mov_b32_e32 v28, 0
	v_mov_b32_e32 v29, 0
	v_cmpx_ne_u32_e32 0, v3
	s_cbranch_execz .LBB5_170
; %bb.159:                              ;   in Loop: Header=BB5_30 Depth=1
	v_bfe_u32 v3, v3, 23, 8
	v_or_b32_e32 v30, 0x800000, v17
	s_delay_alu instid0(VALU_DEP_2) | instskip(SKIP_1) | instid1(VALU_DEP_2)
	v_sub_nc_u32_e32 v28, 0x79, v3
	v_cmp_gt_u32_e32 vcc_lo, 0x7a, v3
	v_cndmask_b32_e32 v28, 0, v28, vcc_lo
	v_cmp_eq_u32_e32 vcc_lo, 0, v3
	v_cndmask_b32_e32 v17, v30, v17, vcc_lo
	s_delay_alu instid0(VALU_DEP_3) | instskip(NEXT) | instid1(VALU_DEP_1)
	v_cndmask_b32_e64 v37, v28, 0x78, vcc_lo
	v_add_nc_u32_e32 v28, 20, v37
	v_add_nc_u32_e32 v30, 19, v37
	s_delay_alu instid0(VALU_DEP_2) | instskip(NEXT) | instid1(VALU_DEP_2)
	v_lshlrev_b64 v[28:29], v28, -1
	v_lshlrev_b64 v[30:31], v30, 1
	s_delay_alu instid0(VALU_DEP_2) | instskip(NEXT) | instid1(VALU_DEP_3)
	v_not_b32_e32 v29, v29
	v_not_b32_e32 v28, v28
	s_delay_alu instid0(VALU_DEP_2) | instskip(NEXT) | instid1(VALU_DEP_2)
	v_and_b32_e32 v39, 0, v29
	v_and_b32_e32 v38, v17, v28
	v_lshrrev_b64 v[28:29], v37, v[17:18]
	s_delay_alu instid0(VALU_DEP_2) | instskip(NEXT) | instid1(VALU_DEP_2)
	v_cmp_eq_u64_e64 s2, v[38:39], v[30:31]
	v_dual_mov_b32 v31, v29 :: v_dual_mov_b32 v30, v28
	s_delay_alu instid0(VALU_DEP_2)
	s_and_saveexec_b32 s8, s2
; %bb.160:                              ;   in Loop: Header=BB5_30 Depth=1
	v_bfe_u32 v17, v28, 20, 1
	s_delay_alu instid0(VALU_DEP_1) | instskip(NEXT) | instid1(VALU_DEP_1)
	v_add_co_u32 v17, s2, v28, v17
	v_add_co_u32 v30, s2, v17, -1
; %bb.161:                              ;   in Loop: Header=BB5_30 Depth=1
	s_or_b32 exec_lo, exec_lo, s8
	v_add_nc_u32_e32 v3, 0xffffff81, v3
	v_lshrrev_b32_e32 v17, 23, v28
	s_mov_b32 s2, exec_lo
	s_delay_alu instid0(VALU_DEP_2) | instskip(NEXT) | instid1(VALU_DEP_1)
	v_cndmask_b32_e64 v3, v3, 0xffffff82, vcc_lo
	v_add3_u32 v17, v37, v3, v17
	v_and_b32_e32 v3, 0xfffff, v30
	s_delay_alu instid0(VALU_DEP_2) | instskip(NEXT) | instid1(VALU_DEP_2)
	v_add_nc_u32_e32 v30, 6, v17
	v_add_co_u32 v28, vcc_lo, v3, v28
	v_add_co_ci_u32_e32 v29, vcc_lo, 0, v29, vcc_lo
                                        ; implicit-def: $vgpr3
	s_delay_alu instid0(VALU_DEP_3)
	v_cmpx_ne_u32_e32 0, v30
	s_xor_b32 s2, exec_lo, s2
; %bb.162:                              ;   in Loop: Header=BB5_30 Depth=1
	s_delay_alu instid0(VALU_DEP_2) | instskip(SKIP_2) | instid1(VALU_DEP_2)
	v_cmp_lt_u64_e32 vcc_lo, 0xffffff, v[28:29]
	v_add_nc_u32_e32 v3, 7, v17
	v_cndmask_b32_e64 v17, 0, 1, vcc_lo
	v_cndmask_b32_e32 v3, v30, v3, vcc_lo
	s_delay_alu instid0(VALU_DEP_2)
	v_lshrrev_b64 v[28:29], v17, v[28:29]
; %bb.163:                              ;   in Loop: Header=BB5_30 Depth=1
	s_and_not1_saveexec_b32 s2, s2
; %bb.164:                              ;   in Loop: Header=BB5_30 Depth=1
	s_delay_alu instid0(VALU_DEP_1)
	v_bfe_u32 v3, v28, 23, 1
; %bb.165:                              ;   in Loop: Header=BB5_30 Depth=1
	s_or_b32 exec_lo, exec_lo, s2
	s_delay_alu instid0(VALU_DEP_2) | instskip(NEXT) | instid1(VALU_DEP_2)
	v_lshrrev_b64 v[28:29], 20, v[28:29]
	v_cmp_gt_i32_e32 vcc_lo, 16, v3
	v_cmp_ne_u32_e64 s2, 0, v3
	s_delay_alu instid0(VALU_DEP_3) | instskip(NEXT) | instid1(VALU_DEP_1)
	v_dual_cndmask_b32 v31, 0, v29 :: v_dual_cndmask_b32 v30, 7, v28
                                        ; implicit-def: $vgpr28_vgpr29
	v_cmp_ne_u64_e32 vcc_lo, 0, v[30:31]
	s_delay_alu instid0(VALU_DEP_3) | instskip(NEXT) | instid1(SALU_CYCLE_1)
	s_or_b32 s2, s2, vcc_lo
	s_and_saveexec_b32 s8, s2
	s_delay_alu instid0(SALU_CYCLE_1)
	s_xor_b32 s2, exec_lo, s8
; %bb.166:                              ;   in Loop: Header=BB5_30 Depth=1
	v_min_i32_e32 v3, 15, v3
	s_delay_alu instid0(VALU_DEP_1) | instskip(NEXT) | instid1(VALU_DEP_1)
	v_lshl_or_b32 v2, v3, 3, v2
	v_and_or_b32 v28, v30, 7, v2
                                        ; implicit-def: $vgpr2
; %bb.167:                              ;   in Loop: Header=BB5_30 Depth=1
	s_and_not1_saveexec_b32 s2, s2
; %bb.168:                              ;   in Loop: Header=BB5_30 Depth=1
	v_dual_mov_b32 v29, v3 :: v_dual_mov_b32 v28, v2
; %bb.169:                              ;   in Loop: Header=BB5_30 Depth=1
	s_or_b32 exec_lo, exec_lo, s2
.LBB5_170:                              ;   in Loop: Header=BB5_30 Depth=1
	s_delay_alu instid0(SALU_CYCLE_1)
	s_or_b32 exec_lo, exec_lo, s7
.LBB5_171:                              ;   in Loop: Header=BB5_30 Depth=1
	s_and_not1_saveexec_b32 s2, s6
	s_delay_alu instid0(SALU_CYCLE_1)
	s_or_b32 exec_lo, exec_lo, s2
                                        ; implicit-def: $vgpr29
.LBB5_172:                              ;   in Loop: Header=BB5_30 Depth=1
	s_and_not1_saveexec_b32 s2, s5
	s_cbranch_execz .LBB5_29
; %bb.173:                              ;   in Loop: Header=BB5_30 Depth=1
	v_cmp_eq_u64_e32 vcc_lo, 0, v[17:18]
	v_or_b32_e32 v2, 0x7f, v29
	s_delay_alu instid0(VALU_DEP_1)
	v_cndmask_b32_e32 v28, v2, v28, vcc_lo
	s_branch .LBB5_29
.LBB5_174:
	s_or_b32 exec_lo, exec_lo, s3
	s_delay_alu instid0(VALU_DEP_2) | instskip(SKIP_1) | instid1(VALU_DEP_1)
	v_lshlrev_b32_e32 v0, 3, v35
	s_mov_b32 s43, exec_lo
	v_cmpx_lt_i32_e64 v0, v34
	s_cbranch_execz .LBB5_200
; %bb.175:
	v_add_nc_u32_e32 v1, v11, v0
	s_mov_b32 s2, -1
	s_mov_b32 s44, exec_lo
	s_delay_alu instid0(VALU_DEP_1) | instskip(NEXT) | instid1(VALU_DEP_1)
	v_sub_nc_u32_e32 v3, s21, v1
	v_cmpx_lt_u32_e32 1, v3
	s_cbranch_execz .LBB5_179
; %bb.176:
	s_add_u32 s2, s28, s37
	s_addc_u32 s3, s29, s16
	v_add_co_u32 v1, vcc_lo, s2, v9
	v_add_co_ci_u32_e32 v2, vcc_lo, s3, v10, vcc_lo
	s_mul_i32 s2, s36, s39
	s_delay_alu instid0(VALU_DEP_2) | instskip(NEXT) | instid1(VALU_DEP_2)
	v_add_co_u32 v1, vcc_lo, v1, v32
	v_add_co_ci_u32_e32 v2, vcc_lo, v2, v33, vcc_lo
	s_mul_i32 s3, s33, s41
	v_and_b32_e32 v19, -2, v3
	s_waitcnt lgkmcnt(0)
	s_mov_b32 s46, s15
	v_mad_u64_u32 v[20:21], null, s33, s39, v[1:2]
	v_dual_mov_b32 v2, 0 :: v_dual_mov_b32 v17, v0
	v_mov_b32_e32 v22, v19
	s_mov_b32 s45, 0
	s_delay_alu instid0(VALU_DEP_3) | instskip(NEXT) | instid1(VALU_DEP_4)
	v_add3_u32 v1, s3, s2, v21
	v_add_co_u32 v20, vcc_lo, v20, v11
	s_delay_alu instid0(VALU_DEP_2)
	v_add_co_ci_u32_e32 v21, vcc_lo, v1, v12, vcc_lo
.LBB5_177:                              ; =>This Inner Loop Header: Depth=1
	v_ashrrev_i32_e32 v18, 31, v17
	v_add_nc_u32_e32 v22, -2, v22
	s_delay_alu instid0(VALU_DEP_2) | instskip(NEXT) | instid1(VALU_DEP_1)
	v_lshlrev_b64 v[23:24], 1, v[17:18]
	v_add_co_u32 v23, vcc_lo, v15, v23
	s_delay_alu instid0(VALU_DEP_2) | instskip(SKIP_4) | instid1(VALU_DEP_2)
	v_add_co_ci_u32_e32 v24, vcc_lo, v16, v24, vcc_lo
	global_load_b32 v1, v[23:24], off
	s_waitcnt vmcnt(0)
	v_lshrrev_b32_e32 v23, 16, v1
	v_cvt_f32_f16_e32 v1, v1
	v_cvt_f32_f16_e32 v23, v23
	s_delay_alu instid0(VALU_DEP_2) | instskip(SKIP_1) | instid1(VALU_DEP_3)
	v_div_scale_f32 v24, null, s15, s15, v1
	v_div_scale_f32 v30, vcc_lo, v1, s15, v1
	v_div_scale_f32 v25, null, s46, s46, v23
	s_delay_alu instid0(VALU_DEP_3) | instskip(NEXT) | instid1(VALU_DEP_1)
	v_rcp_f32_e32 v26, v24
	v_rcp_f32_e32 v27, v25
	s_waitcnt_depctr 0xfff
	v_fma_f32 v28, -v24, v26, 1.0
	v_fma_f32 v29, -v25, v27, 1.0
	s_delay_alu instid0(VALU_DEP_2) | instskip(SKIP_1) | instid1(VALU_DEP_3)
	v_fmac_f32_e32 v26, v28, v26
	v_div_scale_f32 v28, s2, v23, s46, v23
	v_fmac_f32_e32 v27, v29, v27
	s_delay_alu instid0(VALU_DEP_3) | instskip(NEXT) | instid1(VALU_DEP_2)
	v_mul_f32_e32 v29, v30, v26
	v_mul_f32_e32 v31, v28, v27
	s_delay_alu instid0(VALU_DEP_2) | instskip(NEXT) | instid1(VALU_DEP_1)
	v_fma_f32 v35, -v24, v29, v30
	v_fmac_f32_e32 v29, v35, v26
	s_delay_alu instid0(VALU_DEP_1) | instskip(NEXT) | instid1(VALU_DEP_1)
	v_fma_f32 v24, -v24, v29, v30
	v_div_fmas_f32 v24, v24, v26, v29
	v_mov_b32_e32 v26, v2
	s_mov_b32 vcc_lo, s2
	s_delay_alu instid0(VALU_DEP_2) | instskip(SKIP_2) | instid1(VALU_DEP_3)
	v_div_fixup_f32 v1, v24, s15, v1
	v_mov_b32_e32 v24, v2
	v_fma_f32 v36, -v25, v31, v28
	v_cvt_f16_f32_e32 v1, v1
	s_delay_alu instid0(VALU_DEP_2) | instskip(NEXT) | instid1(VALU_DEP_2)
	v_fmac_f32_e32 v31, v36, v27
	v_cvt_f32_f16_e32 v1, v1
	v_mov_b32_e32 v36, v2
	s_delay_alu instid0(VALU_DEP_3) | instskip(SKIP_1) | instid1(VALU_DEP_4)
	v_fma_f32 v25, -v25, v31, v28
	v_mov_b32_e32 v28, v2
	v_dual_mov_b32 v38, v2 :: v_dual_and_b32 v35, 0x7fffffff, v1
	v_bfe_u32 v41, v1, 23, 8
	s_delay_alu instid0(VALU_DEP_4)
	v_div_fmas_f32 v25, v25, v27, v31
	v_lshrrev_b32_e32 v42, 24, v1
	v_mov_b32_e32 v30, v2
	v_cmp_ne_u32_e64 s2, 0, v1
	v_cmp_gt_u32_e64 s14, 0x7a, v41
	v_div_fixup_f32 v23, v25, s46, v23
	v_and_b32_e32 v25, 0x7f800000, v1
	v_cmp_gt_u64_e64 s5, 0x43e00001, v[35:36]
	v_and_b32_e32 v45, 0x80, v42
	v_cmp_eq_u32_e32 vcc_lo, 0, v1
	v_cvt_f16_f32_e32 v23, v23
	v_cmp_ne_u64_e64 s3, 0x7f800000, v[25:26]
	v_sub_nc_u32_e32 v26, 0x79, v41
	v_cmp_lt_u64_e64 s4, 0x43e00000, v[35:36]
	v_cmp_eq_u32_e64 s8, 0, v41
	v_cvt_f32_f16_e32 v39, v23
	v_and_b32_e32 v23, 0x7fffff, v1
	s_and_b32 s47, s3, s5
	v_mov_b32_e32 v40, v2
	v_cndmask_b32_e64 v26, 0, v26, s14
	v_and_b32_e32 v1, 0x7fffff, v39
	v_bfe_u32 v43, v39, 23, 8
	v_and_b32_e32 v27, 0x7f800000, v39
	v_and_b32_e32 v29, 0x7fffffff, v39
	v_or_b32_e32 v35, 0x800000, v23
	s_and_b32 s48, s47, s2
	v_cmp_gt_u32_e64 s2, 0x7a, v43
	v_cmp_ne_u64_e64 s10, 0x7f800000, v[27:28]
	v_sub_nc_u32_e32 v28, 0x79, v43
	v_cmp_eq_u64_e64 s9, 0, v[23:24]
	v_cmp_lt_u64_e64 s11, 0x43e00000, v[29:30]
	v_cmp_gt_u64_e64 s12, 0x43e00001, v[29:30]
	v_cmp_eq_u32_e64 s13, 0, v43
	v_or_b32_e32 v29, 0x800000, v1
	v_cndmask_b32_e64 v36, v35, v23, s8
	v_cndmask_b32_e64 v23, 0, v28, s2
	;; [unrolled: 1-line block ×3, first 2 shown]
	v_lshrrev_b32_e32 v44, 24, v39
	v_cmp_eq_u32_e64 s6, 0, v39
	v_cmp_ne_u32_e64 s7, 0, v39
	v_or_b32_e32 v39, 0x7f, v42
	v_or_b32_e32 v24, 0x7e, v45
	v_cmp_eq_u64_e64 s14, 0, v[1:2]
	v_cndmask_b32_e64 v30, v29, v1, s13
	v_cndmask_b32_e64 v1, v23, 0x78, s13
	v_add_nc_u32_e32 v23, 20, v49
	s_and_b32 s3, s3, s4
	v_mov_b32_e32 v31, v2
	s_or_b32 s2, s3, s9
	v_add_nc_u32_e32 v26, 20, v1
	v_add_nc_u32_e32 v27, 0xffffff81, v43
	v_cndmask_b32_e64 v29, v39, v24, s2
	v_lshlrev_b64 v[23:24], v23, -1
	v_dual_mov_b32 v37, v2 :: v_dual_add_nc_u32 v28, 19, v49
	v_add_nc_u32_e32 v25, 0xffffff81, v41
	v_cndmask_b32_e64 v50, v27, 0xffffff82, s13
	v_lshlrev_b64 v[26:27], v26, -1
	v_not_b32_e32 v23, v23
	v_lshlrev_b64 v[27:28], v28, 1
	v_cndmask_b32_e64 v47, v25, 0xffffff82, s8
	v_lshrrev_b64 v[24:25], v49, v[36:37]
	v_add_nc_u32_e32 v37, 19, v1
	v_and_b32_e32 v46, 0x80, v44
	v_or_b32_e32 v35, 0x7f, v44
	v_not_b32_e32 v26, v26
	v_lshrrev_b64 v[41:42], v1, v[30:31]
	v_lshlrev_b64 v[43:44], v37, 1
	v_and_b32_e32 v37, v36, v23
	v_bfe_u32 v51, v24, 20, 1
	v_and_b32_e32 v39, v30, v26
	s_and_b32 s8, s10, s12
	v_lshrrev_b32_e32 v23, 23, v41
	v_cmp_ne_u64_e64 s2, v[37:38], v[27:28]
	v_bfe_u32 v26, v41, 20, 1
	v_add3_u32 v27, v24, v51, -1
	v_cmp_ne_u64_e64 s3, v[39:40], v[43:44]
	v_lshrrev_b32_e32 v31, 23, v24
	v_add3_u32 v1, v1, v50, v23
	s_and_b32 s2, s48, s2
	v_add3_u32 v23, v41, v26, -1
	v_cndmask_b32_e64 v26, v27, v24, s2
	s_and_b32 s7, s8, s7
	v_add3_u32 v31, v49, v47, v31
	s_and_b32 s2, s7, s3
	v_or_b32_e32 v48, 0x7e, v46
	v_cndmask_b32_e64 v23, v23, v41, s2
	v_and_b32_e32 v26, 0xfffff, v26
	v_add_nc_u32_e32 v28, 6, v31
	v_add_nc_u32_e32 v27, 7, v31
	s_delay_alu instid0(VALU_DEP_4) | instskip(NEXT) | instid1(VALU_DEP_4)
	v_and_b32_e32 v31, 0xfffff, v23
	v_add_co_u32 v23, s3, v26, v24
	s_delay_alu instid0(VALU_DEP_1) | instskip(SKIP_1) | instid1(VALU_DEP_4)
	v_add_co_ci_u32_e64 v24, s3, 0, v25, s3
	v_cmp_ne_u32_e64 s2, 0, v28
	v_add_co_u32 v25, s3, v31, v41
	s_delay_alu instid0(VALU_DEP_3) | instskip(SKIP_1) | instid1(VALU_DEP_4)
	v_cmp_lt_u64_e64 s4, 0xffffff, v[23:24]
	v_add_co_ci_u32_e64 v26, s3, 0, v42, s3
	s_and_b32 s2, s48, s2
	s_delay_alu instid0(VALU_DEP_2) | instskip(SKIP_1) | instid1(VALU_DEP_3)
	v_cndmask_b32_e64 v27, v28, v27, s4
	v_bfe_u32 v28, v23, 23, 1
	v_cmp_lt_u64_e64 s5, 0xffffff, v[25:26]
	s_delay_alu instid0(VALU_DEP_2) | instskip(SKIP_1) | instid1(SALU_CYCLE_1)
	v_cndmask_b32_e64 v27, v28, v27, s2
	s_and_b32 s2, s2, s4
	v_cndmask_b32_e64 v28, 0, 1, s2
	s_delay_alu instid0(VALU_DEP_1) | instskip(NEXT) | instid1(VALU_DEP_1)
	v_lshrrev_b64 v[23:24], v28, v[23:24]
	v_lshrrev_b64 v[23:24], 20, v[23:24]
	v_add_nc_u32_e32 v30, 6, v1
	v_add_nc_u32_e32 v1, 7, v1
	s_delay_alu instid0(VALU_DEP_2) | instskip(NEXT) | instid1(VALU_DEP_2)
	v_cmp_ne_u32_e64 s3, 0, v30
	v_cndmask_b32_e64 v1, v30, v1, s5
	v_bfe_u32 v30, v25, 23, 1
	s_delay_alu instid0(VALU_DEP_3)
	s_and_b32 s2, s7, s3
	s_delay_alu instid0(VALU_DEP_1) | instid1(SALU_CYCLE_1)
	v_cndmask_b32_e64 v1, v30, v1, s2
	s_and_b32 s2, s2, s5
	s_delay_alu instid0(SALU_CYCLE_1) | instskip(SKIP_1) | instid1(VALU_DEP_2)
	v_cndmask_b32_e64 v30, 0, 1, s2
	s_and_b32 s2, s10, s11
	v_min_i32_e32 v31, 15, v1
	s_or_b32 s2, s2, s14
	v_cmp_eq_u32_e64 s4, 0, v1
	v_lshrrev_b64 v[25:26], v30, v[25:26]
	v_cndmask_b32_e64 v28, v35, v48, s2
	s_and_b32 s2, s47, vcc_lo
	v_cmp_gt_i32_e32 vcc_lo, 16, v27
	v_cndmask_b32_e64 v29, v29, 0, s2
	s_and_b32 s2, s8, s6
	v_lshrrev_b64 v[25:26], 20, v[25:26]
	v_cndmask_b32_e64 v28, v28, 0, s2
	v_cndmask_b32_e32 v23, 7, v23, vcc_lo
	v_cmp_gt_i32_e64 s2, 16, v1
	v_cndmask_b32_e32 v24, 0, v24, vcc_lo
	v_min_i32_e32 v30, 15, v27
	s_delay_alu instid0(VALU_DEP_3) | instskip(SKIP_1) | instid1(VALU_DEP_4)
	v_cndmask_b32_e64 v26, 0, v26, s2
	v_cndmask_b32_e64 v25, 7, v25, s2
	v_cmp_eq_u64_e32 vcc_lo, 0, v[23:24]
	v_cmp_eq_u32_e64 s2, 0, v27
	v_lshl_or_b32 v30, v30, 3, v45
	v_lshl_or_b32 v24, v31, 3, v46
	v_cmp_eq_u64_e64 s3, 0, v[25:26]
	s_delay_alu instid0(VALU_DEP_4) | instskip(NEXT) | instid1(VALU_DEP_3)
	s_and_b32 s2, s2, vcc_lo
	v_and_or_b32 v1, v23, 7, v30
	s_and_b32 vcc_lo, s48, s2
	v_and_or_b32 v23, v25, 7, v24
	s_delay_alu instid0(VALU_DEP_3)
	s_and_b32 s3, s4, s3
	v_cndmask_b32_e32 v24, v29, v45, vcc_lo
	s_and_b32 vcc_lo, s7, s3
	s_xor_b32 s5, s2, -1
	v_cndmask_b32_e32 v25, v28, v46, vcc_lo
	s_xor_b32 s2, s3, -1
	s_and_b32 vcc_lo, s48, s5
	v_cndmask_b32_e32 v1, v24, v1, vcc_lo
	s_and_b32 vcc_lo, s7, s2
	v_cndmask_b32_e32 v23, v25, v23, vcc_lo
	v_cmp_eq_u32_e32 vcc_lo, 0, v22
	s_delay_alu instid0(VALU_DEP_3) | instskip(NEXT) | instid1(VALU_DEP_3)
	v_and_b32_e32 v1, 0xff, v1
	v_lshlrev_b16 v25, 8, v23
	v_add_co_u32 v23, s2, v20, v17
	s_delay_alu instid0(VALU_DEP_1) | instskip(NEXT) | instid1(VALU_DEP_3)
	v_add_co_ci_u32_e64 v24, s2, v21, v18, s2
	v_or_b32_e32 v1, v1, v25
	v_add_nc_u32_e32 v17, 2, v17
	s_or_b32 s45, vcc_lo, s45
	global_store_b16 v[23:24], v1, off
	s_and_not1_b32 exec_lo, exec_lo, s45
	s_cbranch_execnz .LBB5_177
; %bb.178:
	s_or_b32 exec_lo, exec_lo, s45
	v_cmp_ne_u32_e32 vcc_lo, v3, v19
	v_add_nc_u32_e32 v0, v0, v19
	s_or_not1_b32 s2, vcc_lo, exec_lo
.LBB5_179:
	s_or_b32 exec_lo, exec_lo, s44
	s_delay_alu instid0(SALU_CYCLE_1)
	s_and_b32 exec_lo, exec_lo, s2
	s_cbranch_execz .LBB5_200
; %bb.180:
	s_add_u32 s2, s38, -1
	s_addc_u32 s3, s40, -1
	s_mul_hi_u32 s4, s30, s2
	s_mul_i32 s3, s30, s3
	v_ashrrev_i32_e32 v1, 31, v0
	s_add_i32 s3, s4, s3
	s_mul_i32 s4, s30, s2
	s_mul_i32 s2, s31, s2
	;; [unrolled: 1-line block ×3, first 2 shown]
	s_mul_hi_u32 s6, s4, s26
	s_add_i32 s2, s3, s2
	s_add_i32 s3, s6, s5
	s_mul_i32 s2, s2, s26
	s_mul_i32 s4, s4, s26
	s_add_i32 s3, s3, s2
	s_add_u32 s2, s24, s4
	v_add_co_u32 v13, vcc_lo, s18, v13
	v_mad_u64_u32 v[2:3], null, s2, s39, v[11:12]
	v_lshlrev_b64 v[11:12], 1, v[0:1]
	s_addc_u32 s3, s25, s3
	v_add_co_ci_u32_e32 v14, vcc_lo, s19, v14, vcc_lo
	s_mul_i32 s3, s3, s39
	s_mul_i32 s2, s2, s41
	s_delay_alu instid0(VALU_DEP_2) | instskip(NEXT) | instid1(VALU_DEP_4)
	v_add_co_u32 v11, vcc_lo, v13, v11
	v_add3_u32 v3, s2, s3, v3
	v_add_co_ci_u32_e32 v12, vcc_lo, v14, v12, vcc_lo
	v_add_co_u32 v2, vcc_lo, v2, v0
	s_delay_alu instid0(VALU_DEP_3) | instskip(SKIP_1) | instid1(VALU_DEP_4)
	v_add_co_ci_u32_e32 v1, vcc_lo, v3, v1, vcc_lo
	v_add_co_u32 v3, vcc_lo, v11, v6
	v_add_co_ci_u32_e32 v11, vcc_lo, v12, v7, vcc_lo
	s_delay_alu instid0(VALU_DEP_4) | instskip(NEXT) | instid1(VALU_DEP_4)
	v_add_co_u32 v2, vcc_lo, v2, v9
	v_add_co_ci_u32_e32 v1, vcc_lo, v1, v10, vcc_lo
	s_delay_alu instid0(VALU_DEP_4) | instskip(NEXT) | instid1(VALU_DEP_4)
	;; [unrolled: 3-line block ×5, first 2 shown]
	v_add_co_u32 v11, vcc_lo, s28, v12
	v_add_co_ci_u32_e32 v12, vcc_lo, s29, v13, vcc_lo
	v_mov_b32_e32 v14, 0
	s_mov_b32 s3, 0
	s_branch .LBB5_182
.LBB5_181:                              ;   in Loop: Header=BB5_182 Depth=1
	s_or_b32 exec_lo, exec_lo, s2
	v_add_nc_u32_e32 v0, 1, v0
	v_add_co_u32 v1, vcc_lo, v1, 2
	v_add_co_ci_u32_e32 v2, vcc_lo, 0, v2, vcc_lo
	global_store_b8 v[11:12], v16, off
	v_cmp_ge_i32_e32 vcc_lo, v0, v34
	v_add_co_u32 v11, s2, v11, 1
	s_delay_alu instid0(VALU_DEP_1) | instskip(SKIP_1) | instid1(SALU_CYCLE_1)
	v_add_co_ci_u32_e64 v12, s2, 0, v12, s2
	s_or_b32 s3, vcc_lo, s3
	s_and_not1_b32 exec_lo, exec_lo, s3
	s_cbranch_execz .LBB5_200
.LBB5_182:                              ; =>This Inner Loop Header: Depth=1
	global_load_u16 v3, v[1:2], off
	s_mov_b32 s2, exec_lo
	v_mov_b32_e32 v19, v14
	s_waitcnt vmcnt(0)
	v_cvt_f32_f16_e32 v3, v3
	s_waitcnt lgkmcnt(0)
	s_delay_alu instid0(VALU_DEP_1) | instskip(NEXT) | instid1(VALU_DEP_1)
	v_div_scale_f32 v13, null, s15, s15, v3
	v_rcp_f32_e32 v15, v13
	s_waitcnt_depctr 0xfff
	v_fma_f32 v16, -v13, v15, 1.0
	s_delay_alu instid0(VALU_DEP_1) | instskip(SKIP_1) | instid1(VALU_DEP_1)
	v_fmac_f32_e32 v15, v16, v15
	v_div_scale_f32 v16, vcc_lo, v3, s15, v3
	v_mul_f32_e32 v17, v16, v15
	s_delay_alu instid0(VALU_DEP_1) | instskip(NEXT) | instid1(VALU_DEP_1)
	v_fma_f32 v18, -v13, v17, v16
	v_fmac_f32_e32 v17, v18, v15
	s_delay_alu instid0(VALU_DEP_1) | instskip(NEXT) | instid1(VALU_DEP_1)
	v_fma_f32 v13, -v13, v17, v16
	v_div_fmas_f32 v13, v13, v15, v17
	s_delay_alu instid0(VALU_DEP_1) | instskip(NEXT) | instid1(VALU_DEP_1)
	v_div_fixup_f32 v3, v13, s15, v3
	v_cvt_f16_f32_e32 v3, v3
	s_delay_alu instid0(VALU_DEP_1) | instskip(NEXT) | instid1(VALU_DEP_1)
	v_cvt_f32_f16_e32 v15, v3
	v_lshrrev_b32_e32 v17, 24, v15
	v_and_b32_e32 v18, 0x7f800000, v15
	v_and_b32_e32 v13, 0x7fffff, v15
	s_delay_alu instid0(VALU_DEP_3) | instskip(NEXT) | instid1(VALU_DEP_1)
	v_and_b32_e32 v3, 0x80, v17
	v_or_b32_e32 v16, 0x7e, v3
	s_delay_alu instid0(VALU_DEP_4)
	v_cmpx_ne_u64_e32 0x7f800000, v[18:19]
	s_xor_b32 s4, exec_lo, s2
	s_cbranch_execz .LBB5_198
; %bb.183:                              ;   in Loop: Header=BB5_182 Depth=1
	v_dual_mov_b32 v18, v14 :: v_dual_and_b32 v17, 0x7fffffff, v15
	s_mov_b32 s2, exec_lo
	s_delay_alu instid0(VALU_DEP_1)
	v_cmpx_gt_u64_e32 0x43e00001, v[17:18]
	s_xor_b32 s5, exec_lo, s2
	s_cbranch_execz .LBB5_197
; %bb.184:                              ;   in Loop: Header=BB5_182 Depth=1
	v_mov_b32_e32 v16, 0
	s_mov_b32 s6, exec_lo
	v_cmpx_ne_u32_e32 0, v15
	s_cbranch_execz .LBB5_196
; %bb.185:                              ;   in Loop: Header=BB5_182 Depth=1
	v_bfe_u32 v19, v15, 23, 8
	v_or_b32_e32 v17, 0x800000, v13
	s_delay_alu instid0(VALU_DEP_2) | instskip(SKIP_1) | instid1(VALU_DEP_2)
	v_sub_nc_u32_e32 v15, 0x79, v19
	v_cmp_gt_u32_e32 vcc_lo, 0x7a, v19
	v_cndmask_b32_e32 v15, 0, v15, vcc_lo
	v_cmp_eq_u32_e32 vcc_lo, 0, v19
	s_delay_alu instid0(VALU_DEP_2) | instskip(SKIP_1) | instid1(VALU_DEP_2)
	v_cndmask_b32_e64 v20, v15, 0x78, vcc_lo
	v_cndmask_b32_e32 v13, v17, v13, vcc_lo
	v_add_nc_u32_e32 v15, 20, v20
	v_add_nc_u32_e32 v17, 19, v20
	s_delay_alu instid0(VALU_DEP_2) | instskip(NEXT) | instid1(VALU_DEP_2)
	v_lshlrev_b64 v[15:16], v15, -1
	v_lshlrev_b64 v[17:18], v17, 1
	s_delay_alu instid0(VALU_DEP_2) | instskip(NEXT) | instid1(VALU_DEP_3)
	v_not_b32_e32 v16, v16
	v_not_b32_e32 v15, v15
	s_delay_alu instid0(VALU_DEP_2) | instskip(NEXT) | instid1(VALU_DEP_2)
	v_and_b32_e32 v22, 0, v16
	v_and_b32_e32 v21, v13, v15
	v_lshrrev_b64 v[15:16], v20, v[13:14]
	s_delay_alu instid0(VALU_DEP_2) | instskip(NEXT) | instid1(VALU_DEP_2)
	v_cmp_eq_u64_e64 s2, v[21:22], v[17:18]
	v_dual_mov_b32 v18, v16 :: v_dual_mov_b32 v17, v15
	s_delay_alu instid0(VALU_DEP_2)
	s_and_saveexec_b32 s7, s2
; %bb.186:                              ;   in Loop: Header=BB5_182 Depth=1
	v_bfe_u32 v13, v15, 20, 1
	s_delay_alu instid0(VALU_DEP_1) | instskip(NEXT) | instid1(VALU_DEP_1)
	v_add_co_u32 v13, s2, v15, v13
	v_add_co_u32 v17, s2, v13, -1
; %bb.187:                              ;   in Loop: Header=BB5_182 Depth=1
	s_or_b32 exec_lo, exec_lo, s7
	v_add_nc_u32_e32 v13, 0xffffff81, v19
	v_lshrrev_b32_e32 v18, 23, v15
	s_mov_b32 s2, exec_lo
	s_delay_alu instid0(VALU_DEP_2) | instskip(NEXT) | instid1(VALU_DEP_1)
	v_cndmask_b32_e64 v13, v13, 0xffffff82, vcc_lo
	v_add3_u32 v18, v20, v13, v18
	v_and_b32_e32 v13, 0xfffff, v17
	s_delay_alu instid0(VALU_DEP_2) | instskip(NEXT) | instid1(VALU_DEP_2)
	v_add_nc_u32_e32 v17, 6, v18
	v_add_co_u32 v15, vcc_lo, v13, v15
	v_add_co_ci_u32_e32 v16, vcc_lo, 0, v16, vcc_lo
                                        ; implicit-def: $vgpr13
	s_delay_alu instid0(VALU_DEP_3)
	v_cmpx_ne_u32_e32 0, v17
	s_xor_b32 s2, exec_lo, s2
; %bb.188:                              ;   in Loop: Header=BB5_182 Depth=1
	s_delay_alu instid0(VALU_DEP_2) | instskip(SKIP_1) | instid1(VALU_DEP_1)
	v_cmp_lt_u64_e32 vcc_lo, 0xffffff, v[15:16]
	v_add_nc_u32_e32 v13, 7, v18
	v_cndmask_b32_e32 v13, v17, v13, vcc_lo
	v_cndmask_b32_e64 v17, 0, 1, vcc_lo
	s_delay_alu instid0(VALU_DEP_1)
	v_lshrrev_b64 v[15:16], v17, v[15:16]
; %bb.189:                              ;   in Loop: Header=BB5_182 Depth=1
	s_and_not1_saveexec_b32 s2, s2
; %bb.190:                              ;   in Loop: Header=BB5_182 Depth=1
	s_delay_alu instid0(VALU_DEP_1)
	v_bfe_u32 v13, v15, 23, 1
; %bb.191:                              ;   in Loop: Header=BB5_182 Depth=1
	s_or_b32 exec_lo, exec_lo, s2
	s_delay_alu instid0(VALU_DEP_2) | instskip(NEXT) | instid1(VALU_DEP_2)
	v_lshrrev_b64 v[15:16], 20, v[15:16]
	v_cmp_gt_i32_e32 vcc_lo, 16, v13
	v_cmp_ne_u32_e64 s2, 0, v13
	s_delay_alu instid0(VALU_DEP_3) | instskip(NEXT) | instid1(VALU_DEP_1)
	v_dual_cndmask_b32 v16, 0, v16 :: v_dual_cndmask_b32 v15, 7, v15
	v_cmp_ne_u64_e32 vcc_lo, 0, v[15:16]
                                        ; implicit-def: $vgpr16
	s_delay_alu instid0(VALU_DEP_3) | instskip(NEXT) | instid1(SALU_CYCLE_1)
	s_or_b32 s2, s2, vcc_lo
	s_and_saveexec_b32 s7, s2
	s_delay_alu instid0(SALU_CYCLE_1)
	s_xor_b32 s2, exec_lo, s7
; %bb.192:                              ;   in Loop: Header=BB5_182 Depth=1
	v_min_i32_e32 v13, 15, v13
	s_delay_alu instid0(VALU_DEP_1) | instskip(NEXT) | instid1(VALU_DEP_1)
	v_lshl_or_b32 v3, v13, 3, v3
	v_and_or_b32 v16, v15, 7, v3
                                        ; implicit-def: $vgpr3
; %bb.193:                              ;   in Loop: Header=BB5_182 Depth=1
	s_and_not1_saveexec_b32 s2, s2
; %bb.194:                              ;   in Loop: Header=BB5_182 Depth=1
	v_mov_b32_e32 v16, v3
; %bb.195:                              ;   in Loop: Header=BB5_182 Depth=1
	s_or_b32 exec_lo, exec_lo, s2
.LBB5_196:                              ;   in Loop: Header=BB5_182 Depth=1
	s_delay_alu instid0(SALU_CYCLE_1)
	s_or_b32 exec_lo, exec_lo, s6
.LBB5_197:                              ;   in Loop: Header=BB5_182 Depth=1
	s_and_not1_saveexec_b32 s2, s5
	s_delay_alu instid0(SALU_CYCLE_1)
	s_or_b32 exec_lo, exec_lo, s2
                                        ; implicit-def: $vgpr17
.LBB5_198:                              ;   in Loop: Header=BB5_182 Depth=1
	s_and_not1_saveexec_b32 s2, s4
	s_cbranch_execz .LBB5_181
; %bb.199:                              ;   in Loop: Header=BB5_182 Depth=1
	v_cmp_eq_u64_e32 vcc_lo, 0, v[13:14]
	v_or_b32_e32 v3, 0x7f, v17
	s_delay_alu instid0(VALU_DEP_1)
	v_cndmask_b32_e32 v16, v3, v16, vcc_lo
	s_branch .LBB5_181
.LBB5_200:
	s_or_b32 exec_lo, exec_lo, s43
                                        ; implicit-def: $vgpr15_vgpr16
                                        ; implicit-def: $vgpr32
                                        ; implicit-def: $vgpr33
.LBB5_201:
	s_and_not1_saveexec_b32 s3, s42
	s_cbranch_execz .LBB5_349
; %bb.202:
	s_ashr_i32 s4, s21, 3
	s_delay_alu instid0(SALU_CYCLE_1)
	s_cmp_lt_i32 s4, 1
	s_cbranch_scc1 .LBB5_349
; %bb.203:
	s_add_u32 s2, s38, -1
	s_addc_u32 s5, s40, -1
	s_mul_hi_u32 s6, s30, s2
	s_mul_i32 s5, s30, s5
	s_mul_i32 s7, s30, s2
	s_add_i32 s5, s6, s5
	s_mul_i32 s2, s31, s2
	s_mul_i32 s6, s7, s27
	s_mul_hi_u32 s8, s7, s26
	s_add_i32 s2, s5, s2
	s_add_i32 s5, s8, s6
	s_mul_i32 s2, s2, s26
	s_mul_i32 s7, s7, s26
	s_add_i32 s5, s5, s2
	s_add_u32 s2, s24, s7
	s_addc_u32 s5, s25, s5
	v_mad_u64_u32 v[0:1], null, s2, s39, v[9:10]
	s_mul_i32 s2, s2, s41
	s_mul_i32 s5, s5, s39
	v_mov_b32_e32 v14, 0
	s_delay_alu instid0(VALU_DEP_2) | instskip(NEXT) | instid1(VALU_DEP_3)
	v_add3_u32 v1, s2, s5, v1
	v_add_co_u32 v0, vcc_lo, v0, v32
	s_delay_alu instid0(VALU_DEP_2) | instskip(NEXT) | instid1(VALU_DEP_2)
	v_add_co_ci_u32_e32 v1, vcc_lo, v1, v33, vcc_lo
	v_add_co_u32 v11, vcc_lo, s28, v0
	s_delay_alu instid0(VALU_DEP_2)
	v_add_co_ci_u32_e32 v12, vcc_lo, s29, v1, vcc_lo
	s_branch .LBB5_205
.LBB5_204:                              ;   in Loop: Header=BB5_205 Depth=1
	s_or_b32 exec_lo, exec_lo, s2
	v_lshlrev_b32_e32 v2, 16, v21
	v_lshlrev_b32_e32 v3, 16, v19
	;; [unrolled: 1-line block ×5, first 2 shown]
	v_and_b32_e32 v2, 0xff0000, v2
	v_perm_b32 v0, v0, v3, 0x4020c0c
	v_and_b32_e32 v3, 0xff, v20
	v_and_b32_e32 v17, 0xff, v17
	;; [unrolled: 1-line block ×3, first 2 shown]
	v_or_b32_e32 v2, v13, v2
	v_and_or_b32 v0, 0xff00, v18, v0
	s_add_i32 s4, s4, -1
	s_delay_alu instid0(SALU_CYCLE_1) | instskip(NEXT) | instid1(VALU_DEP_2)
	s_cmp_eq_u32 s4, 0
	v_or3_b32 v1, v2, v1, v3
	s_delay_alu instid0(VALU_DEP_2)
	v_or_b32_e32 v0, v0, v17
	global_store_b64 v[11:12], v[0:1], off
	v_add_co_u32 v11, vcc_lo, v11, 8
	v_add_co_ci_u32_e32 v12, vcc_lo, 0, v12, vcc_lo
	v_add_co_u32 v15, vcc_lo, v15, 16
	v_add_co_ci_u32_e32 v16, vcc_lo, 0, v16, vcc_lo
	s_cbranch_scc1 .LBB5_349
.LBB5_205:                              ; =>This Inner Loop Header: Depth=1
	global_load_b128 v[0:3], v[15:16], off
	s_mov_b32 s2, exec_lo
	s_waitcnt vmcnt(0)
	v_cvt_f32_f16_e32 v13, v0
	s_waitcnt lgkmcnt(0)
	s_delay_alu instid0(VALU_DEP_1) | instskip(NEXT) | instid1(VALU_DEP_1)
	v_div_scale_f32 v17, null, s15, s15, v13
	v_rcp_f32_e32 v18, v17
	s_waitcnt_depctr 0xfff
	v_fma_f32 v19, -v17, v18, 1.0
	s_delay_alu instid0(VALU_DEP_1) | instskip(SKIP_1) | instid1(VALU_DEP_1)
	v_fmac_f32_e32 v18, v19, v18
	v_div_scale_f32 v19, vcc_lo, v13, s15, v13
	v_mul_f32_e32 v20, v19, v18
	s_delay_alu instid0(VALU_DEP_1) | instskip(NEXT) | instid1(VALU_DEP_1)
	v_fma_f32 v21, -v17, v20, v19
	v_fmac_f32_e32 v20, v21, v18
	s_delay_alu instid0(VALU_DEP_1) | instskip(NEXT) | instid1(VALU_DEP_1)
	v_fma_f32 v17, -v17, v20, v19
	v_div_fmas_f32 v17, v17, v18, v20
	s_delay_alu instid0(VALU_DEP_1) | instskip(NEXT) | instid1(VALU_DEP_1)
	v_div_fixup_f32 v13, v17, s15, v13
	v_cvt_f16_f32_e32 v13, v13
	s_delay_alu instid0(VALU_DEP_1) | instskip(NEXT) | instid1(VALU_DEP_1)
	v_cvt_f32_f16_e32 v20, v13
	v_and_b32_e32 v21, 0x7f800000, v20
	v_lshrrev_b32_e32 v18, 24, v20
	v_dual_mov_b32 v22, v14 :: v_dual_and_b32 v13, 0x7fffff, v20
	s_delay_alu instid0(VALU_DEP_2) | instskip(NEXT) | instid1(VALU_DEP_1)
	v_and_b32_e32 v19, 0x80, v18
	v_or_b32_e32 v17, 0x7e, v19
	s_delay_alu instid0(VALU_DEP_3)
	v_cmpx_ne_u64_e32 0x7f800000, v[21:22]
	s_xor_b32 s5, exec_lo, s2
	s_cbranch_execz .LBB5_221
; %bb.206:                              ;   in Loop: Header=BB5_205 Depth=1
	v_dual_mov_b32 v22, v14 :: v_dual_and_b32 v21, 0x7fffffff, v20
	s_mov_b32 s2, exec_lo
	s_delay_alu instid0(VALU_DEP_1)
	v_cmpx_gt_u64_e32 0x43e00001, v[21:22]
	s_xor_b32 s6, exec_lo, s2
	s_cbranch_execz .LBB5_220
; %bb.207:                              ;   in Loop: Header=BB5_205 Depth=1
	s_mov_b32 s7, exec_lo
	v_mov_b32_e32 v17, 0
	v_mov_b32_e32 v18, 0
	v_cmpx_ne_u32_e32 0, v20
	s_cbranch_execz .LBB5_219
; %bb.208:                              ;   in Loop: Header=BB5_205 Depth=1
	v_bfe_u32 v22, v20, 23, 8
	v_or_b32_e32 v20, 0x800000, v13
	s_delay_alu instid0(VALU_DEP_2) | instskip(SKIP_1) | instid1(VALU_DEP_2)
	v_sub_nc_u32_e32 v17, 0x79, v22
	v_cmp_gt_u32_e32 vcc_lo, 0x7a, v22
	v_cndmask_b32_e32 v17, 0, v17, vcc_lo
	v_cmp_eq_u32_e32 vcc_lo, 0, v22
	s_delay_alu instid0(VALU_DEP_2) | instskip(SKIP_1) | instid1(VALU_DEP_2)
	v_cndmask_b32_e64 v23, v17, 0x78, vcc_lo
	v_cndmask_b32_e32 v13, v20, v13, vcc_lo
	v_add_nc_u32_e32 v17, 20, v23
	v_add_nc_u32_e32 v20, 19, v23
	s_delay_alu instid0(VALU_DEP_2) | instskip(NEXT) | instid1(VALU_DEP_2)
	v_lshlrev_b64 v[17:18], v17, -1
	v_lshlrev_b64 v[20:21], v20, 1
	s_delay_alu instid0(VALU_DEP_2) | instskip(NEXT) | instid1(VALU_DEP_3)
	v_not_b32_e32 v18, v18
	v_not_b32_e32 v17, v17
	s_delay_alu instid0(VALU_DEP_2) | instskip(NEXT) | instid1(VALU_DEP_2)
	v_and_b32_e32 v25, 0, v18
	v_and_b32_e32 v24, v13, v17
	v_lshrrev_b64 v[17:18], v23, v[13:14]
	s_delay_alu instid0(VALU_DEP_2) | instskip(NEXT) | instid1(VALU_DEP_2)
	v_cmp_eq_u64_e64 s2, v[24:25], v[20:21]
	v_dual_mov_b32 v21, v18 :: v_dual_mov_b32 v20, v17
	s_delay_alu instid0(VALU_DEP_2)
	s_and_saveexec_b32 s8, s2
; %bb.209:                              ;   in Loop: Header=BB5_205 Depth=1
	v_bfe_u32 v13, v17, 20, 1
	s_delay_alu instid0(VALU_DEP_1) | instskip(NEXT) | instid1(VALU_DEP_1)
	v_add_co_u32 v13, s2, v17, v13
	v_add_co_u32 v20, s2, v13, -1
; %bb.210:                              ;   in Loop: Header=BB5_205 Depth=1
	s_or_b32 exec_lo, exec_lo, s8
	v_add_nc_u32_e32 v13, 0xffffff81, v22
	v_lshrrev_b32_e32 v21, 23, v17
	s_mov_b32 s2, exec_lo
	s_delay_alu instid0(VALU_DEP_2) | instskip(NEXT) | instid1(VALU_DEP_1)
	v_cndmask_b32_e64 v13, v13, 0xffffff82, vcc_lo
	v_add3_u32 v21, v23, v13, v21
	v_and_b32_e32 v13, 0xfffff, v20
	s_delay_alu instid0(VALU_DEP_2) | instskip(NEXT) | instid1(VALU_DEP_2)
	v_add_nc_u32_e32 v20, 6, v21
	v_add_co_u32 v17, vcc_lo, v13, v17
	v_add_co_ci_u32_e32 v18, vcc_lo, 0, v18, vcc_lo
                                        ; implicit-def: $vgpr13
	s_delay_alu instid0(VALU_DEP_3)
	v_cmpx_ne_u32_e32 0, v20
	s_xor_b32 s2, exec_lo, s2
; %bb.211:                              ;   in Loop: Header=BB5_205 Depth=1
	s_delay_alu instid0(VALU_DEP_2) | instskip(SKIP_1) | instid1(VALU_DEP_1)
	v_cmp_lt_u64_e32 vcc_lo, 0xffffff, v[17:18]
	v_add_nc_u32_e32 v13, 7, v21
	v_cndmask_b32_e32 v13, v20, v13, vcc_lo
	v_cndmask_b32_e64 v20, 0, 1, vcc_lo
	s_delay_alu instid0(VALU_DEP_1)
	v_lshrrev_b64 v[17:18], v20, v[17:18]
; %bb.212:                              ;   in Loop: Header=BB5_205 Depth=1
	s_and_not1_saveexec_b32 s2, s2
; %bb.213:                              ;   in Loop: Header=BB5_205 Depth=1
	s_delay_alu instid0(VALU_DEP_1)
	v_bfe_u32 v13, v17, 23, 1
; %bb.214:                              ;   in Loop: Header=BB5_205 Depth=1
	s_or_b32 exec_lo, exec_lo, s2
	s_delay_alu instid0(VALU_DEP_2) | instskip(NEXT) | instid1(VALU_DEP_2)
	v_lshrrev_b64 v[17:18], 20, v[17:18]
	v_cmp_gt_i32_e32 vcc_lo, 16, v13
	v_cmp_ne_u32_e64 s2, 0, v13
	s_delay_alu instid0(VALU_DEP_3) | instskip(NEXT) | instid1(VALU_DEP_1)
	v_dual_cndmask_b32 v21, 0, v18 :: v_dual_cndmask_b32 v20, 7, v17
                                        ; implicit-def: $vgpr17_vgpr18
	v_cmp_ne_u64_e32 vcc_lo, 0, v[20:21]
	s_delay_alu instid0(VALU_DEP_3) | instskip(NEXT) | instid1(SALU_CYCLE_1)
	s_or_b32 s2, s2, vcc_lo
	s_and_saveexec_b32 s8, s2
	s_delay_alu instid0(SALU_CYCLE_1)
	s_xor_b32 s2, exec_lo, s8
; %bb.215:                              ;   in Loop: Header=BB5_205 Depth=1
	v_min_i32_e32 v13, 15, v13
	s_delay_alu instid0(VALU_DEP_1) | instskip(NEXT) | instid1(VALU_DEP_1)
	v_lshl_or_b32 v13, v13, 3, v19
                                        ; implicit-def: $vgpr19
	v_and_or_b32 v17, v20, 7, v13
; %bb.216:                              ;   in Loop: Header=BB5_205 Depth=1
	s_and_not1_saveexec_b32 s2, s2
; %bb.217:                              ;   in Loop: Header=BB5_205 Depth=1
	v_dual_mov_b32 v17, v19 :: v_dual_mov_b32 v18, v20
; %bb.218:                              ;   in Loop: Header=BB5_205 Depth=1
	s_or_b32 exec_lo, exec_lo, s2
.LBB5_219:                              ;   in Loop: Header=BB5_205 Depth=1
	s_delay_alu instid0(SALU_CYCLE_1)
	s_or_b32 exec_lo, exec_lo, s7
.LBB5_220:                              ;   in Loop: Header=BB5_205 Depth=1
	s_and_not1_saveexec_b32 s2, s6
	s_delay_alu instid0(SALU_CYCLE_1)
	s_or_b32 exec_lo, exec_lo, s2
                                        ; implicit-def: $vgpr18
.LBB5_221:                              ;   in Loop: Header=BB5_205 Depth=1
	s_and_not1_saveexec_b32 s2, s5
; %bb.222:                              ;   in Loop: Header=BB5_205 Depth=1
	v_cmp_eq_u64_e32 vcc_lo, 0, v[13:14]
	v_or_b32_e32 v18, 0x7f, v18
	s_delay_alu instid0(VALU_DEP_1)
	v_cndmask_b32_e32 v17, v18, v17, vcc_lo
; %bb.223:                              ;   in Loop: Header=BB5_205 Depth=1
	s_or_b32 exec_lo, exec_lo, s2
	v_lshrrev_b32_e32 v0, 16, v0
	s_mov_b32 s2, exec_lo
	s_delay_alu instid0(VALU_DEP_1) | instskip(NEXT) | instid1(VALU_DEP_1)
	v_cvt_f32_f16_e32 v0, v0
	v_div_scale_f32 v13, null, s15, s15, v0
	s_delay_alu instid0(VALU_DEP_1) | instskip(SKIP_2) | instid1(VALU_DEP_1)
	v_rcp_f32_e32 v18, v13
	s_waitcnt_depctr 0xfff
	v_fma_f32 v19, -v13, v18, 1.0
	v_fmac_f32_e32 v18, v19, v18
	v_div_scale_f32 v19, vcc_lo, v0, s15, v0
	s_delay_alu instid0(VALU_DEP_1) | instskip(NEXT) | instid1(VALU_DEP_1)
	v_mul_f32_e32 v20, v19, v18
	v_fma_f32 v21, -v13, v20, v19
	s_delay_alu instid0(VALU_DEP_1) | instskip(NEXT) | instid1(VALU_DEP_1)
	v_fmac_f32_e32 v20, v21, v18
	v_fma_f32 v13, -v13, v20, v19
	s_delay_alu instid0(VALU_DEP_1) | instskip(NEXT) | instid1(VALU_DEP_1)
	v_div_fmas_f32 v13, v13, v18, v20
	v_div_fixup_f32 v0, v13, s15, v0
	s_delay_alu instid0(VALU_DEP_1) | instskip(NEXT) | instid1(VALU_DEP_1)
	v_cvt_f16_f32_e32 v0, v0
	v_cvt_f32_f16_e32 v20, v0
	s_delay_alu instid0(VALU_DEP_1) | instskip(SKIP_2) | instid1(VALU_DEP_2)
	v_dual_mov_b32 v22, v14 :: v_dual_and_b32 v13, 0x7fffff, v20
	v_lshrrev_b32_e32 v19, 24, v20
	v_and_b32_e32 v21, 0x7f800000, v20
	v_and_b32_e32 v0, 0x80, v19
	s_delay_alu instid0(VALU_DEP_1) | instskip(NEXT) | instid1(VALU_DEP_3)
	v_or_b32_e32 v18, 0x7e, v0
	v_cmpx_ne_u64_e32 0x7f800000, v[21:22]
	s_xor_b32 s5, exec_lo, s2
	s_cbranch_execz .LBB5_239
; %bb.224:                              ;   in Loop: Header=BB5_205 Depth=1
	v_dual_mov_b32 v22, v14 :: v_dual_and_b32 v21, 0x7fffffff, v20
	s_mov_b32 s2, exec_lo
	s_delay_alu instid0(VALU_DEP_1)
	v_cmpx_gt_u64_e32 0x43e00001, v[21:22]
	s_xor_b32 s6, exec_lo, s2
	s_cbranch_execz .LBB5_238
; %bb.225:                              ;   in Loop: Header=BB5_205 Depth=1
	s_mov_b32 s7, exec_lo
	v_mov_b32_e32 v18, 0
	v_mov_b32_e32 v19, 0
	v_cmpx_ne_u32_e32 0, v20
	s_cbranch_execz .LBB5_237
; %bb.226:                              ;   in Loop: Header=BB5_205 Depth=1
	v_bfe_u32 v22, v20, 23, 8
	v_or_b32_e32 v20, 0x800000, v13
	s_delay_alu instid0(VALU_DEP_2) | instskip(SKIP_1) | instid1(VALU_DEP_2)
	v_sub_nc_u32_e32 v18, 0x79, v22
	v_cmp_gt_u32_e32 vcc_lo, 0x7a, v22
	v_cndmask_b32_e32 v18, 0, v18, vcc_lo
	v_cmp_eq_u32_e32 vcc_lo, 0, v22
	v_cndmask_b32_e32 v13, v20, v13, vcc_lo
	s_delay_alu instid0(VALU_DEP_3) | instskip(NEXT) | instid1(VALU_DEP_1)
	v_cndmask_b32_e64 v23, v18, 0x78, vcc_lo
	v_add_nc_u32_e32 v18, 20, v23
	v_add_nc_u32_e32 v20, 19, v23
	s_delay_alu instid0(VALU_DEP_2) | instskip(NEXT) | instid1(VALU_DEP_2)
	v_lshlrev_b64 v[18:19], v18, -1
	v_lshlrev_b64 v[20:21], v20, 1
	s_delay_alu instid0(VALU_DEP_2) | instskip(NEXT) | instid1(VALU_DEP_3)
	v_not_b32_e32 v19, v19
	v_not_b32_e32 v18, v18
	s_delay_alu instid0(VALU_DEP_2) | instskip(NEXT) | instid1(VALU_DEP_2)
	v_and_b32_e32 v25, 0, v19
	v_and_b32_e32 v24, v13, v18
	v_lshrrev_b64 v[18:19], v23, v[13:14]
	s_delay_alu instid0(VALU_DEP_2) | instskip(NEXT) | instid1(VALU_DEP_2)
	v_cmp_eq_u64_e64 s2, v[24:25], v[20:21]
	v_dual_mov_b32 v21, v19 :: v_dual_mov_b32 v20, v18
	s_delay_alu instid0(VALU_DEP_2)
	s_and_saveexec_b32 s8, s2
; %bb.227:                              ;   in Loop: Header=BB5_205 Depth=1
	v_bfe_u32 v13, v18, 20, 1
	s_delay_alu instid0(VALU_DEP_1) | instskip(NEXT) | instid1(VALU_DEP_1)
	v_add_co_u32 v13, s2, v18, v13
	v_add_co_u32 v20, s2, v13, -1
; %bb.228:                              ;   in Loop: Header=BB5_205 Depth=1
	s_or_b32 exec_lo, exec_lo, s8
	v_add_nc_u32_e32 v13, 0xffffff81, v22
	v_lshrrev_b32_e32 v21, 23, v18
	s_mov_b32 s2, exec_lo
	s_delay_alu instid0(VALU_DEP_2) | instskip(NEXT) | instid1(VALU_DEP_1)
	v_cndmask_b32_e64 v13, v13, 0xffffff82, vcc_lo
	v_add3_u32 v21, v23, v13, v21
	v_and_b32_e32 v13, 0xfffff, v20
	s_delay_alu instid0(VALU_DEP_2) | instskip(NEXT) | instid1(VALU_DEP_2)
	v_add_nc_u32_e32 v20, 6, v21
	v_add_co_u32 v18, vcc_lo, v13, v18
	v_add_co_ci_u32_e32 v19, vcc_lo, 0, v19, vcc_lo
                                        ; implicit-def: $vgpr13
	s_delay_alu instid0(VALU_DEP_3)
	v_cmpx_ne_u32_e32 0, v20
	s_xor_b32 s2, exec_lo, s2
; %bb.229:                              ;   in Loop: Header=BB5_205 Depth=1
	s_delay_alu instid0(VALU_DEP_2) | instskip(SKIP_1) | instid1(VALU_DEP_1)
	v_cmp_lt_u64_e32 vcc_lo, 0xffffff, v[18:19]
	v_add_nc_u32_e32 v13, 7, v21
	v_cndmask_b32_e32 v13, v20, v13, vcc_lo
	v_cndmask_b32_e64 v20, 0, 1, vcc_lo
	s_delay_alu instid0(VALU_DEP_1)
	v_lshrrev_b64 v[18:19], v20, v[18:19]
; %bb.230:                              ;   in Loop: Header=BB5_205 Depth=1
	s_and_not1_saveexec_b32 s2, s2
; %bb.231:                              ;   in Loop: Header=BB5_205 Depth=1
	s_delay_alu instid0(VALU_DEP_1)
	v_bfe_u32 v13, v18, 23, 1
; %bb.232:                              ;   in Loop: Header=BB5_205 Depth=1
	s_or_b32 exec_lo, exec_lo, s2
	s_delay_alu instid0(VALU_DEP_2) | instskip(NEXT) | instid1(VALU_DEP_2)
	v_lshrrev_b64 v[18:19], 20, v[18:19]
	v_cmp_gt_i32_e32 vcc_lo, 16, v13
	v_cmp_ne_u32_e64 s2, 0, v13
	s_delay_alu instid0(VALU_DEP_3) | instskip(NEXT) | instid1(VALU_DEP_1)
	v_dual_cndmask_b32 v21, 0, v19 :: v_dual_cndmask_b32 v20, 7, v18
                                        ; implicit-def: $vgpr18_vgpr19
	v_cmp_ne_u64_e32 vcc_lo, 0, v[20:21]
	s_delay_alu instid0(VALU_DEP_3) | instskip(NEXT) | instid1(SALU_CYCLE_1)
	s_or_b32 s2, s2, vcc_lo
	s_and_saveexec_b32 s8, s2
	s_delay_alu instid0(SALU_CYCLE_1)
	s_xor_b32 s2, exec_lo, s8
; %bb.233:                              ;   in Loop: Header=BB5_205 Depth=1
	v_min_i32_e32 v13, 15, v13
	s_delay_alu instid0(VALU_DEP_1) | instskip(NEXT) | instid1(VALU_DEP_1)
	v_lshl_or_b32 v0, v13, 3, v0
	v_and_or_b32 v18, v20, 7, v0
                                        ; implicit-def: $vgpr0
; %bb.234:                              ;   in Loop: Header=BB5_205 Depth=1
	s_and_not1_saveexec_b32 s2, s2
; %bb.235:                              ;   in Loop: Header=BB5_205 Depth=1
	v_dual_mov_b32 v19, v1 :: v_dual_mov_b32 v18, v0
; %bb.236:                              ;   in Loop: Header=BB5_205 Depth=1
	s_or_b32 exec_lo, exec_lo, s2
.LBB5_237:                              ;   in Loop: Header=BB5_205 Depth=1
	s_delay_alu instid0(SALU_CYCLE_1)
	s_or_b32 exec_lo, exec_lo, s7
.LBB5_238:                              ;   in Loop: Header=BB5_205 Depth=1
	s_and_not1_saveexec_b32 s2, s6
	s_delay_alu instid0(SALU_CYCLE_1)
	s_or_b32 exec_lo, exec_lo, s2
                                        ; implicit-def: $vgpr19
.LBB5_239:                              ;   in Loop: Header=BB5_205 Depth=1
	s_and_not1_saveexec_b32 s2, s5
; %bb.240:                              ;   in Loop: Header=BB5_205 Depth=1
	v_cmp_eq_u64_e32 vcc_lo, 0, v[13:14]
	v_or_b32_e32 v0, 0x7f, v19
	s_delay_alu instid0(VALU_DEP_1)
	v_cndmask_b32_e32 v18, v0, v18, vcc_lo
; %bb.241:                              ;   in Loop: Header=BB5_205 Depth=1
	s_or_b32 exec_lo, exec_lo, s2
	v_cvt_f32_f16_e32 v0, v1
	v_mov_b32_e32 v23, v14
	s_mov_b32 s2, exec_lo
	s_delay_alu instid0(VALU_DEP_2) | instskip(NEXT) | instid1(VALU_DEP_1)
	v_div_scale_f32 v13, null, s15, s15, v0
	v_rcp_f32_e32 v19, v13
	s_waitcnt_depctr 0xfff
	v_fma_f32 v20, -v13, v19, 1.0
	s_delay_alu instid0(VALU_DEP_1) | instskip(SKIP_1) | instid1(VALU_DEP_1)
	v_fmac_f32_e32 v19, v20, v19
	v_div_scale_f32 v20, vcc_lo, v0, s15, v0
	v_mul_f32_e32 v21, v20, v19
	s_delay_alu instid0(VALU_DEP_1) | instskip(NEXT) | instid1(VALU_DEP_1)
	v_fma_f32 v22, -v13, v21, v20
	v_fmac_f32_e32 v21, v22, v19
	s_delay_alu instid0(VALU_DEP_1) | instskip(NEXT) | instid1(VALU_DEP_1)
	v_fma_f32 v13, -v13, v21, v20
	v_div_fmas_f32 v13, v13, v19, v21
	s_delay_alu instid0(VALU_DEP_1) | instskip(NEXT) | instid1(VALU_DEP_1)
	v_div_fixup_f32 v0, v13, s15, v0
	v_cvt_f16_f32_e32 v0, v0
	s_delay_alu instid0(VALU_DEP_1) | instskip(NEXT) | instid1(VALU_DEP_1)
	v_cvt_f32_f16_e32 v21, v0
	v_lshrrev_b32_e32 v20, 24, v21
	v_and_b32_e32 v22, 0x7f800000, v21
	v_and_b32_e32 v13, 0x7fffff, v21
	s_delay_alu instid0(VALU_DEP_3) | instskip(NEXT) | instid1(VALU_DEP_1)
	v_and_b32_e32 v0, 0x80, v20
	v_or_b32_e32 v19, 0x7e, v0
	s_delay_alu instid0(VALU_DEP_4)
	v_cmpx_ne_u64_e32 0x7f800000, v[22:23]
	s_xor_b32 s5, exec_lo, s2
	s_cbranch_execz .LBB5_257
; %bb.242:                              ;   in Loop: Header=BB5_205 Depth=1
	v_dual_mov_b32 v23, v14 :: v_dual_and_b32 v22, 0x7fffffff, v21
	s_mov_b32 s2, exec_lo
	s_delay_alu instid0(VALU_DEP_1)
	v_cmpx_gt_u64_e32 0x43e00001, v[22:23]
	s_xor_b32 s6, exec_lo, s2
	s_cbranch_execz .LBB5_256
; %bb.243:                              ;   in Loop: Header=BB5_205 Depth=1
	s_mov_b32 s7, exec_lo
	v_mov_b32_e32 v19, 0
	v_mov_b32_e32 v20, 0
	v_cmpx_ne_u32_e32 0, v21
	s_cbranch_execz .LBB5_255
; %bb.244:                              ;   in Loop: Header=BB5_205 Depth=1
	v_bfe_u32 v23, v21, 23, 8
	v_or_b32_e32 v21, 0x800000, v13
	s_delay_alu instid0(VALU_DEP_2) | instskip(SKIP_1) | instid1(VALU_DEP_2)
	v_sub_nc_u32_e32 v19, 0x79, v23
	v_cmp_gt_u32_e32 vcc_lo, 0x7a, v23
	v_cndmask_b32_e32 v19, 0, v19, vcc_lo
	v_cmp_eq_u32_e32 vcc_lo, 0, v23
	s_delay_alu instid0(VALU_DEP_2) | instskip(SKIP_1) | instid1(VALU_DEP_2)
	v_cndmask_b32_e64 v24, v19, 0x78, vcc_lo
	v_cndmask_b32_e32 v13, v21, v13, vcc_lo
	v_add_nc_u32_e32 v19, 20, v24
	v_add_nc_u32_e32 v21, 19, v24
	s_delay_alu instid0(VALU_DEP_2) | instskip(NEXT) | instid1(VALU_DEP_2)
	v_lshlrev_b64 v[19:20], v19, -1
	v_lshlrev_b64 v[21:22], v21, 1
	s_delay_alu instid0(VALU_DEP_2) | instskip(NEXT) | instid1(VALU_DEP_3)
	v_not_b32_e32 v20, v20
	v_not_b32_e32 v19, v19
	s_delay_alu instid0(VALU_DEP_2) | instskip(NEXT) | instid1(VALU_DEP_2)
	v_and_b32_e32 v26, 0, v20
	v_and_b32_e32 v25, v13, v19
	v_lshrrev_b64 v[19:20], v24, v[13:14]
	s_delay_alu instid0(VALU_DEP_2) | instskip(NEXT) | instid1(VALU_DEP_2)
	v_cmp_eq_u64_e64 s2, v[25:26], v[21:22]
	v_dual_mov_b32 v22, v20 :: v_dual_mov_b32 v21, v19
	s_delay_alu instid0(VALU_DEP_2)
	s_and_saveexec_b32 s8, s2
; %bb.245:                              ;   in Loop: Header=BB5_205 Depth=1
	v_bfe_u32 v13, v19, 20, 1
	s_delay_alu instid0(VALU_DEP_1) | instskip(NEXT) | instid1(VALU_DEP_1)
	v_add_co_u32 v13, s2, v19, v13
	v_add_co_u32 v21, s2, v13, -1
; %bb.246:                              ;   in Loop: Header=BB5_205 Depth=1
	s_or_b32 exec_lo, exec_lo, s8
	v_add_nc_u32_e32 v13, 0xffffff81, v23
	v_lshrrev_b32_e32 v22, 23, v19
	s_mov_b32 s2, exec_lo
	s_delay_alu instid0(VALU_DEP_2) | instskip(NEXT) | instid1(VALU_DEP_1)
	v_cndmask_b32_e64 v13, v13, 0xffffff82, vcc_lo
	v_add3_u32 v22, v24, v13, v22
	v_and_b32_e32 v13, 0xfffff, v21
	s_delay_alu instid0(VALU_DEP_2) | instskip(NEXT) | instid1(VALU_DEP_2)
	v_add_nc_u32_e32 v21, 6, v22
	v_add_co_u32 v19, vcc_lo, v13, v19
	v_add_co_ci_u32_e32 v20, vcc_lo, 0, v20, vcc_lo
                                        ; implicit-def: $vgpr13
	s_delay_alu instid0(VALU_DEP_3)
	v_cmpx_ne_u32_e32 0, v21
	s_xor_b32 s2, exec_lo, s2
; %bb.247:                              ;   in Loop: Header=BB5_205 Depth=1
	s_delay_alu instid0(VALU_DEP_2) | instskip(SKIP_1) | instid1(VALU_DEP_1)
	v_cmp_lt_u64_e32 vcc_lo, 0xffffff, v[19:20]
	v_add_nc_u32_e32 v13, 7, v22
	v_cndmask_b32_e32 v13, v21, v13, vcc_lo
	v_cndmask_b32_e64 v21, 0, 1, vcc_lo
	s_delay_alu instid0(VALU_DEP_1)
	v_lshrrev_b64 v[19:20], v21, v[19:20]
; %bb.248:                              ;   in Loop: Header=BB5_205 Depth=1
	s_and_not1_saveexec_b32 s2, s2
; %bb.249:                              ;   in Loop: Header=BB5_205 Depth=1
	s_delay_alu instid0(VALU_DEP_1)
	v_bfe_u32 v13, v19, 23, 1
; %bb.250:                              ;   in Loop: Header=BB5_205 Depth=1
	s_or_b32 exec_lo, exec_lo, s2
	s_delay_alu instid0(VALU_DEP_2) | instskip(NEXT) | instid1(VALU_DEP_2)
	v_lshrrev_b64 v[19:20], 20, v[19:20]
	v_cmp_gt_i32_e32 vcc_lo, 16, v13
	v_cmp_ne_u32_e64 s2, 0, v13
	s_delay_alu instid0(VALU_DEP_3) | instskip(NEXT) | instid1(VALU_DEP_1)
	v_dual_cndmask_b32 v22, 0, v20 :: v_dual_cndmask_b32 v21, 7, v19
                                        ; implicit-def: $vgpr19_vgpr20
	v_cmp_ne_u64_e32 vcc_lo, 0, v[21:22]
	s_delay_alu instid0(VALU_DEP_3) | instskip(NEXT) | instid1(SALU_CYCLE_1)
	s_or_b32 s2, s2, vcc_lo
	s_and_saveexec_b32 s8, s2
	s_delay_alu instid0(SALU_CYCLE_1)
	s_xor_b32 s2, exec_lo, s8
; %bb.251:                              ;   in Loop: Header=BB5_205 Depth=1
	v_min_i32_e32 v13, 15, v13
	s_delay_alu instid0(VALU_DEP_1) | instskip(NEXT) | instid1(VALU_DEP_1)
	v_lshl_or_b32 v0, v13, 3, v0
	v_and_or_b32 v19, v21, 7, v0
                                        ; implicit-def: $vgpr0
; %bb.252:                              ;   in Loop: Header=BB5_205 Depth=1
	s_and_not1_saveexec_b32 s2, s2
; %bb.253:                              ;   in Loop: Header=BB5_205 Depth=1
	v_dual_mov_b32 v20, v1 :: v_dual_mov_b32 v19, v0
; %bb.254:                              ;   in Loop: Header=BB5_205 Depth=1
	s_or_b32 exec_lo, exec_lo, s2
.LBB5_255:                              ;   in Loop: Header=BB5_205 Depth=1
	s_delay_alu instid0(SALU_CYCLE_1)
	s_or_b32 exec_lo, exec_lo, s7
.LBB5_256:                              ;   in Loop: Header=BB5_205 Depth=1
	s_and_not1_saveexec_b32 s2, s6
	s_delay_alu instid0(SALU_CYCLE_1)
	s_or_b32 exec_lo, exec_lo, s2
                                        ; implicit-def: $vgpr20
.LBB5_257:                              ;   in Loop: Header=BB5_205 Depth=1
	s_and_not1_saveexec_b32 s2, s5
; %bb.258:                              ;   in Loop: Header=BB5_205 Depth=1
	v_cmp_eq_u64_e32 vcc_lo, 0, v[13:14]
	v_or_b32_e32 v0, 0x7f, v20
	s_delay_alu instid0(VALU_DEP_1)
	v_cndmask_b32_e32 v19, v0, v19, vcc_lo
; %bb.259:                              ;   in Loop: Header=BB5_205 Depth=1
	s_or_b32 exec_lo, exec_lo, s2
	v_lshrrev_b32_e32 v0, 16, v1
	s_mov_b32 s2, exec_lo
	v_mov_b32_e32 v23, v14
	s_delay_alu instid0(VALU_DEP_2) | instskip(NEXT) | instid1(VALU_DEP_1)
	v_cvt_f32_f16_e32 v0, v0
	v_div_scale_f32 v1, null, s15, s15, v0
	s_delay_alu instid0(VALU_DEP_1) | instskip(SKIP_2) | instid1(VALU_DEP_1)
	v_rcp_f32_e32 v13, v1
	s_waitcnt_depctr 0xfff
	v_fma_f32 v20, -v1, v13, 1.0
	v_fmac_f32_e32 v13, v20, v13
	v_div_scale_f32 v20, vcc_lo, v0, s15, v0
	s_delay_alu instid0(VALU_DEP_1) | instskip(NEXT) | instid1(VALU_DEP_1)
	v_mul_f32_e32 v21, v20, v13
	v_fma_f32 v22, -v1, v21, v20
	s_delay_alu instid0(VALU_DEP_1) | instskip(NEXT) | instid1(VALU_DEP_1)
	v_fmac_f32_e32 v21, v22, v13
	v_fma_f32 v1, -v1, v21, v20
	s_delay_alu instid0(VALU_DEP_1) | instskip(NEXT) | instid1(VALU_DEP_1)
	v_div_fmas_f32 v1, v1, v13, v21
	v_div_fixup_f32 v0, v1, s15, v0
	s_delay_alu instid0(VALU_DEP_1) | instskip(NEXT) | instid1(VALU_DEP_1)
	v_cvt_f16_f32_e32 v0, v0
	v_cvt_f32_f16_e32 v21, v0
	s_delay_alu instid0(VALU_DEP_1) | instskip(SKIP_2) | instid1(VALU_DEP_3)
	v_lshrrev_b32_e32 v1, 24, v21
	v_and_b32_e32 v22, 0x7f800000, v21
	v_and_b32_e32 v13, 0x7fffff, v21
	;; [unrolled: 1-line block ×3, first 2 shown]
	s_delay_alu instid0(VALU_DEP_1) | instskip(NEXT) | instid1(VALU_DEP_4)
	v_or_b32_e32 v0, 0x7e, v20
	v_cmpx_ne_u64_e32 0x7f800000, v[22:23]
	s_xor_b32 s5, exec_lo, s2
	s_cbranch_execz .LBB5_275
; %bb.260:                              ;   in Loop: Header=BB5_205 Depth=1
	v_dual_mov_b32 v23, v14 :: v_dual_and_b32 v22, 0x7fffffff, v21
	s_mov_b32 s2, exec_lo
	s_delay_alu instid0(VALU_DEP_1)
	v_cmpx_gt_u64_e32 0x43e00001, v[22:23]
	s_xor_b32 s6, exec_lo, s2
	s_cbranch_execz .LBB5_274
; %bb.261:                              ;   in Loop: Header=BB5_205 Depth=1
	s_mov_b32 s7, exec_lo
	v_mov_b32_e32 v0, 0
	v_mov_b32_e32 v1, 0
	v_cmpx_ne_u32_e32 0, v21
	s_cbranch_execz .LBB5_273
; %bb.262:                              ;   in Loop: Header=BB5_205 Depth=1
	v_bfe_u32 v23, v21, 23, 8
	v_or_b32_e32 v21, 0x800000, v13
	s_delay_alu instid0(VALU_DEP_2) | instskip(SKIP_1) | instid1(VALU_DEP_2)
	v_sub_nc_u32_e32 v0, 0x79, v23
	v_cmp_gt_u32_e32 vcc_lo, 0x7a, v23
	v_cndmask_b32_e32 v0, 0, v0, vcc_lo
	v_cmp_eq_u32_e32 vcc_lo, 0, v23
	v_cndmask_b32_e32 v13, v21, v13, vcc_lo
	s_delay_alu instid0(VALU_DEP_3) | instskip(NEXT) | instid1(VALU_DEP_1)
	v_cndmask_b32_e64 v24, v0, 0x78, vcc_lo
	v_add_nc_u32_e32 v0, 20, v24
	v_add_nc_u32_e32 v21, 19, v24
	s_delay_alu instid0(VALU_DEP_2) | instskip(NEXT) | instid1(VALU_DEP_2)
	v_lshlrev_b64 v[0:1], v0, -1
	v_lshlrev_b64 v[21:22], v21, 1
	s_delay_alu instid0(VALU_DEP_2) | instskip(NEXT) | instid1(VALU_DEP_3)
	v_not_b32_e32 v1, v1
	v_not_b32_e32 v0, v0
	s_delay_alu instid0(VALU_DEP_2) | instskip(NEXT) | instid1(VALU_DEP_2)
	v_and_b32_e32 v26, 0, v1
	v_and_b32_e32 v25, v13, v0
	v_lshrrev_b64 v[0:1], v24, v[13:14]
	s_delay_alu instid0(VALU_DEP_2) | instskip(NEXT) | instid1(VALU_DEP_2)
	v_cmp_eq_u64_e64 s2, v[25:26], v[21:22]
	v_dual_mov_b32 v22, v1 :: v_dual_mov_b32 v21, v0
	s_delay_alu instid0(VALU_DEP_2)
	s_and_saveexec_b32 s8, s2
; %bb.263:                              ;   in Loop: Header=BB5_205 Depth=1
	v_bfe_u32 v13, v0, 20, 1
	s_delay_alu instid0(VALU_DEP_1) | instskip(NEXT) | instid1(VALU_DEP_1)
	v_add_co_u32 v13, s2, v0, v13
	v_add_co_u32 v21, s2, v13, -1
; %bb.264:                              ;   in Loop: Header=BB5_205 Depth=1
	s_or_b32 exec_lo, exec_lo, s8
	v_add_nc_u32_e32 v13, 0xffffff81, v23
	v_lshrrev_b32_e32 v22, 23, v0
	s_mov_b32 s2, exec_lo
	s_delay_alu instid0(VALU_DEP_2) | instskip(NEXT) | instid1(VALU_DEP_1)
	v_cndmask_b32_e64 v13, v13, 0xffffff82, vcc_lo
	v_add3_u32 v22, v24, v13, v22
	v_and_b32_e32 v13, 0xfffff, v21
	s_delay_alu instid0(VALU_DEP_2) | instskip(NEXT) | instid1(VALU_DEP_2)
	v_add_nc_u32_e32 v21, 6, v22
	v_add_co_u32 v0, vcc_lo, v13, v0
	v_add_co_ci_u32_e32 v1, vcc_lo, 0, v1, vcc_lo
                                        ; implicit-def: $vgpr13
	s_delay_alu instid0(VALU_DEP_3)
	v_cmpx_ne_u32_e32 0, v21
	s_xor_b32 s2, exec_lo, s2
; %bb.265:                              ;   in Loop: Header=BB5_205 Depth=1
	s_delay_alu instid0(VALU_DEP_2) | instskip(SKIP_1) | instid1(VALU_DEP_1)
	v_cmp_lt_u64_e32 vcc_lo, 0xffffff, v[0:1]
	v_add_nc_u32_e32 v13, 7, v22
	v_cndmask_b32_e32 v13, v21, v13, vcc_lo
	v_cndmask_b32_e64 v21, 0, 1, vcc_lo
	s_delay_alu instid0(VALU_DEP_1)
	v_lshrrev_b64 v[0:1], v21, v[0:1]
; %bb.266:                              ;   in Loop: Header=BB5_205 Depth=1
	s_and_not1_saveexec_b32 s2, s2
; %bb.267:                              ;   in Loop: Header=BB5_205 Depth=1
	s_delay_alu instid0(VALU_DEP_1)
	v_bfe_u32 v13, v0, 23, 1
; %bb.268:                              ;   in Loop: Header=BB5_205 Depth=1
	s_or_b32 exec_lo, exec_lo, s2
	s_delay_alu instid0(VALU_DEP_2) | instskip(NEXT) | instid1(VALU_DEP_2)
	v_lshrrev_b64 v[0:1], 20, v[0:1]
	v_cmp_gt_i32_e32 vcc_lo, 16, v13
	v_cmp_ne_u32_e64 s2, 0, v13
	s_delay_alu instid0(VALU_DEP_3) | instskip(NEXT) | instid1(VALU_DEP_1)
	v_dual_cndmask_b32 v22, 0, v1 :: v_dual_cndmask_b32 v21, 7, v0
                                        ; implicit-def: $vgpr0_vgpr1
	v_cmp_ne_u64_e32 vcc_lo, 0, v[21:22]
	s_delay_alu instid0(VALU_DEP_3) | instskip(NEXT) | instid1(SALU_CYCLE_1)
	s_or_b32 s2, s2, vcc_lo
	s_and_saveexec_b32 s8, s2
	s_delay_alu instid0(SALU_CYCLE_1)
	s_xor_b32 s2, exec_lo, s8
; %bb.269:                              ;   in Loop: Header=BB5_205 Depth=1
	v_min_i32_e32 v0, 15, v13
	s_delay_alu instid0(VALU_DEP_1) | instskip(NEXT) | instid1(VALU_DEP_1)
	v_lshl_or_b32 v0, v0, 3, v20
                                        ; implicit-def: $vgpr20
	v_and_or_b32 v0, v21, 7, v0
; %bb.270:                              ;   in Loop: Header=BB5_205 Depth=1
	s_and_not1_saveexec_b32 s2, s2
; %bb.271:                              ;   in Loop: Header=BB5_205 Depth=1
	v_dual_mov_b32 v0, v20 :: v_dual_mov_b32 v1, v21
; %bb.272:                              ;   in Loop: Header=BB5_205 Depth=1
	s_or_b32 exec_lo, exec_lo, s2
.LBB5_273:                              ;   in Loop: Header=BB5_205 Depth=1
	s_delay_alu instid0(SALU_CYCLE_1)
	s_or_b32 exec_lo, exec_lo, s7
.LBB5_274:                              ;   in Loop: Header=BB5_205 Depth=1
	s_and_not1_saveexec_b32 s2, s6
	s_delay_alu instid0(SALU_CYCLE_1)
	s_or_b32 exec_lo, exec_lo, s2
                                        ; implicit-def: $vgpr1
.LBB5_275:                              ;   in Loop: Header=BB5_205 Depth=1
	s_and_not1_saveexec_b32 s2, s5
; %bb.276:                              ;   in Loop: Header=BB5_205 Depth=1
	v_cmp_eq_u64_e32 vcc_lo, 0, v[13:14]
	v_or_b32_e32 v1, 0x7f, v1
	s_delay_alu instid0(VALU_DEP_1)
	v_cndmask_b32_e32 v0, v1, v0, vcc_lo
; %bb.277:                              ;   in Loop: Header=BB5_205 Depth=1
	s_or_b32 exec_lo, exec_lo, s2
	v_cvt_f32_f16_e32 v1, v2
	s_mov_b32 s2, exec_lo
	s_delay_alu instid0(VALU_DEP_1) | instskip(NEXT) | instid1(VALU_DEP_1)
	v_div_scale_f32 v13, null, s15, s15, v1
	v_rcp_f32_e32 v20, v13
	s_waitcnt_depctr 0xfff
	v_fma_f32 v21, -v13, v20, 1.0
	s_delay_alu instid0(VALU_DEP_1) | instskip(SKIP_1) | instid1(VALU_DEP_1)
	v_fmac_f32_e32 v20, v21, v20
	v_div_scale_f32 v21, vcc_lo, v1, s15, v1
	v_mul_f32_e32 v22, v21, v20
	s_delay_alu instid0(VALU_DEP_1) | instskip(NEXT) | instid1(VALU_DEP_1)
	v_fma_f32 v23, -v13, v22, v21
	v_fmac_f32_e32 v22, v23, v20
	s_delay_alu instid0(VALU_DEP_1) | instskip(NEXT) | instid1(VALU_DEP_1)
	v_fma_f32 v13, -v13, v22, v21
	v_div_fmas_f32 v13, v13, v20, v22
	s_delay_alu instid0(VALU_DEP_1) | instskip(NEXT) | instid1(VALU_DEP_1)
	v_div_fixup_f32 v1, v13, s15, v1
	v_cvt_f16_f32_e32 v1, v1
	s_delay_alu instid0(VALU_DEP_1) | instskip(NEXT) | instid1(VALU_DEP_1)
	v_cvt_f32_f16_e32 v22, v1
	v_dual_mov_b32 v24, v14 :: v_dual_and_b32 v13, 0x7fffff, v22
	v_lshrrev_b32_e32 v21, 24, v22
	v_and_b32_e32 v23, 0x7f800000, v22
	s_delay_alu instid0(VALU_DEP_2) | instskip(NEXT) | instid1(VALU_DEP_1)
	v_and_b32_e32 v1, 0x80, v21
	v_or_b32_e32 v20, 0x7e, v1
	s_delay_alu instid0(VALU_DEP_3)
	v_cmpx_ne_u64_e32 0x7f800000, v[23:24]
	s_xor_b32 s5, exec_lo, s2
	s_cbranch_execz .LBB5_293
; %bb.278:                              ;   in Loop: Header=BB5_205 Depth=1
	v_dual_mov_b32 v24, v14 :: v_dual_and_b32 v23, 0x7fffffff, v22
	s_mov_b32 s2, exec_lo
	s_delay_alu instid0(VALU_DEP_1)
	v_cmpx_gt_u64_e32 0x43e00001, v[23:24]
	s_xor_b32 s6, exec_lo, s2
	s_cbranch_execz .LBB5_292
; %bb.279:                              ;   in Loop: Header=BB5_205 Depth=1
	s_mov_b32 s7, exec_lo
	v_mov_b32_e32 v20, 0
	v_mov_b32_e32 v21, 0
	v_cmpx_ne_u32_e32 0, v22
	s_cbranch_execz .LBB5_291
; %bb.280:                              ;   in Loop: Header=BB5_205 Depth=1
	v_bfe_u32 v24, v22, 23, 8
	v_or_b32_e32 v22, 0x800000, v13
	s_delay_alu instid0(VALU_DEP_2) | instskip(SKIP_1) | instid1(VALU_DEP_2)
	v_sub_nc_u32_e32 v20, 0x79, v24
	v_cmp_gt_u32_e32 vcc_lo, 0x7a, v24
	v_cndmask_b32_e32 v20, 0, v20, vcc_lo
	v_cmp_eq_u32_e32 vcc_lo, 0, v24
	v_cndmask_b32_e32 v13, v22, v13, vcc_lo
	s_delay_alu instid0(VALU_DEP_3) | instskip(NEXT) | instid1(VALU_DEP_1)
	v_cndmask_b32_e64 v25, v20, 0x78, vcc_lo
	v_add_nc_u32_e32 v20, 20, v25
	v_add_nc_u32_e32 v22, 19, v25
	s_delay_alu instid0(VALU_DEP_2) | instskip(NEXT) | instid1(VALU_DEP_2)
	v_lshlrev_b64 v[20:21], v20, -1
	v_lshlrev_b64 v[22:23], v22, 1
	s_delay_alu instid0(VALU_DEP_2) | instskip(NEXT) | instid1(VALU_DEP_3)
	v_not_b32_e32 v21, v21
	v_not_b32_e32 v20, v20
	s_delay_alu instid0(VALU_DEP_2) | instskip(NEXT) | instid1(VALU_DEP_2)
	v_and_b32_e32 v27, 0, v21
	v_and_b32_e32 v26, v13, v20
	v_lshrrev_b64 v[20:21], v25, v[13:14]
	s_delay_alu instid0(VALU_DEP_2) | instskip(NEXT) | instid1(VALU_DEP_2)
	v_cmp_eq_u64_e64 s2, v[26:27], v[22:23]
	v_dual_mov_b32 v23, v21 :: v_dual_mov_b32 v22, v20
	s_delay_alu instid0(VALU_DEP_2)
	s_and_saveexec_b32 s8, s2
; %bb.281:                              ;   in Loop: Header=BB5_205 Depth=1
	v_bfe_u32 v13, v20, 20, 1
	s_delay_alu instid0(VALU_DEP_1) | instskip(NEXT) | instid1(VALU_DEP_1)
	v_add_co_u32 v13, s2, v20, v13
	v_add_co_u32 v22, s2, v13, -1
; %bb.282:                              ;   in Loop: Header=BB5_205 Depth=1
	s_or_b32 exec_lo, exec_lo, s8
	v_add_nc_u32_e32 v13, 0xffffff81, v24
	v_lshrrev_b32_e32 v23, 23, v20
	s_mov_b32 s2, exec_lo
	s_delay_alu instid0(VALU_DEP_2) | instskip(NEXT) | instid1(VALU_DEP_1)
	v_cndmask_b32_e64 v13, v13, 0xffffff82, vcc_lo
	v_add3_u32 v23, v25, v13, v23
	v_and_b32_e32 v13, 0xfffff, v22
	s_delay_alu instid0(VALU_DEP_2) | instskip(NEXT) | instid1(VALU_DEP_2)
	v_add_nc_u32_e32 v22, 6, v23
	v_add_co_u32 v20, vcc_lo, v13, v20
	v_add_co_ci_u32_e32 v21, vcc_lo, 0, v21, vcc_lo
                                        ; implicit-def: $vgpr13
	s_delay_alu instid0(VALU_DEP_3)
	v_cmpx_ne_u32_e32 0, v22
	s_xor_b32 s2, exec_lo, s2
; %bb.283:                              ;   in Loop: Header=BB5_205 Depth=1
	s_delay_alu instid0(VALU_DEP_2) | instskip(SKIP_1) | instid1(VALU_DEP_1)
	v_cmp_lt_u64_e32 vcc_lo, 0xffffff, v[20:21]
	v_add_nc_u32_e32 v13, 7, v23
	v_cndmask_b32_e32 v13, v22, v13, vcc_lo
	v_cndmask_b32_e64 v22, 0, 1, vcc_lo
	s_delay_alu instid0(VALU_DEP_1)
	v_lshrrev_b64 v[20:21], v22, v[20:21]
; %bb.284:                              ;   in Loop: Header=BB5_205 Depth=1
	s_and_not1_saveexec_b32 s2, s2
; %bb.285:                              ;   in Loop: Header=BB5_205 Depth=1
	s_delay_alu instid0(VALU_DEP_1)
	v_bfe_u32 v13, v20, 23, 1
; %bb.286:                              ;   in Loop: Header=BB5_205 Depth=1
	s_or_b32 exec_lo, exec_lo, s2
	s_delay_alu instid0(VALU_DEP_2) | instskip(NEXT) | instid1(VALU_DEP_2)
	v_lshrrev_b64 v[20:21], 20, v[20:21]
	v_cmp_gt_i32_e32 vcc_lo, 16, v13
	v_cmp_ne_u32_e64 s2, 0, v13
	s_delay_alu instid0(VALU_DEP_3) | instskip(NEXT) | instid1(VALU_DEP_1)
	v_dual_cndmask_b32 v23, 0, v21 :: v_dual_cndmask_b32 v22, 7, v20
                                        ; implicit-def: $vgpr20_vgpr21
	v_cmp_ne_u64_e32 vcc_lo, 0, v[22:23]
	s_delay_alu instid0(VALU_DEP_3) | instskip(NEXT) | instid1(SALU_CYCLE_1)
	s_or_b32 s2, s2, vcc_lo
	s_and_saveexec_b32 s8, s2
	s_delay_alu instid0(SALU_CYCLE_1)
	s_xor_b32 s2, exec_lo, s8
; %bb.287:                              ;   in Loop: Header=BB5_205 Depth=1
	v_min_i32_e32 v13, 15, v13
	s_delay_alu instid0(VALU_DEP_1) | instskip(NEXT) | instid1(VALU_DEP_1)
	v_lshl_or_b32 v1, v13, 3, v1
	v_and_or_b32 v20, v22, 7, v1
                                        ; implicit-def: $vgpr1
; %bb.288:                              ;   in Loop: Header=BB5_205 Depth=1
	s_and_not1_saveexec_b32 s2, s2
; %bb.289:                              ;   in Loop: Header=BB5_205 Depth=1
	v_dual_mov_b32 v21, v2 :: v_dual_mov_b32 v20, v1
; %bb.290:                              ;   in Loop: Header=BB5_205 Depth=1
	s_or_b32 exec_lo, exec_lo, s2
.LBB5_291:                              ;   in Loop: Header=BB5_205 Depth=1
	s_delay_alu instid0(SALU_CYCLE_1)
	s_or_b32 exec_lo, exec_lo, s7
.LBB5_292:                              ;   in Loop: Header=BB5_205 Depth=1
	s_and_not1_saveexec_b32 s2, s6
	s_delay_alu instid0(SALU_CYCLE_1)
	s_or_b32 exec_lo, exec_lo, s2
                                        ; implicit-def: $vgpr21
.LBB5_293:                              ;   in Loop: Header=BB5_205 Depth=1
	s_and_not1_saveexec_b32 s2, s5
; %bb.294:                              ;   in Loop: Header=BB5_205 Depth=1
	v_cmp_eq_u64_e32 vcc_lo, 0, v[13:14]
	v_or_b32_e32 v1, 0x7f, v21
	s_delay_alu instid0(VALU_DEP_1)
	v_cndmask_b32_e32 v20, v1, v20, vcc_lo
; %bb.295:                              ;   in Loop: Header=BB5_205 Depth=1
	s_or_b32 exec_lo, exec_lo, s2
	v_lshrrev_b32_e32 v1, 16, v2
	s_mov_b32 s2, exec_lo
	v_mov_b32_e32 v24, v14
	s_delay_alu instid0(VALU_DEP_2) | instskip(NEXT) | instid1(VALU_DEP_1)
	v_cvt_f32_f16_e32 v1, v1
	v_div_scale_f32 v2, null, s15, s15, v1
	s_delay_alu instid0(VALU_DEP_1) | instskip(SKIP_2) | instid1(VALU_DEP_1)
	v_rcp_f32_e32 v13, v2
	s_waitcnt_depctr 0xfff
	v_fma_f32 v21, -v2, v13, 1.0
	v_fmac_f32_e32 v13, v21, v13
	v_div_scale_f32 v21, vcc_lo, v1, s15, v1
	s_delay_alu instid0(VALU_DEP_1) | instskip(NEXT) | instid1(VALU_DEP_1)
	v_mul_f32_e32 v22, v21, v13
	v_fma_f32 v23, -v2, v22, v21
	s_delay_alu instid0(VALU_DEP_1) | instskip(NEXT) | instid1(VALU_DEP_1)
	v_fmac_f32_e32 v22, v23, v13
	v_fma_f32 v2, -v2, v22, v21
	s_delay_alu instid0(VALU_DEP_1) | instskip(NEXT) | instid1(VALU_DEP_1)
	v_div_fmas_f32 v2, v2, v13, v22
	v_div_fixup_f32 v1, v2, s15, v1
	s_delay_alu instid0(VALU_DEP_1) | instskip(NEXT) | instid1(VALU_DEP_1)
	v_cvt_f16_f32_e32 v1, v1
	v_cvt_f32_f16_e32 v22, v1
	s_delay_alu instid0(VALU_DEP_1) | instskip(SKIP_2) | instid1(VALU_DEP_3)
	v_lshrrev_b32_e32 v2, 24, v22
	v_and_b32_e32 v23, 0x7f800000, v22
	v_and_b32_e32 v13, 0x7fffff, v22
	;; [unrolled: 1-line block ×3, first 2 shown]
	s_delay_alu instid0(VALU_DEP_1) | instskip(NEXT) | instid1(VALU_DEP_4)
	v_or_b32_e32 v1, 0x7e, v21
	v_cmpx_ne_u64_e32 0x7f800000, v[23:24]
	s_xor_b32 s5, exec_lo, s2
	s_cbranch_execz .LBB5_311
; %bb.296:                              ;   in Loop: Header=BB5_205 Depth=1
	v_dual_mov_b32 v24, v14 :: v_dual_and_b32 v23, 0x7fffffff, v22
	s_mov_b32 s2, exec_lo
	s_delay_alu instid0(VALU_DEP_1)
	v_cmpx_gt_u64_e32 0x43e00001, v[23:24]
	s_xor_b32 s6, exec_lo, s2
	s_cbranch_execz .LBB5_310
; %bb.297:                              ;   in Loop: Header=BB5_205 Depth=1
	s_mov_b32 s7, exec_lo
	v_mov_b32_e32 v1, 0
	v_mov_b32_e32 v2, 0
	v_cmpx_ne_u32_e32 0, v22
	s_cbranch_execz .LBB5_309
; %bb.298:                              ;   in Loop: Header=BB5_205 Depth=1
	v_bfe_u32 v24, v22, 23, 8
	v_or_b32_e32 v22, 0x800000, v13
	s_delay_alu instid0(VALU_DEP_2) | instskip(SKIP_1) | instid1(VALU_DEP_2)
	v_sub_nc_u32_e32 v1, 0x79, v24
	v_cmp_gt_u32_e32 vcc_lo, 0x7a, v24
	v_cndmask_b32_e32 v1, 0, v1, vcc_lo
	v_cmp_eq_u32_e32 vcc_lo, 0, v24
	s_delay_alu instid0(VALU_DEP_2) | instskip(SKIP_1) | instid1(VALU_DEP_2)
	v_cndmask_b32_e64 v25, v1, 0x78, vcc_lo
	v_cndmask_b32_e32 v13, v22, v13, vcc_lo
	v_add_nc_u32_e32 v1, 20, v25
	v_add_nc_u32_e32 v22, 19, v25
	s_delay_alu instid0(VALU_DEP_2) | instskip(NEXT) | instid1(VALU_DEP_2)
	v_lshlrev_b64 v[1:2], v1, -1
	v_lshlrev_b64 v[22:23], v22, 1
	s_delay_alu instid0(VALU_DEP_2) | instskip(NEXT) | instid1(VALU_DEP_3)
	v_not_b32_e32 v2, v2
	v_not_b32_e32 v1, v1
	s_delay_alu instid0(VALU_DEP_2) | instskip(NEXT) | instid1(VALU_DEP_2)
	v_and_b32_e32 v27, 0, v2
	v_and_b32_e32 v26, v13, v1
	v_lshrrev_b64 v[1:2], v25, v[13:14]
	s_delay_alu instid0(VALU_DEP_2) | instskip(NEXT) | instid1(VALU_DEP_2)
	v_cmp_eq_u64_e64 s2, v[26:27], v[22:23]
	v_dual_mov_b32 v23, v2 :: v_dual_mov_b32 v22, v1
	s_delay_alu instid0(VALU_DEP_2)
	s_and_saveexec_b32 s8, s2
; %bb.299:                              ;   in Loop: Header=BB5_205 Depth=1
	v_bfe_u32 v13, v1, 20, 1
	s_delay_alu instid0(VALU_DEP_1) | instskip(NEXT) | instid1(VALU_DEP_1)
	v_add_co_u32 v13, s2, v1, v13
	v_add_co_u32 v22, s2, v13, -1
; %bb.300:                              ;   in Loop: Header=BB5_205 Depth=1
	s_or_b32 exec_lo, exec_lo, s8
	v_add_nc_u32_e32 v13, 0xffffff81, v24
	v_lshrrev_b32_e32 v23, 23, v1
	s_mov_b32 s2, exec_lo
	s_delay_alu instid0(VALU_DEP_2) | instskip(NEXT) | instid1(VALU_DEP_1)
	v_cndmask_b32_e64 v13, v13, 0xffffff82, vcc_lo
	v_add3_u32 v23, v25, v13, v23
	v_and_b32_e32 v13, 0xfffff, v22
	s_delay_alu instid0(VALU_DEP_2) | instskip(NEXT) | instid1(VALU_DEP_2)
	v_add_nc_u32_e32 v22, 6, v23
	v_add_co_u32 v1, vcc_lo, v13, v1
	v_add_co_ci_u32_e32 v2, vcc_lo, 0, v2, vcc_lo
                                        ; implicit-def: $vgpr13
	s_delay_alu instid0(VALU_DEP_3)
	v_cmpx_ne_u32_e32 0, v22
	s_xor_b32 s2, exec_lo, s2
; %bb.301:                              ;   in Loop: Header=BB5_205 Depth=1
	s_delay_alu instid0(VALU_DEP_2) | instskip(SKIP_1) | instid1(VALU_DEP_1)
	v_cmp_lt_u64_e32 vcc_lo, 0xffffff, v[1:2]
	v_add_nc_u32_e32 v13, 7, v23
	v_cndmask_b32_e32 v13, v22, v13, vcc_lo
	v_cndmask_b32_e64 v22, 0, 1, vcc_lo
	s_delay_alu instid0(VALU_DEP_1)
	v_lshrrev_b64 v[1:2], v22, v[1:2]
; %bb.302:                              ;   in Loop: Header=BB5_205 Depth=1
	s_and_not1_saveexec_b32 s2, s2
; %bb.303:                              ;   in Loop: Header=BB5_205 Depth=1
	s_delay_alu instid0(VALU_DEP_1)
	v_bfe_u32 v13, v1, 23, 1
; %bb.304:                              ;   in Loop: Header=BB5_205 Depth=1
	s_or_b32 exec_lo, exec_lo, s2
	s_delay_alu instid0(VALU_DEP_2) | instskip(NEXT) | instid1(VALU_DEP_2)
	v_lshrrev_b64 v[1:2], 20, v[1:2]
	v_cmp_gt_i32_e32 vcc_lo, 16, v13
	v_cmp_ne_u32_e64 s2, 0, v13
	s_delay_alu instid0(VALU_DEP_3) | instskip(NEXT) | instid1(VALU_DEP_1)
	v_dual_cndmask_b32 v23, 0, v2 :: v_dual_cndmask_b32 v22, 7, v1
                                        ; implicit-def: $vgpr1_vgpr2
	v_cmp_ne_u64_e32 vcc_lo, 0, v[22:23]
	s_delay_alu instid0(VALU_DEP_3) | instskip(NEXT) | instid1(SALU_CYCLE_1)
	s_or_b32 s2, s2, vcc_lo
	s_and_saveexec_b32 s8, s2
	s_delay_alu instid0(SALU_CYCLE_1)
	s_xor_b32 s2, exec_lo, s8
; %bb.305:                              ;   in Loop: Header=BB5_205 Depth=1
	v_min_i32_e32 v1, 15, v13
	s_delay_alu instid0(VALU_DEP_1) | instskip(NEXT) | instid1(VALU_DEP_1)
	v_lshl_or_b32 v1, v1, 3, v21
                                        ; implicit-def: $vgpr21
	v_and_or_b32 v1, v22, 7, v1
; %bb.306:                              ;   in Loop: Header=BB5_205 Depth=1
	s_and_not1_saveexec_b32 s2, s2
; %bb.307:                              ;   in Loop: Header=BB5_205 Depth=1
	v_dual_mov_b32 v1, v21 :: v_dual_mov_b32 v2, v22
; %bb.308:                              ;   in Loop: Header=BB5_205 Depth=1
	s_or_b32 exec_lo, exec_lo, s2
.LBB5_309:                              ;   in Loop: Header=BB5_205 Depth=1
	s_delay_alu instid0(SALU_CYCLE_1)
	s_or_b32 exec_lo, exec_lo, s7
.LBB5_310:                              ;   in Loop: Header=BB5_205 Depth=1
	s_and_not1_saveexec_b32 s2, s6
	s_delay_alu instid0(SALU_CYCLE_1)
	s_or_b32 exec_lo, exec_lo, s2
                                        ; implicit-def: $vgpr2
.LBB5_311:                              ;   in Loop: Header=BB5_205 Depth=1
	s_and_not1_saveexec_b32 s2, s5
; %bb.312:                              ;   in Loop: Header=BB5_205 Depth=1
	v_cmp_eq_u64_e32 vcc_lo, 0, v[13:14]
	v_or_b32_e32 v2, 0x7f, v2
	s_delay_alu instid0(VALU_DEP_1)
	v_cndmask_b32_e32 v1, v2, v1, vcc_lo
; %bb.313:                              ;   in Loop: Header=BB5_205 Depth=1
	s_or_b32 exec_lo, exec_lo, s2
	v_cvt_f32_f16_e32 v2, v3
	v_mov_b32_e32 v25, v14
	s_mov_b32 s2, exec_lo
	s_delay_alu instid0(VALU_DEP_2) | instskip(NEXT) | instid1(VALU_DEP_1)
	v_div_scale_f32 v13, null, s15, s15, v2
	v_rcp_f32_e32 v21, v13
	s_waitcnt_depctr 0xfff
	v_fma_f32 v22, -v13, v21, 1.0
	s_delay_alu instid0(VALU_DEP_1) | instskip(SKIP_1) | instid1(VALU_DEP_1)
	v_fmac_f32_e32 v21, v22, v21
	v_div_scale_f32 v22, vcc_lo, v2, s15, v2
	v_mul_f32_e32 v23, v22, v21
	s_delay_alu instid0(VALU_DEP_1) | instskip(NEXT) | instid1(VALU_DEP_1)
	v_fma_f32 v24, -v13, v23, v22
	v_fmac_f32_e32 v23, v24, v21
	s_delay_alu instid0(VALU_DEP_1) | instskip(NEXT) | instid1(VALU_DEP_1)
	v_fma_f32 v13, -v13, v23, v22
	v_div_fmas_f32 v13, v13, v21, v23
	s_delay_alu instid0(VALU_DEP_1) | instskip(NEXT) | instid1(VALU_DEP_1)
	v_div_fixup_f32 v2, v13, s15, v2
	v_cvt_f16_f32_e32 v2, v2
	s_delay_alu instid0(VALU_DEP_1) | instskip(NEXT) | instid1(VALU_DEP_1)
	v_cvt_f32_f16_e32 v23, v2
	v_lshrrev_b32_e32 v22, 24, v23
	v_and_b32_e32 v24, 0x7f800000, v23
	v_and_b32_e32 v13, 0x7fffff, v23
	s_delay_alu instid0(VALU_DEP_3) | instskip(NEXT) | instid1(VALU_DEP_1)
	v_and_b32_e32 v2, 0x80, v22
	v_or_b32_e32 v21, 0x7e, v2
	s_delay_alu instid0(VALU_DEP_4)
	v_cmpx_ne_u64_e32 0x7f800000, v[24:25]
	s_xor_b32 s5, exec_lo, s2
	s_cbranch_execz .LBB5_329
; %bb.314:                              ;   in Loop: Header=BB5_205 Depth=1
	v_dual_mov_b32 v25, v14 :: v_dual_and_b32 v24, 0x7fffffff, v23
	s_mov_b32 s2, exec_lo
	s_delay_alu instid0(VALU_DEP_1)
	v_cmpx_gt_u64_e32 0x43e00001, v[24:25]
	s_xor_b32 s6, exec_lo, s2
	s_cbranch_execz .LBB5_328
; %bb.315:                              ;   in Loop: Header=BB5_205 Depth=1
	s_mov_b32 s7, exec_lo
	v_mov_b32_e32 v21, 0
	v_mov_b32_e32 v22, 0
	v_cmpx_ne_u32_e32 0, v23
	s_cbranch_execz .LBB5_327
; %bb.316:                              ;   in Loop: Header=BB5_205 Depth=1
	v_bfe_u32 v25, v23, 23, 8
	v_or_b32_e32 v23, 0x800000, v13
	s_delay_alu instid0(VALU_DEP_2) | instskip(SKIP_1) | instid1(VALU_DEP_2)
	v_sub_nc_u32_e32 v21, 0x79, v25
	v_cmp_gt_u32_e32 vcc_lo, 0x7a, v25
	v_cndmask_b32_e32 v21, 0, v21, vcc_lo
	v_cmp_eq_u32_e32 vcc_lo, 0, v25
	s_delay_alu instid0(VALU_DEP_2) | instskip(SKIP_1) | instid1(VALU_DEP_2)
	v_cndmask_b32_e64 v26, v21, 0x78, vcc_lo
	v_cndmask_b32_e32 v13, v23, v13, vcc_lo
	v_add_nc_u32_e32 v21, 20, v26
	v_add_nc_u32_e32 v23, 19, v26
	s_delay_alu instid0(VALU_DEP_2) | instskip(NEXT) | instid1(VALU_DEP_2)
	v_lshlrev_b64 v[21:22], v21, -1
	v_lshlrev_b64 v[23:24], v23, 1
	s_delay_alu instid0(VALU_DEP_2) | instskip(NEXT) | instid1(VALU_DEP_3)
	v_not_b32_e32 v22, v22
	v_not_b32_e32 v21, v21
	s_delay_alu instid0(VALU_DEP_2) | instskip(NEXT) | instid1(VALU_DEP_2)
	v_and_b32_e32 v28, 0, v22
	v_and_b32_e32 v27, v13, v21
	v_lshrrev_b64 v[21:22], v26, v[13:14]
	s_delay_alu instid0(VALU_DEP_2) | instskip(NEXT) | instid1(VALU_DEP_2)
	v_cmp_eq_u64_e64 s2, v[27:28], v[23:24]
	v_dual_mov_b32 v24, v22 :: v_dual_mov_b32 v23, v21
	s_delay_alu instid0(VALU_DEP_2)
	s_and_saveexec_b32 s8, s2
; %bb.317:                              ;   in Loop: Header=BB5_205 Depth=1
	v_bfe_u32 v13, v21, 20, 1
	s_delay_alu instid0(VALU_DEP_1) | instskip(NEXT) | instid1(VALU_DEP_1)
	v_add_co_u32 v13, s2, v21, v13
	v_add_co_u32 v23, s2, v13, -1
; %bb.318:                              ;   in Loop: Header=BB5_205 Depth=1
	s_or_b32 exec_lo, exec_lo, s8
	v_add_nc_u32_e32 v13, 0xffffff81, v25
	v_lshrrev_b32_e32 v24, 23, v21
	s_mov_b32 s2, exec_lo
	s_delay_alu instid0(VALU_DEP_2) | instskip(NEXT) | instid1(VALU_DEP_1)
	v_cndmask_b32_e64 v13, v13, 0xffffff82, vcc_lo
	v_add3_u32 v24, v26, v13, v24
	v_and_b32_e32 v13, 0xfffff, v23
	s_delay_alu instid0(VALU_DEP_2) | instskip(NEXT) | instid1(VALU_DEP_2)
	v_add_nc_u32_e32 v23, 6, v24
	v_add_co_u32 v21, vcc_lo, v13, v21
	v_add_co_ci_u32_e32 v22, vcc_lo, 0, v22, vcc_lo
                                        ; implicit-def: $vgpr13
	s_delay_alu instid0(VALU_DEP_3)
	v_cmpx_ne_u32_e32 0, v23
	s_xor_b32 s2, exec_lo, s2
; %bb.319:                              ;   in Loop: Header=BB5_205 Depth=1
	s_delay_alu instid0(VALU_DEP_2) | instskip(SKIP_1) | instid1(VALU_DEP_1)
	v_cmp_lt_u64_e32 vcc_lo, 0xffffff, v[21:22]
	v_add_nc_u32_e32 v13, 7, v24
	v_cndmask_b32_e32 v13, v23, v13, vcc_lo
	v_cndmask_b32_e64 v23, 0, 1, vcc_lo
	s_delay_alu instid0(VALU_DEP_1)
	v_lshrrev_b64 v[21:22], v23, v[21:22]
; %bb.320:                              ;   in Loop: Header=BB5_205 Depth=1
	s_and_not1_saveexec_b32 s2, s2
; %bb.321:                              ;   in Loop: Header=BB5_205 Depth=1
	s_delay_alu instid0(VALU_DEP_1)
	v_bfe_u32 v13, v21, 23, 1
; %bb.322:                              ;   in Loop: Header=BB5_205 Depth=1
	s_or_b32 exec_lo, exec_lo, s2
	s_delay_alu instid0(VALU_DEP_2) | instskip(NEXT) | instid1(VALU_DEP_2)
	v_lshrrev_b64 v[21:22], 20, v[21:22]
	v_cmp_gt_i32_e32 vcc_lo, 16, v13
	v_cmp_ne_u32_e64 s2, 0, v13
	s_delay_alu instid0(VALU_DEP_3) | instskip(NEXT) | instid1(VALU_DEP_1)
	v_dual_cndmask_b32 v24, 0, v22 :: v_dual_cndmask_b32 v23, 7, v21
                                        ; implicit-def: $vgpr21_vgpr22
	v_cmp_ne_u64_e32 vcc_lo, 0, v[23:24]
	s_delay_alu instid0(VALU_DEP_3) | instskip(NEXT) | instid1(SALU_CYCLE_1)
	s_or_b32 s2, s2, vcc_lo
	s_and_saveexec_b32 s8, s2
	s_delay_alu instid0(SALU_CYCLE_1)
	s_xor_b32 s2, exec_lo, s8
; %bb.323:                              ;   in Loop: Header=BB5_205 Depth=1
	v_min_i32_e32 v13, 15, v13
	s_delay_alu instid0(VALU_DEP_1) | instskip(NEXT) | instid1(VALU_DEP_1)
	v_lshl_or_b32 v2, v13, 3, v2
	v_and_or_b32 v21, v23, 7, v2
                                        ; implicit-def: $vgpr2
; %bb.324:                              ;   in Loop: Header=BB5_205 Depth=1
	s_and_not1_saveexec_b32 s2, s2
; %bb.325:                              ;   in Loop: Header=BB5_205 Depth=1
	v_dual_mov_b32 v22, v3 :: v_dual_mov_b32 v21, v2
; %bb.326:                              ;   in Loop: Header=BB5_205 Depth=1
	s_or_b32 exec_lo, exec_lo, s2
.LBB5_327:                              ;   in Loop: Header=BB5_205 Depth=1
	s_delay_alu instid0(SALU_CYCLE_1)
	s_or_b32 exec_lo, exec_lo, s7
.LBB5_328:                              ;   in Loop: Header=BB5_205 Depth=1
	s_and_not1_saveexec_b32 s2, s6
	s_delay_alu instid0(SALU_CYCLE_1)
	s_or_b32 exec_lo, exec_lo, s2
                                        ; implicit-def: $vgpr22
.LBB5_329:                              ;   in Loop: Header=BB5_205 Depth=1
	s_and_not1_saveexec_b32 s2, s5
; %bb.330:                              ;   in Loop: Header=BB5_205 Depth=1
	v_cmp_eq_u64_e32 vcc_lo, 0, v[13:14]
	v_or_b32_e32 v2, 0x7f, v22
	s_delay_alu instid0(VALU_DEP_1)
	v_cndmask_b32_e32 v21, v2, v21, vcc_lo
; %bb.331:                              ;   in Loop: Header=BB5_205 Depth=1
	s_or_b32 exec_lo, exec_lo, s2
	v_lshrrev_b32_e32 v2, 16, v3
	s_mov_b32 s2, exec_lo
	s_delay_alu instid0(VALU_DEP_1) | instskip(NEXT) | instid1(VALU_DEP_1)
	v_cvt_f32_f16_e32 v2, v2
	v_div_scale_f32 v3, null, s15, s15, v2
	s_delay_alu instid0(VALU_DEP_1) | instskip(SKIP_2) | instid1(VALU_DEP_1)
	v_rcp_f32_e32 v13, v3
	s_waitcnt_depctr 0xfff
	v_fma_f32 v22, -v3, v13, 1.0
	v_fmac_f32_e32 v13, v22, v13
	v_div_scale_f32 v22, vcc_lo, v2, s15, v2
	s_delay_alu instid0(VALU_DEP_1) | instskip(NEXT) | instid1(VALU_DEP_1)
	v_mul_f32_e32 v23, v22, v13
	v_fma_f32 v24, -v3, v23, v22
	s_delay_alu instid0(VALU_DEP_1) | instskip(NEXT) | instid1(VALU_DEP_1)
	v_fmac_f32_e32 v23, v24, v13
	v_fma_f32 v3, -v3, v23, v22
	s_delay_alu instid0(VALU_DEP_1) | instskip(NEXT) | instid1(VALU_DEP_1)
	v_div_fmas_f32 v3, v3, v13, v23
	v_div_fixup_f32 v2, v3, s15, v2
	s_delay_alu instid0(VALU_DEP_1) | instskip(NEXT) | instid1(VALU_DEP_1)
	v_cvt_f16_f32_e32 v2, v2
	v_cvt_f32_f16_e32 v3, v2
	s_delay_alu instid0(VALU_DEP_1) | instskip(SKIP_3) | instid1(VALU_DEP_3)
	v_and_b32_e32 v24, 0x7f800000, v3
	v_lshrrev_b32_e32 v23, 24, v3
	v_mov_b32_e32 v25, v14
	v_and_b32_e32 v13, 0x7fffff, v3
	v_and_b32_e32 v2, 0x80, v23
	s_delay_alu instid0(VALU_DEP_1) | instskip(NEXT) | instid1(VALU_DEP_4)
	v_or_b32_e32 v22, 0x7e, v2
	v_cmpx_ne_u64_e32 0x7f800000, v[24:25]
	s_xor_b32 s5, exec_lo, s2
	s_cbranch_execz .LBB5_347
; %bb.332:                              ;   in Loop: Header=BB5_205 Depth=1
	v_dual_mov_b32 v24, v14 :: v_dual_and_b32 v23, 0x7fffffff, v3
	s_mov_b32 s2, exec_lo
	s_delay_alu instid0(VALU_DEP_1)
	v_cmpx_gt_u64_e32 0x43e00001, v[23:24]
	s_xor_b32 s6, exec_lo, s2
	s_cbranch_execz .LBB5_346
; %bb.333:                              ;   in Loop: Header=BB5_205 Depth=1
	s_mov_b32 s7, exec_lo
	v_mov_b32_e32 v22, 0
	v_mov_b32_e32 v23, 0
	v_cmpx_ne_u32_e32 0, v3
	s_cbranch_execz .LBB5_345
; %bb.334:                              ;   in Loop: Header=BB5_205 Depth=1
	v_bfe_u32 v3, v3, 23, 8
	v_or_b32_e32 v24, 0x800000, v13
	s_delay_alu instid0(VALU_DEP_2) | instskip(SKIP_1) | instid1(VALU_DEP_2)
	v_sub_nc_u32_e32 v22, 0x79, v3
	v_cmp_gt_u32_e32 vcc_lo, 0x7a, v3
	v_cndmask_b32_e32 v22, 0, v22, vcc_lo
	v_cmp_eq_u32_e32 vcc_lo, 0, v3
	v_cndmask_b32_e32 v13, v24, v13, vcc_lo
	s_delay_alu instid0(VALU_DEP_3) | instskip(NEXT) | instid1(VALU_DEP_1)
	v_cndmask_b32_e64 v26, v22, 0x78, vcc_lo
	v_add_nc_u32_e32 v22, 20, v26
	v_add_nc_u32_e32 v24, 19, v26
	s_delay_alu instid0(VALU_DEP_2) | instskip(NEXT) | instid1(VALU_DEP_2)
	v_lshlrev_b64 v[22:23], v22, -1
	v_lshlrev_b64 v[24:25], v24, 1
	s_delay_alu instid0(VALU_DEP_2) | instskip(NEXT) | instid1(VALU_DEP_3)
	v_not_b32_e32 v23, v23
	v_not_b32_e32 v22, v22
	s_delay_alu instid0(VALU_DEP_2) | instskip(NEXT) | instid1(VALU_DEP_2)
	v_and_b32_e32 v28, 0, v23
	v_and_b32_e32 v27, v13, v22
	v_lshrrev_b64 v[22:23], v26, v[13:14]
	s_delay_alu instid0(VALU_DEP_2) | instskip(NEXT) | instid1(VALU_DEP_2)
	v_cmp_eq_u64_e64 s2, v[27:28], v[24:25]
	v_dual_mov_b32 v25, v23 :: v_dual_mov_b32 v24, v22
	s_delay_alu instid0(VALU_DEP_2)
	s_and_saveexec_b32 s8, s2
; %bb.335:                              ;   in Loop: Header=BB5_205 Depth=1
	v_bfe_u32 v13, v22, 20, 1
	s_delay_alu instid0(VALU_DEP_1) | instskip(NEXT) | instid1(VALU_DEP_1)
	v_add_co_u32 v13, s2, v22, v13
	v_add_co_u32 v24, s2, v13, -1
; %bb.336:                              ;   in Loop: Header=BB5_205 Depth=1
	s_or_b32 exec_lo, exec_lo, s8
	v_add_nc_u32_e32 v3, 0xffffff81, v3
	v_lshrrev_b32_e32 v13, 23, v22
	s_mov_b32 s2, exec_lo
	s_delay_alu instid0(VALU_DEP_2) | instskip(NEXT) | instid1(VALU_DEP_1)
	v_cndmask_b32_e64 v3, v3, 0xffffff82, vcc_lo
	v_add3_u32 v13, v26, v3, v13
	v_and_b32_e32 v3, 0xfffff, v24
	s_delay_alu instid0(VALU_DEP_2) | instskip(NEXT) | instid1(VALU_DEP_2)
	v_add_nc_u32_e32 v24, 6, v13
	v_add_co_u32 v22, vcc_lo, v3, v22
	v_add_co_ci_u32_e32 v23, vcc_lo, 0, v23, vcc_lo
                                        ; implicit-def: $vgpr3
	s_delay_alu instid0(VALU_DEP_3)
	v_cmpx_ne_u32_e32 0, v24
	s_xor_b32 s2, exec_lo, s2
; %bb.337:                              ;   in Loop: Header=BB5_205 Depth=1
	s_delay_alu instid0(VALU_DEP_2) | instskip(SKIP_2) | instid1(VALU_DEP_2)
	v_cmp_lt_u64_e32 vcc_lo, 0xffffff, v[22:23]
	v_add_nc_u32_e32 v3, 7, v13
	v_cndmask_b32_e64 v13, 0, 1, vcc_lo
	v_cndmask_b32_e32 v3, v24, v3, vcc_lo
	s_delay_alu instid0(VALU_DEP_2)
	v_lshrrev_b64 v[22:23], v13, v[22:23]
; %bb.338:                              ;   in Loop: Header=BB5_205 Depth=1
	s_and_not1_saveexec_b32 s2, s2
; %bb.339:                              ;   in Loop: Header=BB5_205 Depth=1
	s_delay_alu instid0(VALU_DEP_1)
	v_bfe_u32 v3, v22, 23, 1
; %bb.340:                              ;   in Loop: Header=BB5_205 Depth=1
	s_or_b32 exec_lo, exec_lo, s2
	s_delay_alu instid0(VALU_DEP_2) | instskip(NEXT) | instid1(VALU_DEP_2)
	v_lshrrev_b64 v[22:23], 20, v[22:23]
	v_cmp_gt_i32_e32 vcc_lo, 16, v3
	v_cmp_ne_u32_e64 s2, 0, v3
	s_delay_alu instid0(VALU_DEP_3) | instskip(NEXT) | instid1(VALU_DEP_1)
	v_dual_cndmask_b32 v25, 0, v23 :: v_dual_cndmask_b32 v24, 7, v22
                                        ; implicit-def: $vgpr22_vgpr23
	v_cmp_ne_u64_e32 vcc_lo, 0, v[24:25]
	s_delay_alu instid0(VALU_DEP_3) | instskip(NEXT) | instid1(SALU_CYCLE_1)
	s_or_b32 s2, s2, vcc_lo
	s_and_saveexec_b32 s8, s2
	s_delay_alu instid0(SALU_CYCLE_1)
	s_xor_b32 s2, exec_lo, s8
; %bb.341:                              ;   in Loop: Header=BB5_205 Depth=1
	v_min_i32_e32 v3, 15, v3
	s_delay_alu instid0(VALU_DEP_1) | instskip(NEXT) | instid1(VALU_DEP_1)
	v_lshl_or_b32 v2, v3, 3, v2
	v_and_or_b32 v22, v24, 7, v2
                                        ; implicit-def: $vgpr2
; %bb.342:                              ;   in Loop: Header=BB5_205 Depth=1
	s_and_not1_saveexec_b32 s2, s2
; %bb.343:                              ;   in Loop: Header=BB5_205 Depth=1
	v_dual_mov_b32 v23, v3 :: v_dual_mov_b32 v22, v2
; %bb.344:                              ;   in Loop: Header=BB5_205 Depth=1
	s_or_b32 exec_lo, exec_lo, s2
.LBB5_345:                              ;   in Loop: Header=BB5_205 Depth=1
	s_delay_alu instid0(SALU_CYCLE_1)
	s_or_b32 exec_lo, exec_lo, s7
.LBB5_346:                              ;   in Loop: Header=BB5_205 Depth=1
	s_and_not1_saveexec_b32 s2, s6
	s_delay_alu instid0(SALU_CYCLE_1)
	s_or_b32 exec_lo, exec_lo, s2
                                        ; implicit-def: $vgpr23
.LBB5_347:                              ;   in Loop: Header=BB5_205 Depth=1
	s_and_not1_saveexec_b32 s2, s5
	s_cbranch_execz .LBB5_204
; %bb.348:                              ;   in Loop: Header=BB5_205 Depth=1
	v_cmp_eq_u64_e32 vcc_lo, 0, v[13:14]
	v_or_b32_e32 v2, 0x7f, v23
	s_delay_alu instid0(VALU_DEP_1)
	v_cndmask_b32_e32 v22, v2, v22, vcc_lo
	s_branch .LBB5_204
.LBB5_349:
	s_or_b32 exec_lo, exec_lo, s3
	s_cmp_lt_i32 s21, 1
	s_cbranch_scc1 .LBB5_378
; %bb.350:
	s_load_b64 s[2:3], s[0:1], 0x18
	s_waitcnt lgkmcnt(0)
	s_load_b64 s[14:15], s[0:1], 0x8
	v_mul_lo_u32 v0, v8, s20
	s_delay_alu instid0(VALU_DEP_1)
	v_ashrrev_i32_e32 v1, 31, v0
	s_add_u32 s0, s2, s37
	s_addc_u32 s1, s3, s16
	v_add_co_u32 v2, vcc_lo, s0, v9
	s_ashr_i32 s2, s17, 31
	s_cmp_lg_u32 s21, 1
	v_add_co_ci_u32_e32 v3, vcc_lo, s1, v10, vcc_lo
	s_cselect_b32 s3, -1, 0
	s_cmp_eq_u32 s20, 1
	v_add_co_u32 v0, vcc_lo, v2, v0
	s_cselect_b32 s0, -1, 0
	v_add_co_ci_u32_e32 v1, vcc_lo, v3, v1, vcc_lo
	s_and_b32 s0, s3, s0
	s_mul_i32 s2, s2, s22
	s_and_b32 vcc_lo, exec_lo, s0
	v_add_co_u32 v8, s0, v0, s33
	s_delay_alu instid0(VALU_DEP_1)
	v_add_co_ci_u32_e64 v9, s0, s36, v1, s0
	s_mul_hi_u32 s3, s17, s22
	s_mul_i32 s0, s17, s22
	s_cbranch_vccnz .LBB5_353
; %bb.351:
	s_add_i32 s1, s3, s2
	s_mov_b32 s16, 0
	s_lshl_b64 s[4:5], s[0:1], 1
	s_mov_b32 s1, -1
	v_add_co_u32 v0, vcc_lo, s4, v6
	v_add_co_ci_u32_e32 v1, vcc_lo, s5, v7, vcc_lo
	s_delay_alu instid0(VALU_DEP_2) | instskip(NEXT) | instid1(VALU_DEP_2)
	v_add_co_u32 v0, vcc_lo, v0, v4
	v_add_co_ci_u32_e32 v1, vcc_lo, v1, v5, vcc_lo
	s_cbranch_execz .LBB5_354
	s_branch .LBB5_357
.LBB5_352:
                                        ; implicit-def: $sgpr30_sgpr31
	s_load_b64 s[28:29], s[0:1], 0x10
	s_branch .LBB5_4
.LBB5_353:
	s_mov_b32 s1, 0
                                        ; implicit-def: $sgpr16
                                        ; implicit-def: $vgpr0_vgpr1
.LBB5_354:
	s_add_i32 s1, s3, s2
	s_and_b32 s16, s21, 0x7ffffffe
	s_lshl_b64 s[0:1], s[0:1], 1
	s_mov_b32 s17, s23
	v_add_co_u32 v0, vcc_lo, s0, v6
	v_add_co_ci_u32_e32 v1, vcc_lo, s1, v7, vcc_lo
	s_mov_b32 s18, 0
	s_delay_alu instid0(VALU_DEP_2) | instskip(NEXT) | instid1(VALU_DEP_2)
	v_add_co_u32 v0, vcc_lo, v0, v4
	v_add_co_ci_u32_e32 v1, vcc_lo, v1, v5, vcc_lo
	v_mov_b32_e32 v5, 0
	s_waitcnt lgkmcnt(0)
	s_delay_alu instid0(VALU_DEP_3) | instskip(NEXT) | instid1(VALU_DEP_3)
	v_add_co_u32 v2, vcc_lo, s14, v0
	v_add_co_ci_u32_e32 v3, vcc_lo, s15, v1, vcc_lo
.LBB5_355:                              ; =>This Inner Loop Header: Depth=1
	global_load_b32 v4, v[2:3], off
	s_ashr_i32 s19, s18, 31
	s_waitcnt vmcnt(0)
	v_lshrrev_b32_e32 v6, 16, v4
	v_cvt_f32_f16_e32 v4, v4
	s_delay_alu instid0(VALU_DEP_2) | instskip(NEXT) | instid1(VALU_DEP_2)
	v_cvt_f32_f16_e32 v6, v6
	v_div_scale_f32 v10, null, s23, s23, v4
	v_div_scale_f32 v12, vcc_lo, v4, s23, v4
	s_delay_alu instid0(VALU_DEP_3) | instskip(NEXT) | instid1(VALU_DEP_3)
	v_div_scale_f32 v14, null, s17, s17, v6
	v_rcp_f32_e32 v16, v10
	v_div_scale_f32 v19, s0, v6, s17, v6
	s_delay_alu instid0(VALU_DEP_2) | instskip(SKIP_4) | instid1(VALU_DEP_3)
	v_rcp_f32_e32 v22, v14
	s_waitcnt_depctr 0xfff
	v_fma_f32 v24, -v10, v16, 1.0
	v_mov_b32_e32 v7, v5
	v_fma_f32 v25, -v14, v22, 1.0
	v_dual_fmac_f32 v16, v24, v16 :: v_dual_mov_b32 v11, v5
	s_delay_alu instid0(VALU_DEP_1) | instskip(NEXT) | instid1(VALU_DEP_1)
	v_mul_f32_e32 v24, v12, v16
	v_fma_f32 v26, -v10, v24, v12
	s_delay_alu instid0(VALU_DEP_1) | instskip(NEXT) | instid1(VALU_DEP_1)
	v_dual_mov_b32 v13, v5 :: v_dual_fmac_f32 v24, v26, v16
	v_fma_f32 v10, -v10, v24, v12
	s_delay_alu instid0(VALU_DEP_1) | instskip(SKIP_1) | instid1(VALU_DEP_1)
	v_div_fmas_f32 v10, v10, v16, v24
	s_mov_b32 vcc_lo, s0
	v_div_fixup_f32 v4, v10, s23, v4
	s_delay_alu instid0(VALU_DEP_1) | instskip(NEXT) | instid1(VALU_DEP_1)
	v_cvt_f16_f32_e32 v4, v4
	v_cvt_f32_f16_e32 v4, v4
	v_mov_b32_e32 v17, v5
	v_mov_b32_e32 v15, v5
	s_delay_alu instid0(VALU_DEP_3)
	v_dual_mov_b32 v21, v5 :: v_dual_and_b32 v16, 0x7fffffff, v4
	v_lshrrev_b32_e32 v24, 24, v4
	v_fmac_f32_e32 v22, v25, v22
	v_mov_b32_e32 v18, v5
	v_and_b32_e32 v10, 0x7f800000, v4
	v_cmp_ne_u32_e64 s0, 0, v4
	v_cmp_lt_u64_e64 s2, 0x43e00000, v[16:17]
	v_mul_f32_e32 v25, v19, v22
	v_cmp_gt_u64_e64 s3, 0x43e00001, v[16:17]
	v_cmp_ne_u64_e64 s1, 0x7f800000, v[10:11]
	s_delay_alu instid0(VALU_DEP_3) | instskip(SKIP_1) | instid1(VALU_DEP_3)
	v_fma_f32 v27, -v14, v25, v19
	v_mov_b32_e32 v20, v5
	s_and_b32 s3, s1, s3
	s_and_b32 s1, s1, s2
	s_delay_alu instid0(VALU_DEP_2) | instskip(SKIP_3) | instid1(VALU_DEP_3)
	v_fmac_f32_e32 v25, v27, v22
	v_and_b32_e32 v27, 0x80, v24
	v_or_b32_e32 v24, 0x7f, v24
	s_and_b32 s22, s3, s0
	v_fma_f32 v12, -v14, v25, v19
	s_delay_alu instid0(VALU_DEP_1) | instskip(SKIP_2) | instid1(VALU_DEP_3)
	v_div_fmas_f32 v12, v12, v22, v25
	v_bfe_u32 v22, v4, 23, 8
	v_cmp_eq_u32_e32 vcc_lo, 0, v4
	v_div_fixup_f32 v6, v12, s17, v6
	s_delay_alu instid0(VALU_DEP_3) | instskip(SKIP_4) | instid1(VALU_DEP_4)
	v_sub_nc_u32_e32 v11, 0x79, v22
	v_cmp_gt_u32_e64 s8, 0x7a, v22
	v_cmp_eq_u32_e64 s6, 0, v22
	v_add_nc_u32_e32 v10, 0xffffff81, v22
	v_cvt_f16_f32_e32 v6, v6
	v_cndmask_b32_e64 v11, 0, v11, s8
	s_delay_alu instid0(VALU_DEP_3) | instskip(NEXT) | instid1(VALU_DEP_3)
	v_cndmask_b32_e64 v22, v10, 0xffffff82, s6
	v_cvt_f32_f16_e32 v19, v6
	v_dual_mov_b32 v23, v5 :: v_dual_and_b32 v6, 0x7fffff, v4
	s_delay_alu instid0(VALU_DEP_4) | instskip(NEXT) | instid1(VALU_DEP_3)
	v_cndmask_b32_e64 v29, v11, 0x78, s6
	v_and_b32_e32 v4, 0x7fffff, v19
	v_bfe_u32 v25, v19, 23, 8
	v_and_b32_e32 v12, 0x7f800000, v19
	v_and_b32_e32 v14, 0x7fffffff, v19
	v_or_b32_e32 v16, 0x800000, v6
	v_cmp_eq_u64_e64 s7, 0, v[6:7]
	v_cmp_gt_u32_e64 s13, 0x7a, v25
	v_cmp_ne_u64_e64 s9, 0x7f800000, v[12:13]
	v_sub_nc_u32_e32 v13, 0x79, v25
	v_lshrrev_b32_e32 v26, 24, v19
	v_cmp_eq_u32_e64 s4, 0, v19
	v_cmp_ne_u32_e64 s5, 0, v19
	v_or_b32_e32 v7, 0x7e, v27
	v_cmp_lt_u64_e64 s10, 0x43e00000, v[14:15]
	v_cmp_gt_u64_e64 s11, 0x43e00001, v[14:15]
	v_cmp_eq_u32_e64 s12, 0, v25
	v_or_b32_e32 v14, 0x800000, v4
	v_cndmask_b32_e64 v19, v16, v6, s6
	v_cndmask_b32_e64 v6, 0, v13, s13
	s_or_b32 s0, s1, s7
	v_cmp_eq_u64_e64 s8, 0, v[4:5]
	v_cndmask_b32_e64 v17, v14, v4, s12
	v_cndmask_b32_e64 v4, v24, v7, s0
	;; [unrolled: 1-line block ×3, first 2 shown]
	v_lshrrev_b64 v[6:7], v29, v[19:20]
	s_and_b32 s2, s9, s10
	v_or_b32_e32 v10, 0x7f, v26
	s_and_b32 s0, s3, vcc_lo
	s_or_b32 vcc_lo, s2, s8
	v_and_b32_e32 v28, 0x80, v26
	v_lshrrev_b32_e32 v31, 23, v6
	v_bfe_u32 v32, v6, 20, 1
	v_add_nc_u32_e32 v16, 20, v30
	v_add_nc_u32_e32 v12, 0xffffff81, v25
	v_or_b32_e32 v15, 0x7e, v28
	v_add3_u32 v22, v29, v22, v31
	v_add3_u32 v31, v6, v32, -1
	v_add_nc_u32_e32 v11, 20, v29
	s_and_b32 s1, s9, s11
	v_cndmask_b32_e32 v15, v10, v15, vcc_lo
	v_cndmask_b32_e64 v4, v4, 0, s0
	s_and_b32 s0, s1, s4
	v_lshlrev_b64 v[10:11], v11, -1
	v_lshrrev_b64 v[13:14], v30, v[17:18]
	v_cndmask_b32_e64 v18, v15, 0, s0
	v_lshlrev_b64 v[15:16], v16, -1
	v_cndmask_b32_e64 v26, v12, 0xffffff82, s12
	v_add_nc_u32_e32 v12, 19, v29
	v_add_nc_u32_e32 v20, 19, v30
	v_not_b32_e32 v10, v10
	v_lshrrev_b32_e32 v16, 23, v13
	v_not_b32_e32 v15, v15
	v_lshlrev_b64 v[11:12], v12, 1
	v_lshlrev_b64 v[24:25], v20, 1
	v_and_b32_e32 v20, v19, v10
	v_add3_u32 v10, v30, v26, v16
	v_add_nc_u32_e32 v16, 6, v22
	v_add_nc_u32_e32 v26, 7, v22
	v_and_b32_e32 v22, v17, v15
	v_cmp_ne_u64_e32 vcc_lo, v[20:21], v[11:12]
	v_bfe_u32 v29, v13, 20, 1
	s_and_b32 s3, s1, s5
	v_add_nc_u32_e32 v12, 6, v10
	v_cmp_ne_u64_e64 s1, v[22:23], v[24:25]
	v_add_nc_u32_e32 v15, 7, v10
	s_and_b32 vcc_lo, s22, vcc_lo
	v_add3_u32 v19, v13, v29, -1
	v_cndmask_b32_e32 v10, v31, v6, vcc_lo
	v_cmp_ne_u32_e64 s0, 0, v16
	s_and_b32 vcc_lo, s3, s1
	v_cmp_ne_u32_e64 s2, 0, v12
	s_delay_alu instid0(VALU_DEP_3) | instskip(NEXT) | instid1(VALU_DEP_3)
	v_dual_cndmask_b32 v11, v19, v13 :: v_dual_and_b32 v10, 0xfffff, v10
	s_and_b32 s0, s22, s0
	s_delay_alu instid0(VALU_DEP_2) | instskip(NEXT) | instid1(VALU_DEP_1)
	s_and_b32 s2, s3, s2
	v_and_b32_e32 v11, 0xfffff, v11
	s_delay_alu instid0(VALU_DEP_2) | instskip(SKIP_1) | instid1(VALU_DEP_3)
	v_add_co_u32 v6, vcc_lo, v10, v6
	v_add_co_ci_u32_e32 v7, vcc_lo, 0, v7, vcc_lo
	v_add_co_u32 v10, vcc_lo, v11, v13
	v_add_co_ci_u32_e32 v11, vcc_lo, 0, v14, vcc_lo
	s_delay_alu instid0(VALU_DEP_3) | instskip(SKIP_1) | instid1(VALU_DEP_3)
	v_cmp_lt_u64_e32 vcc_lo, 0xffffff, v[6:7]
	v_bfe_u32 v14, v6, 23, 1
	v_cmp_lt_u64_e64 s1, 0xffffff, v[10:11]
	v_cndmask_b32_e32 v13, v16, v26, vcc_lo
	s_delay_alu instid0(VALU_DEP_2) | instskip(SKIP_1) | instid1(VALU_DEP_3)
	v_cndmask_b32_e64 v12, v12, v15, s1
	v_bfe_u32 v15, v10, 23, 1
	v_cndmask_b32_e64 v13, v14, v13, s0
	s_and_b32 s0, s0, vcc_lo
	s_delay_alu instid0(SALU_CYCLE_1)
	v_cndmask_b32_e64 v14, 0, 1, s0
	s_and_b32 s0, s2, s1
	v_cndmask_b32_e64 v12, v15, v12, s2
	v_cndmask_b32_e64 v16, 0, 1, s0
	v_cmp_gt_i32_e64 s1, 16, v13
	v_lshrrev_b64 v[6:7], v14, v[6:7]
	v_min_i32_e32 v15, 15, v13
	v_cmp_gt_i32_e64 s2, 16, v12
	v_lshrrev_b64 v[10:11], v16, v[10:11]
	v_cmp_eq_u32_e32 vcc_lo, 0, v13
	v_min_i32_e32 v14, 15, v12
	v_lshrrev_b64 v[6:7], 20, v[6:7]
	v_cmp_eq_u32_e64 s0, 0, v12
	v_lshl_or_b32 v15, v15, 3, v27
	v_lshrrev_b64 v[10:11], 20, v[10:11]
	v_lshl_or_b32 v13, v14, 3, v28
	v_cndmask_b32_e64 v7, 0, v7, s1
	v_cndmask_b32_e64 v6, 7, v6, s1
	s_delay_alu instid0(VALU_DEP_4) | instskip(SKIP_1) | instid1(VALU_DEP_3)
	v_cndmask_b32_e64 v11, 0, v11, s2
	v_cndmask_b32_e64 v10, 7, v10, s2
	v_cmp_eq_u64_e64 s1, 0, v[6:7]
	v_and_or_b32 v6, v6, 7, v15
	s_delay_alu instid0(VALU_DEP_3) | instskip(SKIP_1) | instid1(VALU_DEP_4)
	v_cmp_eq_u64_e64 s2, 0, v[10:11]
	v_and_or_b32 v7, v10, 7, v13
	s_and_b32 s1, vcc_lo, s1
	s_delay_alu instid0(SALU_CYCLE_1) | instskip(SKIP_1) | instid1(VALU_DEP_2)
	s_xor_b32 s4, s1, -1
	s_and_b32 vcc_lo, s22, s1
	s_and_b32 s1, s0, s2
	v_cndmask_b32_e32 v4, v4, v27, vcc_lo
	s_and_b32 s0, s3, s1
	s_and_b32 vcc_lo, s22, s4
	v_cndmask_b32_e64 v10, v18, v28, s0
	s_xor_b32 s0, s1, -1
	v_cndmask_b32_e32 v4, v4, v6, vcc_lo
	s_and_b32 vcc_lo, s3, s0
	v_add_co_u32 v2, s0, v2, 4
	s_delay_alu instid0(VALU_DEP_2) | instskip(SKIP_2) | instid1(VALU_DEP_2)
	v_dual_cndmask_b32 v7, v10, v7 :: v_dual_and_b32 v4, 0xff, v4
	v_add_co_u32 v6, vcc_lo, v8, s18
	s_add_i32 s18, s18, 2
	v_lshlrev_b16 v10, 8, v7
	v_add_co_ci_u32_e32 v7, vcc_lo, s19, v9, vcc_lo
	v_add_co_ci_u32_e64 v3, vcc_lo, 0, v3, s0
	s_delay_alu instid0(VALU_DEP_3)
	v_or_b32_e32 v4, v4, v10
	s_cmp_lg_u32 s16, s18
	global_store_b16 v[6:7], v4, off
	s_cbranch_scc1 .LBB5_355
; %bb.356:
	s_cmp_lg_u32 s16, s21
	s_cselect_b32 s1, -1, 0
.LBB5_357:
	s_delay_alu instid0(SALU_CYCLE_1)
	s_and_b32 vcc_lo, exec_lo, s1
	s_cbranch_vccz .LBB5_378
; %bb.358:
	s_mov_b32 s17, 0
	s_sub_i32 s1, s21, s16
	s_lshl_b64 s[2:3], s[16:17], 1
	v_mov_b32_e32 v3, 0
	s_waitcnt lgkmcnt(0)
	s_add_u32 s0, s14, s2
	s_addc_u32 s2, s15, s3
	v_add_co_u32 v0, vcc_lo, s0, v0
	v_add_co_ci_u32_e32 v1, vcc_lo, s2, v1, vcc_lo
	s_mul_i32 s2, s16, s20
	s_branch .LBB5_360
.LBB5_359:                              ;   in Loop: Header=BB5_360 Depth=1
	s_or_b32 exec_lo, exec_lo, s0
	s_ashr_i32 s0, s2, 31
	v_add_co_u32 v6, vcc_lo, v8, s2
	v_add_co_ci_u32_e32 v7, vcc_lo, s0, v9, vcc_lo
	v_add_co_u32 v0, vcc_lo, v0, 2
	v_add_co_ci_u32_e32 v1, vcc_lo, 0, v1, vcc_lo
	s_add_i32 s1, s1, -1
	s_add_i32 s2, s2, s20
	s_cmp_lg_u32 s1, 0
	global_store_b8 v[6:7], v5, off
	s_cbranch_scc0 .LBB5_378
.LBB5_360:                              ; =>This Inner Loop Header: Depth=1
	global_load_u16 v2, v[0:1], off
	s_mov_b32 s0, exec_lo
	v_mov_b32_e32 v12, v3
	s_waitcnt vmcnt(0)
	v_cvt_f32_f16_e32 v2, v2
	s_delay_alu instid0(VALU_DEP_1) | instskip(NEXT) | instid1(VALU_DEP_1)
	v_div_scale_f32 v4, null, s23, s23, v2
	v_rcp_f32_e32 v5, v4
	s_waitcnt_depctr 0xfff
	v_fma_f32 v6, -v4, v5, 1.0
	s_delay_alu instid0(VALU_DEP_1) | instskip(SKIP_1) | instid1(VALU_DEP_1)
	v_fmac_f32_e32 v5, v6, v5
	v_div_scale_f32 v6, vcc_lo, v2, s23, v2
	v_mul_f32_e32 v7, v6, v5
	s_delay_alu instid0(VALU_DEP_1) | instskip(NEXT) | instid1(VALU_DEP_1)
	v_fma_f32 v10, -v4, v7, v6
	v_fmac_f32_e32 v7, v10, v5
	s_delay_alu instid0(VALU_DEP_1) | instskip(NEXT) | instid1(VALU_DEP_1)
	v_fma_f32 v4, -v4, v7, v6
	v_div_fmas_f32 v4, v4, v5, v7
	s_delay_alu instid0(VALU_DEP_1) | instskip(NEXT) | instid1(VALU_DEP_1)
	v_div_fixup_f32 v2, v4, s23, v2
	v_cvt_f16_f32_e32 v2, v2
	s_delay_alu instid0(VALU_DEP_1) | instskip(NEXT) | instid1(VALU_DEP_1)
	v_cvt_f32_f16_e32 v4, v2
	v_and_b32_e32 v2, 0x7fffff, v4
	v_lshrrev_b32_e32 v6, 24, v4
	v_and_b32_e32 v11, 0x7f800000, v4
	s_delay_alu instid0(VALU_DEP_2) | instskip(NEXT) | instid1(VALU_DEP_1)
	v_and_b32_e32 v10, 0x80, v6
	v_or_b32_e32 v5, 0x7e, v10
	s_delay_alu instid0(VALU_DEP_3)
	v_cmpx_ne_u64_e32 0x7f800000, v[11:12]
	s_xor_b32 s3, exec_lo, s0
	s_cbranch_execz .LBB5_376
; %bb.361:                              ;   in Loop: Header=BB5_360 Depth=1
	v_dual_mov_b32 v7, v3 :: v_dual_and_b32 v6, 0x7fffffff, v4
	s_mov_b32 s0, exec_lo
	s_delay_alu instid0(VALU_DEP_1)
	v_cmpx_gt_u64_e32 0x43e00001, v[6:7]
	s_xor_b32 s4, exec_lo, s0
	s_cbranch_execz .LBB5_375
; %bb.362:                              ;   in Loop: Header=BB5_360 Depth=1
	v_mov_b32_e32 v5, 0
	s_mov_b32 s5, exec_lo
	v_cmpx_ne_u32_e32 0, v4
	s_cbranch_execz .LBB5_374
; %bb.363:                              ;   in Loop: Header=BB5_360 Depth=1
	v_bfe_u32 v11, v4, 23, 8
	v_or_b32_e32 v6, 0x800000, v2
	s_delay_alu instid0(VALU_DEP_2) | instskip(SKIP_1) | instid1(VALU_DEP_2)
	v_sub_nc_u32_e32 v4, 0x79, v11
	v_cmp_gt_u32_e32 vcc_lo, 0x7a, v11
	v_cndmask_b32_e32 v4, 0, v4, vcc_lo
	v_cmp_eq_u32_e32 vcc_lo, 0, v11
	s_delay_alu instid0(VALU_DEP_2) | instskip(SKIP_1) | instid1(VALU_DEP_2)
	v_cndmask_b32_e64 v12, v4, 0x78, vcc_lo
	v_cndmask_b32_e32 v2, v6, v2, vcc_lo
	v_add_nc_u32_e32 v4, 20, v12
	v_add_nc_u32_e32 v6, 19, v12
	s_delay_alu instid0(VALU_DEP_2) | instskip(NEXT) | instid1(VALU_DEP_2)
	v_lshlrev_b64 v[4:5], v4, -1
	v_lshlrev_b64 v[6:7], v6, 1
	s_delay_alu instid0(VALU_DEP_2) | instskip(NEXT) | instid1(VALU_DEP_3)
	v_not_b32_e32 v5, v5
	v_not_b32_e32 v4, v4
	s_delay_alu instid0(VALU_DEP_2) | instskip(NEXT) | instid1(VALU_DEP_2)
	v_and_b32_e32 v14, 0, v5
	v_and_b32_e32 v13, v2, v4
	v_lshrrev_b64 v[4:5], v12, v[2:3]
	s_delay_alu instid0(VALU_DEP_2) | instskip(NEXT) | instid1(VALU_DEP_2)
	v_cmp_eq_u64_e64 s0, v[13:14], v[6:7]
	v_dual_mov_b32 v7, v5 :: v_dual_mov_b32 v6, v4
	s_delay_alu instid0(VALU_DEP_2)
	s_and_saveexec_b32 s6, s0
; %bb.364:                              ;   in Loop: Header=BB5_360 Depth=1
	v_bfe_u32 v2, v4, 20, 1
	s_delay_alu instid0(VALU_DEP_1) | instskip(NEXT) | instid1(VALU_DEP_1)
	v_add_co_u32 v2, s0, v4, v2
	v_add_co_u32 v6, s0, v2, -1
; %bb.365:                              ;   in Loop: Header=BB5_360 Depth=1
	s_or_b32 exec_lo, exec_lo, s6
	v_add_nc_u32_e32 v2, 0xffffff81, v11
	v_lshrrev_b32_e32 v7, 23, v4
	s_mov_b32 s0, exec_lo
	s_delay_alu instid0(VALU_DEP_2) | instskip(NEXT) | instid1(VALU_DEP_1)
	v_cndmask_b32_e64 v2, v2, 0xffffff82, vcc_lo
	v_add3_u32 v7, v12, v2, v7
	v_and_b32_e32 v2, 0xfffff, v6
	s_delay_alu instid0(VALU_DEP_2) | instskip(NEXT) | instid1(VALU_DEP_2)
	v_add_nc_u32_e32 v6, 6, v7
	v_add_co_u32 v4, vcc_lo, v2, v4
	v_add_co_ci_u32_e32 v5, vcc_lo, 0, v5, vcc_lo
                                        ; implicit-def: $vgpr2
	s_delay_alu instid0(VALU_DEP_3)
	v_cmpx_ne_u32_e32 0, v6
	s_xor_b32 s0, exec_lo, s0
; %bb.366:                              ;   in Loop: Header=BB5_360 Depth=1
	s_delay_alu instid0(VALU_DEP_2) | instskip(SKIP_1) | instid1(VALU_DEP_1)
	v_cmp_lt_u64_e32 vcc_lo, 0xffffff, v[4:5]
	v_add_nc_u32_e32 v2, 7, v7
	v_cndmask_b32_e32 v2, v6, v2, vcc_lo
	v_cndmask_b32_e64 v6, 0, 1, vcc_lo
	s_delay_alu instid0(VALU_DEP_1)
	v_lshrrev_b64 v[4:5], v6, v[4:5]
; %bb.367:                              ;   in Loop: Header=BB5_360 Depth=1
	s_and_not1_saveexec_b32 s0, s0
; %bb.368:                              ;   in Loop: Header=BB5_360 Depth=1
	s_delay_alu instid0(VALU_DEP_1)
	v_bfe_u32 v2, v4, 23, 1
; %bb.369:                              ;   in Loop: Header=BB5_360 Depth=1
	s_or_b32 exec_lo, exec_lo, s0
	s_delay_alu instid0(VALU_DEP_2) | instskip(NEXT) | instid1(VALU_DEP_2)
	v_lshrrev_b64 v[4:5], 20, v[4:5]
	v_cmp_gt_i32_e32 vcc_lo, 16, v2
	v_cmp_ne_u32_e64 s0, 0, v2
	s_delay_alu instid0(VALU_DEP_3) | instskip(NEXT) | instid1(VALU_DEP_1)
	v_dual_cndmask_b32 v5, 0, v5 :: v_dual_cndmask_b32 v4, 7, v4
	v_cmp_ne_u64_e32 vcc_lo, 0, v[4:5]
                                        ; implicit-def: $vgpr5
	s_delay_alu instid0(VALU_DEP_3) | instskip(NEXT) | instid1(SALU_CYCLE_1)
	s_or_b32 s0, s0, vcc_lo
	s_and_saveexec_b32 s6, s0
	s_delay_alu instid0(SALU_CYCLE_1)
	s_xor_b32 s0, exec_lo, s6
; %bb.370:                              ;   in Loop: Header=BB5_360 Depth=1
	v_min_i32_e32 v2, 15, v2
	s_delay_alu instid0(VALU_DEP_1) | instskip(NEXT) | instid1(VALU_DEP_1)
	v_lshl_or_b32 v2, v2, 3, v10
                                        ; implicit-def: $vgpr10
	v_and_or_b32 v5, v4, 7, v2
; %bb.371:                              ;   in Loop: Header=BB5_360 Depth=1
	s_and_not1_saveexec_b32 s0, s0
; %bb.372:                              ;   in Loop: Header=BB5_360 Depth=1
	v_mov_b32_e32 v5, v10
; %bb.373:                              ;   in Loop: Header=BB5_360 Depth=1
	s_or_b32 exec_lo, exec_lo, s0
.LBB5_374:                              ;   in Loop: Header=BB5_360 Depth=1
	s_delay_alu instid0(SALU_CYCLE_1)
	s_or_b32 exec_lo, exec_lo, s5
.LBB5_375:                              ;   in Loop: Header=BB5_360 Depth=1
	s_and_not1_saveexec_b32 s0, s4
	s_delay_alu instid0(SALU_CYCLE_1)
	s_or_b32 exec_lo, exec_lo, s0
                                        ; implicit-def: $vgpr6
.LBB5_376:                              ;   in Loop: Header=BB5_360 Depth=1
	s_and_not1_saveexec_b32 s0, s3
	s_cbranch_execz .LBB5_359
; %bb.377:                              ;   in Loop: Header=BB5_360 Depth=1
	v_cmp_eq_u64_e32 vcc_lo, 0, v[2:3]
	v_or_b32_e32 v4, 0x7f, v6
	s_delay_alu instid0(VALU_DEP_1)
	v_cndmask_b32_e32 v5, v4, v5, vcc_lo
	s_branch .LBB5_359
.LBB5_378:
	s_nop 0
	s_sendmsg sendmsg(MSG_DEALLOC_VGPRS)
	s_endpgm
	.section	.rodata,"a",@progbits
	.p2align	6, 0x0
	.amdhsa_kernel _ZN4vllm24reshape_and_cache_kernelIthLNS_18Fp8KVCacheDataTypeE1EEEvPKT_S4_PT0_S6_PKliiiiiiPKfSA_
		.amdhsa_group_segment_fixed_size 0
		.amdhsa_private_segment_fixed_size 0
		.amdhsa_kernarg_size 80
		.amdhsa_user_sgpr_count 15
		.amdhsa_user_sgpr_dispatch_ptr 0
		.amdhsa_user_sgpr_queue_ptr 0
		.amdhsa_user_sgpr_kernarg_segment_ptr 1
		.amdhsa_user_sgpr_dispatch_id 0
		.amdhsa_user_sgpr_private_segment_size 0
		.amdhsa_wavefront_size32 1
		.amdhsa_uses_dynamic_stack 0
		.amdhsa_enable_private_segment 0
		.amdhsa_system_sgpr_workgroup_id_x 1
		.amdhsa_system_sgpr_workgroup_id_y 0
		.amdhsa_system_sgpr_workgroup_id_z 0
		.amdhsa_system_sgpr_workgroup_info 0
		.amdhsa_system_vgpr_workitem_id 0
		.amdhsa_next_free_vgpr 52
		.amdhsa_next_free_sgpr 49
		.amdhsa_reserve_vcc 1
		.amdhsa_float_round_mode_32 0
		.amdhsa_float_round_mode_16_64 0
		.amdhsa_float_denorm_mode_32 3
		.amdhsa_float_denorm_mode_16_64 3
		.amdhsa_dx10_clamp 1
		.amdhsa_ieee_mode 1
		.amdhsa_fp16_overflow 0
		.amdhsa_workgroup_processor_mode 1
		.amdhsa_memory_ordered 1
		.amdhsa_forward_progress 0
		.amdhsa_shared_vgpr_count 0
		.amdhsa_exception_fp_ieee_invalid_op 0
		.amdhsa_exception_fp_denorm_src 0
		.amdhsa_exception_fp_ieee_div_zero 0
		.amdhsa_exception_fp_ieee_overflow 0
		.amdhsa_exception_fp_ieee_underflow 0
		.amdhsa_exception_fp_ieee_inexact 0
		.amdhsa_exception_int_div_zero 0
	.end_amdhsa_kernel
	.section	.text._ZN4vllm24reshape_and_cache_kernelIthLNS_18Fp8KVCacheDataTypeE1EEEvPKT_S4_PT0_S6_PKliiiiiiPKfSA_,"axG",@progbits,_ZN4vllm24reshape_and_cache_kernelIthLNS_18Fp8KVCacheDataTypeE1EEEvPKT_S4_PT0_S6_PKliiiiiiPKfSA_,comdat
.Lfunc_end5:
	.size	_ZN4vllm24reshape_and_cache_kernelIthLNS_18Fp8KVCacheDataTypeE1EEEvPKT_S4_PT0_S6_PKliiiiiiPKfSA_, .Lfunc_end5-_ZN4vllm24reshape_and_cache_kernelIthLNS_18Fp8KVCacheDataTypeE1EEEvPKT_S4_PT0_S6_PKliiiiiiPKfSA_
                                        ; -- End function
	.section	.AMDGPU.csdata,"",@progbits
; Kernel info:
; codeLenInByte = 19804
; NumSgprs: 51
; NumVgprs: 52
; ScratchSize: 0
; MemoryBound: 0
; FloatMode: 240
; IeeeMode: 1
; LDSByteSize: 0 bytes/workgroup (compile time only)
; SGPRBlocks: 6
; VGPRBlocks: 6
; NumSGPRsForWavesPerEU: 51
; NumVGPRsForWavesPerEU: 52
; Occupancy: 16
; WaveLimiterHint : 0
; COMPUTE_PGM_RSRC2:SCRATCH_EN: 0
; COMPUTE_PGM_RSRC2:USER_SGPR: 15
; COMPUTE_PGM_RSRC2:TRAP_HANDLER: 0
; COMPUTE_PGM_RSRC2:TGID_X_EN: 1
; COMPUTE_PGM_RSRC2:TGID_Y_EN: 0
; COMPUTE_PGM_RSRC2:TGID_Z_EN: 0
; COMPUTE_PGM_RSRC2:TIDIG_COMP_CNT: 0
	.section	.text._ZN4vllm24reshape_and_cache_kernelI14__hip_bfloat16hLNS_18Fp8KVCacheDataTypeE1EEEvPKT_S5_PT0_S7_PKliiiiiiPKfSB_,"axG",@progbits,_ZN4vllm24reshape_and_cache_kernelI14__hip_bfloat16hLNS_18Fp8KVCacheDataTypeE1EEEvPKT_S5_PT0_S7_PKliiiiiiPKfSB_,comdat
	.protected	_ZN4vllm24reshape_and_cache_kernelI14__hip_bfloat16hLNS_18Fp8KVCacheDataTypeE1EEEvPKT_S5_PT0_S7_PKliiiiiiPKfSB_ ; -- Begin function _ZN4vllm24reshape_and_cache_kernelI14__hip_bfloat16hLNS_18Fp8KVCacheDataTypeE1EEEvPKT_S5_PT0_S7_PKliiiiiiPKfSB_
	.globl	_ZN4vllm24reshape_and_cache_kernelI14__hip_bfloat16hLNS_18Fp8KVCacheDataTypeE1EEEvPKT_S5_PT0_S7_PKliiiiiiPKfSB_
	.p2align	8
	.type	_ZN4vllm24reshape_and_cache_kernelI14__hip_bfloat16hLNS_18Fp8KVCacheDataTypeE1EEEvPKT_S5_PT0_S7_PKliiiiiiPKfSB_,@function
_ZN4vllm24reshape_and_cache_kernelI14__hip_bfloat16hLNS_18Fp8KVCacheDataTypeE1EEEvPKT_S5_PT0_S7_PKliiiiiiPKfSB_: ; @_ZN4vllm24reshape_and_cache_kernelI14__hip_bfloat16hLNS_18Fp8KVCacheDataTypeE1EEEvPKT_S5_PT0_S7_PKliiiiiiPKfSB_
; %bb.0:
	s_load_b64 s[2:3], s[0:1], 0x20
	s_mov_b32 s22, s15
	s_mov_b32 s23, 0
	s_delay_alu instid0(SALU_CYCLE_1)
	s_lshl_b64 s[4:5], s[22:23], 3
	s_waitcnt lgkmcnt(0)
	s_add_u32 s2, s2, s4
	s_addc_u32 s3, s3, s5
	s_load_b64 s[24:25], s[2:3], 0x0
	s_waitcnt lgkmcnt(0)
	v_cmp_lt_i64_e64 s2, s[24:25], 0
	s_delay_alu instid0(VALU_DEP_1)
	s_and_b32 vcc_lo, exec_lo, s2
	s_cbranch_vccnz .LBB6_378
; %bb.1:
	s_clause 0x1
	s_load_b64 s[20:21], s[0:1], 0x38
	s_load_b128 s[16:19], s[0:1], 0x28
	s_waitcnt lgkmcnt(0)
	s_abs_i32 s2, s21
	s_abs_i32 s5, s19
	v_cvt_f32_u32_e32 v1, s2
	s_sub_i32 s4, 0, s2
	s_delay_alu instid0(VALU_DEP_1) | instskip(SKIP_2) | instid1(VALU_DEP_1)
	v_rcp_iflag_f32_e32 v1, v1
	s_waitcnt_depctr 0xfff
	v_mul_f32_e32 v1, 0x4f7ffffe, v1
	v_cvt_u32_f32_e32 v1, v1
	s_delay_alu instid0(VALU_DEP_1) | instskip(NEXT) | instid1(VALU_DEP_1)
	v_readfirstlane_b32 s3, v1
	s_mul_i32 s4, s4, s3
	s_delay_alu instid0(SALU_CYCLE_1) | instskip(NEXT) | instid1(SALU_CYCLE_1)
	s_mul_hi_u32 s4, s3, s4
	s_add_i32 s3, s3, s4
	s_xor_b32 s4, s19, s21
	s_mul_hi_u32 s3, s5, s3
	s_ashr_i32 s4, s4, 31
	s_mul_i32 s6, s3, s2
	s_delay_alu instid0(SALU_CYCLE_1)
	s_sub_i32 s5, s5, s6
	s_add_i32 s6, s3, 1
	s_sub_i32 s7, s5, s2
	s_cmp_ge_u32 s5, s2
	s_cselect_b32 s3, s6, s3
	s_cselect_b32 s5, s7, s5
	s_add_i32 s6, s3, 1
	s_cmp_ge_u32 s5, s2
	s_cselect_b32 s2, s6, s3
	s_delay_alu instid0(SALU_CYCLE_1) | instskip(NEXT) | instid1(SALU_CYCLE_1)
	s_xor_b32 s2, s2, s4
	s_sub_i32 s8, s2, s4
	s_mov_b32 s2, exec_lo
	s_mul_i32 s39, s8, s18
	s_delay_alu instid0(SALU_CYCLE_1)
	v_cmpx_gt_i32_e64 s39, v0
	s_cbranch_execz .LBB6_378
; %bb.2:
	s_load_b64 s[34:35], s[0:1], 0x0
	s_ashr_i32 s27, s20, 31
	s_mov_b32 s26, s20
	s_delay_alu instid0(SALU_CYCLE_1) | instskip(SKIP_1) | instid1(SALU_CYCLE_1)
	s_or_b64 s[2:3], s[24:25], s[26:27]
	s_mov_b32 s2, 0
	s_cmp_lg_u64 s[2:3], 0
	s_cbranch_scc0 .LBB6_352
; %bb.3:
	s_add_u32 s6, s26, s27
	s_mov_b32 s4, s27
	s_mov_b32 s5, s27
	s_addc_u32 s7, s27, s27
	s_delay_alu instid0(SALU_CYCLE_1) | instskip(NEXT) | instid1(SALU_CYCLE_1)
	s_xor_b64 s[6:7], s[6:7], s[4:5]
	v_cvt_f32_u32_e32 v1, s6
	v_cvt_f32_u32_e32 v2, s7
	s_sub_u32 s10, 0, s6
	s_subb_u32 s11, 0, s7
	s_delay_alu instid0(VALU_DEP_1) | instskip(NEXT) | instid1(VALU_DEP_1)
	v_fmamk_f32 v1, v2, 0x4f800000, v1
	v_rcp_f32_e32 v1, v1
	s_waitcnt_depctr 0xfff
	v_mul_f32_e32 v1, 0x5f7ffffc, v1
	s_delay_alu instid0(VALU_DEP_1) | instskip(NEXT) | instid1(VALU_DEP_1)
	v_mul_f32_e32 v2, 0x2f800000, v1
	v_trunc_f32_e32 v2, v2
	s_delay_alu instid0(VALU_DEP_1) | instskip(SKIP_1) | instid1(VALU_DEP_2)
	v_fmamk_f32 v1, v2, 0xcf800000, v1
	v_cvt_u32_f32_e32 v2, v2
	v_cvt_u32_f32_e32 v1, v1
	s_delay_alu instid0(VALU_DEP_2) | instskip(NEXT) | instid1(VALU_DEP_2)
	v_readfirstlane_b32 s3, v2
	v_readfirstlane_b32 s9, v1
	s_delay_alu instid0(VALU_DEP_2) | instskip(NEXT) | instid1(VALU_DEP_1)
	s_mul_i32 s12, s10, s3
	s_mul_hi_u32 s14, s10, s9
	s_mul_i32 s13, s11, s9
	s_add_i32 s12, s14, s12
	s_mul_i32 s15, s10, s9
	s_add_i32 s12, s12, s13
	s_mul_hi_u32 s14, s9, s15
	s_mul_hi_u32 s23, s3, s15
	s_mul_i32 s13, s3, s15
	s_mul_hi_u32 s15, s9, s12
	s_mul_i32 s9, s9, s12
	s_mul_hi_u32 s28, s3, s12
	s_add_u32 s9, s14, s9
	s_addc_u32 s14, 0, s15
	s_add_u32 s9, s9, s13
	s_mul_i32 s12, s3, s12
	s_addc_u32 s9, s14, s23
	s_addc_u32 s13, s28, 0
	s_add_u32 s9, s9, s12
	s_addc_u32 s12, 0, s13
	v_add_co_u32 v1, s9, v1, s9
	s_delay_alu instid0(VALU_DEP_1) | instskip(SKIP_1) | instid1(VALU_DEP_1)
	s_cmp_lg_u32 s9, 0
	s_addc_u32 s3, s3, s12
	v_readfirstlane_b32 s9, v1
	s_mul_i32 s12, s10, s3
	s_delay_alu instid0(VALU_DEP_1)
	s_mul_hi_u32 s13, s10, s9
	s_mul_i32 s11, s11, s9
	s_add_i32 s12, s13, s12
	s_mul_i32 s10, s10, s9
	s_add_i32 s12, s12, s11
	s_mul_hi_u32 s13, s3, s10
	s_mul_i32 s14, s3, s10
	s_mul_hi_u32 s10, s9, s10
	s_mul_hi_u32 s15, s9, s12
	s_mul_i32 s9, s9, s12
	s_mul_hi_u32 s11, s3, s12
	s_add_u32 s9, s10, s9
	s_addc_u32 s10, 0, s15
	s_add_u32 s9, s9, s14
	s_mul_i32 s12, s3, s12
	s_addc_u32 s9, s10, s13
	s_addc_u32 s10, s11, 0
	s_add_u32 s9, s9, s12
	s_addc_u32 s10, 0, s10
	v_add_co_u32 v1, s9, v1, s9
	s_delay_alu instid0(VALU_DEP_1) | instskip(SKIP_2) | instid1(VALU_DEP_1)
	s_cmp_lg_u32 s9, 0
	s_addc_u32 s3, s3, s10
	s_ashr_i32 s10, s25, 31
	v_readfirstlane_b32 s9, v1
	s_add_u32 s12, s24, s10
	s_mov_b32 s11, s10
	s_addc_u32 s13, s25, s10
	s_delay_alu instid0(SALU_CYCLE_1) | instskip(NEXT) | instid1(SALU_CYCLE_1)
	s_xor_b64 s[12:13], s[12:13], s[10:11]
	s_mul_i32 s15, s12, s3
	s_mul_hi_u32 s23, s12, s9
	s_mul_hi_u32 s14, s12, s3
	;; [unrolled: 1-line block ×3, first 2 shown]
	s_mul_i32 s9, s13, s9
	s_add_u32 s15, s23, s15
	s_addc_u32 s14, 0, s14
	s_mul_hi_u32 s28, s13, s3
	s_add_u32 s9, s15, s9
	s_mul_i32 s3, s13, s3
	s_addc_u32 s9, s14, s29
	s_addc_u32 s14, s28, 0
	s_add_u32 s3, s9, s3
	s_addc_u32 s9, 0, s14
	s_mul_i32 s28, s6, s3
	s_mul_hi_u32 s14, s6, s3
	s_mul_i32 s23, s6, s9
	v_sub_co_u32 v1, s12, s12, s28
	s_mul_i32 s15, s7, s3
	s_add_i32 s14, s14, s23
	s_delay_alu instid0(SALU_CYCLE_1) | instskip(NEXT) | instid1(VALU_DEP_1)
	s_add_i32 s14, s14, s15
	v_sub_co_u32 v2, s23, v1, s6
	s_sub_i32 s15, s13, s14
	s_cmp_lg_u32 s12, 0
	s_subb_u32 s15, s15, s7
	s_cmp_lg_u32 s23, 0
	v_readfirstlane_b32 s23, v2
	s_subb_u32 s15, s15, 0
	s_delay_alu instid0(SALU_CYCLE_1) | instskip(SKIP_1) | instid1(VALU_DEP_1)
	s_cmp_ge_u32 s15, s7
	s_cselect_b32 s28, -1, 0
	s_cmp_ge_u32 s23, s6
	s_cselect_b32 s23, -1, 0
	s_cmp_eq_u32 s15, s7
	s_cselect_b32 s15, s23, s28
	s_add_u32 s23, s3, 1
	s_addc_u32 s28, s9, 0
	s_add_u32 s29, s3, 2
	s_addc_u32 s30, s9, 0
	s_cmp_lg_u32 s15, 0
	s_cselect_b32 s15, s29, s23
	s_cselect_b32 s23, s30, s28
	s_cmp_lg_u32 s12, 0
	v_readfirstlane_b32 s12, v1
	s_subb_u32 s13, s13, s14
	s_delay_alu instid0(SALU_CYCLE_1) | instskip(SKIP_1) | instid1(VALU_DEP_1)
	s_cmp_ge_u32 s13, s7
	s_cselect_b32 s14, -1, 0
	s_cmp_ge_u32 s12, s6
	s_cselect_b32 s6, -1, 0
	s_cmp_eq_u32 s13, s7
	s_cselect_b32 s6, s6, s14
	s_delay_alu instid0(SALU_CYCLE_1) | instskip(SKIP_3) | instid1(SALU_CYCLE_1)
	s_cmp_lg_u32 s6, 0
	s_cselect_b32 s7, s23, s9
	s_cselect_b32 s6, s15, s3
	s_xor_b64 s[4:5], s[10:11], s[4:5]
	s_xor_b64 s[6:7], s[6:7], s[4:5]
	s_delay_alu instid0(SALU_CYCLE_1)
	s_sub_u32 s30, s6, s4
	s_subb_u32 s31, s7, s5
	s_load_b64 s[28:29], s[0:1], 0x10
	s_and_not1_b32 vcc_lo, exec_lo, s2
	s_cbranch_vccnz .LBB6_5
.LBB6_4:
	v_cvt_f32_u32_e32 v1, s26
	s_sub_i32 s3, 0, s26
	s_mov_b32 s31, 0
	s_delay_alu instid0(VALU_DEP_1) | instskip(SKIP_2) | instid1(VALU_DEP_1)
	v_rcp_iflag_f32_e32 v1, v1
	s_waitcnt_depctr 0xfff
	v_mul_f32_e32 v1, 0x4f7ffffe, v1
	v_cvt_u32_f32_e32 v1, v1
	s_delay_alu instid0(VALU_DEP_1) | instskip(NEXT) | instid1(VALU_DEP_1)
	v_readfirstlane_b32 s2, v1
	s_mul_i32 s3, s3, s2
	s_delay_alu instid0(SALU_CYCLE_1) | instskip(NEXT) | instid1(SALU_CYCLE_1)
	s_mul_hi_u32 s3, s2, s3
	s_add_i32 s2, s2, s3
	s_delay_alu instid0(SALU_CYCLE_1) | instskip(NEXT) | instid1(SALU_CYCLE_1)
	s_mul_hi_u32 s2, s24, s2
	s_mul_i32 s3, s2, s26
	s_add_i32 s4, s2, 1
	s_sub_i32 s3, s24, s3
	s_delay_alu instid0(SALU_CYCLE_1)
	s_sub_i32 s5, s3, s26
	s_cmp_ge_u32 s3, s26
	s_cselect_b32 s2, s4, s2
	s_cselect_b32 s3, s5, s3
	s_add_i32 s4, s2, 1
	s_cmp_ge_u32 s3, s26
	s_cselect_b32 s30, s4, s2
.LBB6_5:
	s_delay_alu instid0(SALU_CYCLE_1)
	s_mul_i32 s2, s30, s27
	s_mul_hi_u32 s3, s30, s26
	s_mul_i32 s4, s30, s26
	s_add_i32 s2, s3, s2
	s_mul_i32 s3, s31, s26
	s_mul_hi_i32 s41, s8, s18
	s_add_i32 s2, s2, s3
	s_sub_u32 s33, s24, s4
	s_subb_u32 s36, s25, s2
	s_abs_i32 s2, s8
	s_load_b128 s[4:7], s[0:1], 0x40
	v_cvt_f32_u32_e32 v1, s2
	s_sub_i32 s3, 0, s2
	s_ashr_i32 s13, s16, 31
	s_mul_i32 s9, s39, s31
	s_mul_i32 s13, s13, s22
	v_rcp_iflag_f32_e32 v1, v1
	s_mul_i32 s12, s21, s20
	s_mul_i32 s14, s41, s30
	;; [unrolled: 1-line block ×4, first 2 shown]
	s_mul_hi_i32 s11, s21, s26
	s_mov_b32 s40, s21
	s_mul_i32 s11, s11, s10
	s_waitcnt_depctr 0xfff
	v_mul_f32_e32 v1, 0x4f7ffffe, v1
	s_waitcnt lgkmcnt(0)
	s_load_b32 s23, s[6:7], 0x0
	s_delay_alu instid0(VALU_DEP_1) | instskip(NEXT) | instid1(VALU_DEP_1)
	v_cvt_u32_f32_e32 v1, v1
	v_mul_lo_u32 v2, s3, v1
	s_mul_hi_u32 s3, s16, s22
	s_delay_alu instid0(SALU_CYCLE_1) | instskip(SKIP_1) | instid1(VALU_DEP_1)
	s_add_i32 s3, s3, s13
	s_mul_hi_u32 s13, s38, s10
	v_mul_hi_u32 v2, v1, v2
	s_delay_alu instid0(VALU_DEP_1) | instskip(NEXT) | instid1(VALU_DEP_1)
	v_add_nc_u32_e32 v1, v1, v2
	v_mul_hi_u32 v1, v0, v1
	s_delay_alu instid0(VALU_DEP_1) | instskip(SKIP_1) | instid1(VALU_DEP_2)
	v_mul_lo_u32 v2, v1, s2
	v_add_nc_u32_e32 v3, 1, v1
	v_sub_nc_u32_e32 v2, v0, v2
	s_delay_alu instid0(VALU_DEP_1) | instskip(SKIP_1) | instid1(VALU_DEP_2)
	v_subrev_nc_u32_e32 v4, s2, v2
	v_cmp_le_u32_e32 vcc_lo, s2, v2
	v_dual_cndmask_b32 v2, v2, v4 :: v_dual_cndmask_b32 v1, v1, v3
	s_delay_alu instid0(VALU_DEP_1) | instskip(NEXT) | instid1(VALU_DEP_2)
	v_cmp_le_u32_e32 vcc_lo, s2, v2
	v_add_nc_u32_e32 v3, 1, v1
	s_ashr_i32 s2, s8, 31
	s_delay_alu instid0(VALU_DEP_1) | instskip(NEXT) | instid1(VALU_DEP_1)
	v_cndmask_b32_e32 v1, v1, v3, vcc_lo
	v_xor_b32_e32 v1, s2, v1
	s_delay_alu instid0(VALU_DEP_1) | instskip(SKIP_2) | instid1(VALU_DEP_1)
	v_subrev_nc_u32_e32 v2, s2, v1
	s_mul_i32 s2, s16, s22
	s_load_b32 s16, s[4:5], 0x0
	v_mul_lo_u32 v10, v2, s8
	v_mul_lo_u32 v2, v2, s19
	s_lshl_b64 s[18:19], s[2:3], 1
	s_mul_hi_u32 s8, s39, s30
	s_add_u32 s2, s34, s18
	s_addc_u32 s3, s35, s19
	s_add_i32 s8, s8, s9
	s_ashr_i32 s42, s21, 31
	v_sub_nc_u32_e32 v11, v0, v10
	v_ashrrev_i32_e32 v3, 31, v2
	s_add_i32 s8, s8, s14
	s_delay_alu instid0(VALU_DEP_2) | instskip(NEXT) | instid1(VALU_DEP_2)
	v_mul_lo_u32 v8, v11, s21
	v_lshlrev_b64 v[4:5], 1, v[2:3]
	v_mul_lo_u32 v32, s12, v11
	s_delay_alu instid0(VALU_DEP_2) | instskip(NEXT) | instid1(VALU_DEP_4)
	v_add_co_u32 v0, vcc_lo, s2, v4
	v_ashrrev_i32_e32 v9, 31, v8
	s_delay_alu instid0(VALU_DEP_4) | instskip(SKIP_1) | instid1(VALU_DEP_4)
	v_add_co_ci_u32_e32 v2, vcc_lo, s3, v5, vcc_lo
	s_mul_i32 s2, s38, s8
	v_ashrrev_i32_e32 v33, 31, v32
	s_delay_alu instid0(VALU_DEP_3)
	v_lshlrev_b64 v[6:7], 1, v[8:9]
	v_mul_lo_u32 v9, s12, v10
	s_add_i32 s37, s13, s2
	s_and_b32 s2, s21, 7
	s_add_i32 s37, s37, s11
	s_cmp_lg_u32 s2, 0
	v_add_co_u32 v15, vcc_lo, v0, v6
	v_mov_b32_e32 v1, 0
	v_add_co_ci_u32_e32 v16, vcc_lo, v2, v7, vcc_lo
	s_delay_alu instid0(VALU_DEP_3) | instskip(SKIP_3) | instid1(VALU_DEP_2)
	v_and_b32_e32 v0, 15, v15
	v_ashrrev_i32_e32 v10, 31, v9
	s_cselect_b32 s2, -1, 0
	s_mul_i32 s38, s38, s10
	v_cmp_ne_u64_e32 vcc_lo, 0, v[0:1]
	s_or_b32 s2, s2, vcc_lo
	s_delay_alu instid0(SALU_CYCLE_1) | instskip(NEXT) | instid1(SALU_CYCLE_1)
	s_and_saveexec_b32 s3, s2
	s_xor_b32 s43, exec_lo, s3
	s_cbranch_execz .LBB6_201
; %bb.6:
	v_sub_nc_u32_e32 v0, 0, v15
	s_mov_b32 s3, exec_lo
	s_delay_alu instid0(VALU_DEP_1) | instskip(NEXT) | instid1(VALU_DEP_1)
	v_bfe_u32 v0, v0, 1, 3
	v_min_i32_e32 v11, s21, v0
	s_delay_alu instid0(VALU_DEP_1)
	v_cmpx_lt_i32_e32 0, v11
	s_cbranch_execz .LBB6_27
; %bb.7:
	s_add_u32 s2, s39, -1
	s_addc_u32 s4, s41, -1
	s_mul_hi_u32 s5, s30, s2
	s_mul_i32 s4, s30, s4
	s_mul_i32 s6, s30, s2
	s_add_i32 s4, s5, s4
	s_mul_i32 s2, s31, s2
	s_mul_i32 s5, s6, s27
	s_mul_hi_u32 s7, s6, s26
	s_add_i32 s2, s4, s2
	s_add_i32 s4, s7, s5
	s_mul_i32 s2, s2, s26
	s_mul_i32 s6, s6, s26
	s_add_i32 s4, s4, s2
	s_add_u32 s2, s24, s6
	s_addc_u32 s4, s25, s4
	v_mad_u64_u32 v[0:1], null, s2, s40, v[9:10]
	s_mul_i32 s2, s2, s42
	s_mul_i32 s4, s4, s40
	v_dual_mov_b32 v12, v15 :: v_dual_mov_b32 v13, v16
	v_mov_b32_e32 v14, v11
	s_delay_alu instid0(VALU_DEP_3) | instskip(NEXT) | instid1(VALU_DEP_4)
	v_add3_u32 v2, s2, s4, v1
	v_add_co_u32 v0, vcc_lo, v0, v32
	v_mov_b32_e32 v1, 0
	s_mov_b32 s4, 0
	s_delay_alu instid0(VALU_DEP_3) | instskip(NEXT) | instid1(VALU_DEP_3)
	v_add_co_ci_u32_e32 v3, vcc_lo, v2, v33, vcc_lo
	v_add_co_u32 v2, vcc_lo, s28, v0
	s_delay_alu instid0(VALU_DEP_2)
	v_add_co_ci_u32_e32 v3, vcc_lo, s29, v3, vcc_lo
	s_branch .LBB6_9
.LBB6_8:                                ;   in Loop: Header=BB6_9 Depth=1
	s_or_b32 exec_lo, exec_lo, s2
	v_add_nc_u32_e32 v14, -1, v14
	global_store_b8 v[2:3], v18, off
	v_add_co_u32 v2, vcc_lo, v2, 1
	v_add_co_ci_u32_e32 v3, vcc_lo, 0, v3, vcc_lo
	v_cmp_eq_u32_e32 vcc_lo, 0, v14
	v_add_co_u32 v12, s2, v12, 2
	s_delay_alu instid0(VALU_DEP_1) | instskip(SKIP_1) | instid1(SALU_CYCLE_1)
	v_add_co_ci_u32_e64 v13, s2, 0, v13, s2
	s_or_b32 s4, vcc_lo, s4
	s_and_not1_b32 exec_lo, exec_lo, s4
	s_cbranch_execz .LBB6_27
.LBB6_9:                                ; =>This Inner Loop Header: Depth=1
	global_load_u16 v0, v[12:13], off
	s_mov_b32 s2, exec_lo
	s_waitcnt vmcnt(0)
	v_dual_mov_b32 v23, v1 :: v_dual_lshlrev_b32 v0, 16, v0
	s_waitcnt lgkmcnt(0)
	s_delay_alu instid0(VALU_DEP_1) | instskip(NEXT) | instid1(VALU_DEP_1)
	v_div_scale_f32 v17, null, s16, s16, v0
	v_rcp_f32_e32 v18, v17
	s_waitcnt_depctr 0xfff
	v_fma_f32 v19, -v17, v18, 1.0
	s_delay_alu instid0(VALU_DEP_1) | instskip(SKIP_1) | instid1(VALU_DEP_1)
	v_fmac_f32_e32 v18, v19, v18
	v_div_scale_f32 v19, vcc_lo, v0, s16, v0
	v_mul_f32_e32 v20, v19, v18
	s_delay_alu instid0(VALU_DEP_1) | instskip(NEXT) | instid1(VALU_DEP_1)
	v_fma_f32 v21, -v17, v20, v19
	v_fmac_f32_e32 v20, v21, v18
	s_delay_alu instid0(VALU_DEP_1) | instskip(NEXT) | instid1(VALU_DEP_1)
	v_fma_f32 v17, -v17, v20, v19
	v_div_fmas_f32 v17, v17, v18, v20
	s_delay_alu instid0(VALU_DEP_1) | instskip(NEXT) | instid1(VALU_DEP_1)
	v_div_fixup_f32 v17, v17, s16, v0
	v_lshrrev_b32_e32 v19, 24, v17
	v_and_b32_e32 v22, 0x7f800000, v17
	v_and_b32_e32 v0, 0x7fffff, v17
	s_delay_alu instid0(VALU_DEP_3) | instskip(NEXT) | instid1(VALU_DEP_1)
	v_and_b32_e32 v21, 0x80, v19
	v_or_b32_e32 v18, 0x7e, v21
	s_delay_alu instid0(VALU_DEP_4)
	v_cmpx_ne_u64_e32 0x7f800000, v[22:23]
	s_xor_b32 s5, exec_lo, s2
	s_cbranch_execz .LBB6_25
; %bb.10:                               ;   in Loop: Header=BB6_9 Depth=1
	v_dual_mov_b32 v20, v1 :: v_dual_and_b32 v19, 0x7fffffff, v17
	s_mov_b32 s2, exec_lo
	s_delay_alu instid0(VALU_DEP_1)
	v_cmpx_gt_u64_e32 0x43e00001, v[19:20]
	s_xor_b32 s6, exec_lo, s2
	s_cbranch_execz .LBB6_24
; %bb.11:                               ;   in Loop: Header=BB6_9 Depth=1
	v_mov_b32_e32 v18, 0
	s_mov_b32 s7, exec_lo
	v_cmpx_ne_u32_e32 0, v17
	s_cbranch_execz .LBB6_23
; %bb.12:                               ;   in Loop: Header=BB6_9 Depth=1
	v_bfe_u32 v22, v17, 23, 8
	v_or_b32_e32 v19, 0x800000, v0
	s_delay_alu instid0(VALU_DEP_2) | instskip(SKIP_1) | instid1(VALU_DEP_2)
	v_sub_nc_u32_e32 v17, 0x79, v22
	v_cmp_gt_u32_e32 vcc_lo, 0x7a, v22
	v_cndmask_b32_e32 v17, 0, v17, vcc_lo
	v_cmp_eq_u32_e32 vcc_lo, 0, v22
	v_cndmask_b32_e32 v0, v19, v0, vcc_lo
	s_delay_alu instid0(VALU_DEP_3) | instskip(NEXT) | instid1(VALU_DEP_1)
	v_cndmask_b32_e64 v23, v17, 0x78, vcc_lo
	v_add_nc_u32_e32 v17, 20, v23
	v_add_nc_u32_e32 v19, 19, v23
	s_delay_alu instid0(VALU_DEP_2) | instskip(NEXT) | instid1(VALU_DEP_2)
	v_lshlrev_b64 v[17:18], v17, -1
	v_lshlrev_b64 v[19:20], v19, 1
	s_delay_alu instid0(VALU_DEP_2) | instskip(NEXT) | instid1(VALU_DEP_3)
	v_not_b32_e32 v18, v18
	v_not_b32_e32 v17, v17
	s_delay_alu instid0(VALU_DEP_2) | instskip(NEXT) | instid1(VALU_DEP_2)
	v_and_b32_e32 v25, 0, v18
	v_and_b32_e32 v24, v0, v17
	v_lshrrev_b64 v[17:18], v23, v[0:1]
	s_delay_alu instid0(VALU_DEP_2) | instskip(NEXT) | instid1(VALU_DEP_2)
	v_cmp_eq_u64_e64 s2, v[24:25], v[19:20]
	v_dual_mov_b32 v20, v18 :: v_dual_mov_b32 v19, v17
	s_delay_alu instid0(VALU_DEP_2)
	s_and_saveexec_b32 s8, s2
; %bb.13:                               ;   in Loop: Header=BB6_9 Depth=1
	v_bfe_u32 v0, v17, 20, 1
	s_delay_alu instid0(VALU_DEP_1) | instskip(NEXT) | instid1(VALU_DEP_1)
	v_add_co_u32 v0, s2, v17, v0
	v_add_co_u32 v19, s2, v0, -1
; %bb.14:                               ;   in Loop: Header=BB6_9 Depth=1
	s_or_b32 exec_lo, exec_lo, s8
	v_add_nc_u32_e32 v0, 0xffffff81, v22
	v_lshrrev_b32_e32 v20, 23, v17
	s_mov_b32 s2, exec_lo
	s_delay_alu instid0(VALU_DEP_2) | instskip(NEXT) | instid1(VALU_DEP_1)
	v_cndmask_b32_e64 v0, v0, 0xffffff82, vcc_lo
	v_add3_u32 v20, v23, v0, v20
	v_and_b32_e32 v0, 0xfffff, v19
	s_delay_alu instid0(VALU_DEP_2) | instskip(NEXT) | instid1(VALU_DEP_2)
	v_add_nc_u32_e32 v19, 6, v20
	v_add_co_u32 v17, vcc_lo, v0, v17
	v_add_co_ci_u32_e32 v18, vcc_lo, 0, v18, vcc_lo
                                        ; implicit-def: $vgpr0
	s_delay_alu instid0(VALU_DEP_3)
	v_cmpx_ne_u32_e32 0, v19
	s_xor_b32 s2, exec_lo, s2
; %bb.15:                               ;   in Loop: Header=BB6_9 Depth=1
	s_delay_alu instid0(VALU_DEP_2) | instskip(SKIP_1) | instid1(VALU_DEP_1)
	v_cmp_lt_u64_e32 vcc_lo, 0xffffff, v[17:18]
	v_add_nc_u32_e32 v0, 7, v20
	v_cndmask_b32_e32 v0, v19, v0, vcc_lo
	v_cndmask_b32_e64 v19, 0, 1, vcc_lo
	s_delay_alu instid0(VALU_DEP_1)
	v_lshrrev_b64 v[17:18], v19, v[17:18]
; %bb.16:                               ;   in Loop: Header=BB6_9 Depth=1
	s_and_not1_saveexec_b32 s2, s2
; %bb.17:                               ;   in Loop: Header=BB6_9 Depth=1
	s_delay_alu instid0(VALU_DEP_1)
	v_bfe_u32 v0, v17, 23, 1
; %bb.18:                               ;   in Loop: Header=BB6_9 Depth=1
	s_or_b32 exec_lo, exec_lo, s2
	s_delay_alu instid0(VALU_DEP_2) | instskip(NEXT) | instid1(VALU_DEP_2)
	v_lshrrev_b64 v[17:18], 20, v[17:18]
	v_cmp_gt_i32_e32 vcc_lo, 16, v0
	v_cmp_ne_u32_e64 s2, 0, v0
	s_delay_alu instid0(VALU_DEP_3) | instskip(NEXT) | instid1(VALU_DEP_1)
	v_dual_cndmask_b32 v18, 0, v18 :: v_dual_cndmask_b32 v17, 7, v17
	v_cmp_ne_u64_e32 vcc_lo, 0, v[17:18]
                                        ; implicit-def: $vgpr18
	s_delay_alu instid0(VALU_DEP_3) | instskip(NEXT) | instid1(SALU_CYCLE_1)
	s_or_b32 s2, s2, vcc_lo
	s_and_saveexec_b32 s8, s2
	s_delay_alu instid0(SALU_CYCLE_1)
	s_xor_b32 s2, exec_lo, s8
; %bb.19:                               ;   in Loop: Header=BB6_9 Depth=1
	v_min_i32_e32 v0, 15, v0
	s_delay_alu instid0(VALU_DEP_1) | instskip(NEXT) | instid1(VALU_DEP_1)
	v_lshl_or_b32 v0, v0, 3, v21
                                        ; implicit-def: $vgpr21
	v_and_or_b32 v18, v17, 7, v0
; %bb.20:                               ;   in Loop: Header=BB6_9 Depth=1
	s_and_not1_saveexec_b32 s2, s2
; %bb.21:                               ;   in Loop: Header=BB6_9 Depth=1
	v_mov_b32_e32 v18, v21
; %bb.22:                               ;   in Loop: Header=BB6_9 Depth=1
	s_or_b32 exec_lo, exec_lo, s2
.LBB6_23:                               ;   in Loop: Header=BB6_9 Depth=1
	s_delay_alu instid0(SALU_CYCLE_1)
	s_or_b32 exec_lo, exec_lo, s7
.LBB6_24:                               ;   in Loop: Header=BB6_9 Depth=1
	s_and_not1_saveexec_b32 s2, s6
	s_delay_alu instid0(SALU_CYCLE_1)
	s_or_b32 exec_lo, exec_lo, s2
                                        ; implicit-def: $vgpr19
.LBB6_25:                               ;   in Loop: Header=BB6_9 Depth=1
	s_and_not1_saveexec_b32 s2, s5
	s_cbranch_execz .LBB6_8
; %bb.26:                               ;   in Loop: Header=BB6_9 Depth=1
	v_cmp_eq_u64_e32 vcc_lo, 0, v[0:1]
	v_or_b32_e32 v17, 0x7f, v19
	s_delay_alu instid0(VALU_DEP_1)
	v_cndmask_b32_e32 v18, v17, v18, vcc_lo
	s_branch .LBB6_8
.LBB6_27:
	s_or_b32 exec_lo, exec_lo, s3
	v_sub_nc_u32_e32 v34, s21, v11
	v_ashrrev_i32_e32 v12, 31, v11
	s_mov_b32 s3, exec_lo
	s_delay_alu instid0(VALU_DEP_2) | instskip(NEXT) | instid1(VALU_DEP_2)
	v_ashrrev_i32_e32 v0, 31, v34
	v_lshlrev_b64 v[13:14], 1, v[11:12]
	s_delay_alu instid0(VALU_DEP_2) | instskip(NEXT) | instid1(VALU_DEP_2)
	v_lshrrev_b32_e32 v0, 29, v0
	v_add_co_u32 v15, vcc_lo, v15, v13
	s_delay_alu instid0(VALU_DEP_3) | instskip(NEXT) | instid1(VALU_DEP_3)
	v_add_co_ci_u32_e32 v16, vcc_lo, v16, v14, vcc_lo
	v_add_nc_u32_e32 v0, v34, v0
	s_delay_alu instid0(VALU_DEP_1)
	v_ashrrev_i32_e32 v35, 3, v0
	v_cmpx_lt_i32_e32 7, v34
	s_cbranch_execz .LBB6_174
; %bb.28:
	s_add_u32 s2, s39, -1
	s_addc_u32 s4, s41, -1
	s_mul_hi_u32 s5, s30, s2
	s_mul_i32 s4, s30, s4
	s_mul_i32 s6, s30, s2
	s_add_i32 s4, s5, s4
	s_mul_i32 s2, s31, s2
	s_mul_i32 s5, s6, s27
	s_mul_hi_u32 s7, s6, s26
	s_add_i32 s2, s4, s2
	s_add_i32 s4, s7, s5
	s_mul_i32 s2, s2, s26
	s_mul_i32 s6, s6, s26
	s_add_i32 s4, s4, s2
	s_add_u32 s2, s24, s6
	s_addc_u32 s4, s25, s4
	v_mad_u64_u32 v[0:1], null, s2, s40, v[11:12]
	s_mul_i32 s2, s2, s42
	s_mul_i32 s4, s4, s40
	v_mov_b32_e32 v20, v16
	v_dual_mov_b32 v18, 0 :: v_dual_mov_b32 v19, v15
	v_mov_b32_e32 v36, v35
	s_delay_alu instid0(VALU_DEP_4) | instskip(SKIP_2) | instid1(VALU_DEP_2)
	v_add3_u32 v1, s2, s4, v1
	v_add_co_u32 v0, vcc_lo, v0, v9
	s_mov_b32 s4, 0
	v_add_co_ci_u32_e32 v1, vcc_lo, v1, v10, vcc_lo
	s_delay_alu instid0(VALU_DEP_2) | instskip(NEXT) | instid1(VALU_DEP_2)
	v_add_co_u32 v0, vcc_lo, v0, v32
	v_add_co_ci_u32_e32 v1, vcc_lo, v1, v33, vcc_lo
	s_delay_alu instid0(VALU_DEP_2) | instskip(NEXT) | instid1(VALU_DEP_2)
	v_add_co_u32 v21, vcc_lo, s28, v0
	v_add_co_ci_u32_e32 v22, vcc_lo, s29, v1, vcc_lo
	s_branch .LBB6_30
.LBB6_29:                               ;   in Loop: Header=BB6_30 Depth=1
	s_or_b32 exec_lo, exec_lo, s2
	v_lshlrev_b32_e32 v2, 16, v27
	v_lshlrev_b32_e32 v3, 16, v25
	;; [unrolled: 1-line block ×5, first 2 shown]
	v_and_b32_e32 v2, 0xff0000, v2
	v_perm_b32 v0, v0, v3, 0x4020c0c
	v_and_b32_e32 v3, 0xff, v26
	v_and_b32_e32 v23, 0xff, v23
	;; [unrolled: 1-line block ×3, first 2 shown]
	v_or_b32_e32 v2, v17, v2
	v_and_or_b32 v0, 0xff00, v24, v0
	v_add_nc_u32_e32 v36, -1, v36
	s_delay_alu instid0(VALU_DEP_3) | instskip(NEXT) | instid1(VALU_DEP_3)
	v_or3_b32 v1, v2, v1, v3
	v_or_b32_e32 v0, v0, v23
	s_delay_alu instid0(VALU_DEP_3) | instskip(SKIP_2) | instid1(VALU_DEP_1)
	v_cmp_eq_u32_e32 vcc_lo, 0, v36
	global_store_b64 v[21:22], v[0:1], off
	v_add_co_u32 v21, s2, v21, 8
	v_add_co_ci_u32_e64 v22, s2, 0, v22, s2
	v_add_co_u32 v19, s2, v19, 16
	s_delay_alu instid0(VALU_DEP_1) | instskip(SKIP_1) | instid1(SALU_CYCLE_1)
	v_add_co_ci_u32_e64 v20, s2, 0, v20, s2
	s_or_b32 s4, vcc_lo, s4
	s_and_not1_b32 exec_lo, exec_lo, s4
	s_cbranch_execz .LBB6_174
.LBB6_30:                               ; =>This Inner Loop Header: Depth=1
	global_load_b128 v[0:3], v[19:20], off
	s_mov_b32 s2, exec_lo
	s_waitcnt vmcnt(0)
	v_dual_mov_b32 v28, v18 :: v_dual_lshlrev_b32 v17, 16, v0
	s_waitcnt lgkmcnt(0)
	s_delay_alu instid0(VALU_DEP_1) | instskip(NEXT) | instid1(VALU_DEP_1)
	v_div_scale_f32 v23, null, s16, s16, v17
	v_rcp_f32_e32 v24, v23
	s_waitcnt_depctr 0xfff
	v_fma_f32 v25, -v23, v24, 1.0
	s_delay_alu instid0(VALU_DEP_1) | instskip(SKIP_1) | instid1(VALU_DEP_1)
	v_fmac_f32_e32 v24, v25, v24
	v_div_scale_f32 v25, vcc_lo, v17, s16, v17
	v_mul_f32_e32 v26, v25, v24
	s_delay_alu instid0(VALU_DEP_1) | instskip(NEXT) | instid1(VALU_DEP_1)
	v_fma_f32 v27, -v23, v26, v25
	v_fmac_f32_e32 v26, v27, v24
	s_delay_alu instid0(VALU_DEP_1) | instskip(NEXT) | instid1(VALU_DEP_1)
	v_fma_f32 v23, -v23, v26, v25
	v_div_fmas_f32 v23, v23, v24, v26
	s_delay_alu instid0(VALU_DEP_1) | instskip(NEXT) | instid1(VALU_DEP_1)
	v_div_fixup_f32 v26, v23, s16, v17
	v_and_b32_e32 v27, 0x7f800000, v26
	v_lshrrev_b32_e32 v24, 24, v26
	v_and_b32_e32 v17, 0x7fffff, v26
	s_delay_alu instid0(VALU_DEP_2) | instskip(NEXT) | instid1(VALU_DEP_1)
	v_and_b32_e32 v25, 0x80, v24
	v_or_b32_e32 v23, 0x7e, v25
	v_cmpx_ne_u64_e32 0x7f800000, v[27:28]
	s_xor_b32 s5, exec_lo, s2
	s_cbranch_execz .LBB6_46
; %bb.31:                               ;   in Loop: Header=BB6_30 Depth=1
	v_dual_mov_b32 v28, v18 :: v_dual_and_b32 v27, 0x7fffffff, v26
	s_mov_b32 s2, exec_lo
	s_delay_alu instid0(VALU_DEP_1)
	v_cmpx_gt_u64_e32 0x43e00001, v[27:28]
	s_xor_b32 s6, exec_lo, s2
	s_cbranch_execz .LBB6_45
; %bb.32:                               ;   in Loop: Header=BB6_30 Depth=1
	s_mov_b32 s7, exec_lo
	v_mov_b32_e32 v23, 0
	v_mov_b32_e32 v24, 0
	v_cmpx_ne_u32_e32 0, v26
	s_cbranch_execz .LBB6_44
; %bb.33:                               ;   in Loop: Header=BB6_30 Depth=1
	v_bfe_u32 v28, v26, 23, 8
	v_or_b32_e32 v26, 0x800000, v17
	s_delay_alu instid0(VALU_DEP_2) | instskip(SKIP_1) | instid1(VALU_DEP_2)
	v_sub_nc_u32_e32 v23, 0x79, v28
	v_cmp_gt_u32_e32 vcc_lo, 0x7a, v28
	v_cndmask_b32_e32 v23, 0, v23, vcc_lo
	v_cmp_eq_u32_e32 vcc_lo, 0, v28
	s_delay_alu instid0(VALU_DEP_2) | instskip(SKIP_1) | instid1(VALU_DEP_2)
	v_cndmask_b32_e64 v29, v23, 0x78, vcc_lo
	v_cndmask_b32_e32 v17, v26, v17, vcc_lo
	v_add_nc_u32_e32 v23, 20, v29
	v_add_nc_u32_e32 v26, 19, v29
	s_delay_alu instid0(VALU_DEP_2) | instskip(NEXT) | instid1(VALU_DEP_2)
	v_lshlrev_b64 v[23:24], v23, -1
	v_lshlrev_b64 v[26:27], v26, 1
	s_delay_alu instid0(VALU_DEP_2) | instskip(NEXT) | instid1(VALU_DEP_3)
	v_not_b32_e32 v24, v24
	v_not_b32_e32 v23, v23
	s_delay_alu instid0(VALU_DEP_2) | instskip(NEXT) | instid1(VALU_DEP_2)
	v_and_b32_e32 v31, 0, v24
	v_and_b32_e32 v30, v17, v23
	v_lshrrev_b64 v[23:24], v29, v[17:18]
	s_delay_alu instid0(VALU_DEP_2) | instskip(NEXT) | instid1(VALU_DEP_2)
	v_cmp_eq_u64_e64 s2, v[30:31], v[26:27]
	v_dual_mov_b32 v27, v24 :: v_dual_mov_b32 v26, v23
	s_delay_alu instid0(VALU_DEP_2)
	s_and_saveexec_b32 s8, s2
; %bb.34:                               ;   in Loop: Header=BB6_30 Depth=1
	v_bfe_u32 v17, v23, 20, 1
	s_delay_alu instid0(VALU_DEP_1) | instskip(NEXT) | instid1(VALU_DEP_1)
	v_add_co_u32 v17, s2, v23, v17
	v_add_co_u32 v26, s2, v17, -1
; %bb.35:                               ;   in Loop: Header=BB6_30 Depth=1
	s_or_b32 exec_lo, exec_lo, s8
	v_add_nc_u32_e32 v17, 0xffffff81, v28
	v_lshrrev_b32_e32 v27, 23, v23
	s_mov_b32 s2, exec_lo
	s_delay_alu instid0(VALU_DEP_2) | instskip(NEXT) | instid1(VALU_DEP_1)
	v_cndmask_b32_e64 v17, v17, 0xffffff82, vcc_lo
	v_add3_u32 v27, v29, v17, v27
	v_and_b32_e32 v17, 0xfffff, v26
	s_delay_alu instid0(VALU_DEP_2) | instskip(NEXT) | instid1(VALU_DEP_2)
	v_add_nc_u32_e32 v26, 6, v27
	v_add_co_u32 v23, vcc_lo, v17, v23
	v_add_co_ci_u32_e32 v24, vcc_lo, 0, v24, vcc_lo
                                        ; implicit-def: $vgpr17
	s_delay_alu instid0(VALU_DEP_3)
	v_cmpx_ne_u32_e32 0, v26
	s_xor_b32 s2, exec_lo, s2
; %bb.36:                               ;   in Loop: Header=BB6_30 Depth=1
	s_delay_alu instid0(VALU_DEP_2) | instskip(SKIP_1) | instid1(VALU_DEP_1)
	v_cmp_lt_u64_e32 vcc_lo, 0xffffff, v[23:24]
	v_add_nc_u32_e32 v17, 7, v27
	v_cndmask_b32_e32 v17, v26, v17, vcc_lo
	v_cndmask_b32_e64 v26, 0, 1, vcc_lo
	s_delay_alu instid0(VALU_DEP_1)
	v_lshrrev_b64 v[23:24], v26, v[23:24]
; %bb.37:                               ;   in Loop: Header=BB6_30 Depth=1
	s_and_not1_saveexec_b32 s2, s2
; %bb.38:                               ;   in Loop: Header=BB6_30 Depth=1
	s_delay_alu instid0(VALU_DEP_1)
	v_bfe_u32 v17, v23, 23, 1
; %bb.39:                               ;   in Loop: Header=BB6_30 Depth=1
	s_or_b32 exec_lo, exec_lo, s2
	s_delay_alu instid0(VALU_DEP_2) | instskip(NEXT) | instid1(VALU_DEP_2)
	v_lshrrev_b64 v[23:24], 20, v[23:24]
	v_cmp_gt_i32_e32 vcc_lo, 16, v17
	v_cmp_ne_u32_e64 s2, 0, v17
	s_delay_alu instid0(VALU_DEP_3) | instskip(NEXT) | instid1(VALU_DEP_1)
	v_dual_cndmask_b32 v27, 0, v24 :: v_dual_cndmask_b32 v26, 7, v23
                                        ; implicit-def: $vgpr23_vgpr24
	v_cmp_ne_u64_e32 vcc_lo, 0, v[26:27]
	s_delay_alu instid0(VALU_DEP_3) | instskip(NEXT) | instid1(SALU_CYCLE_1)
	s_or_b32 s2, s2, vcc_lo
	s_and_saveexec_b32 s8, s2
	s_delay_alu instid0(SALU_CYCLE_1)
	s_xor_b32 s2, exec_lo, s8
; %bb.40:                               ;   in Loop: Header=BB6_30 Depth=1
	v_min_i32_e32 v17, 15, v17
	s_delay_alu instid0(VALU_DEP_1) | instskip(NEXT) | instid1(VALU_DEP_1)
	v_lshl_or_b32 v17, v17, 3, v25
                                        ; implicit-def: $vgpr25
	v_and_or_b32 v23, v26, 7, v17
; %bb.41:                               ;   in Loop: Header=BB6_30 Depth=1
	s_and_not1_saveexec_b32 s2, s2
; %bb.42:                               ;   in Loop: Header=BB6_30 Depth=1
	v_dual_mov_b32 v23, v25 :: v_dual_mov_b32 v24, v26
; %bb.43:                               ;   in Loop: Header=BB6_30 Depth=1
	s_or_b32 exec_lo, exec_lo, s2
.LBB6_44:                               ;   in Loop: Header=BB6_30 Depth=1
	s_delay_alu instid0(SALU_CYCLE_1)
	s_or_b32 exec_lo, exec_lo, s7
.LBB6_45:                               ;   in Loop: Header=BB6_30 Depth=1
	s_and_not1_saveexec_b32 s2, s6
	s_delay_alu instid0(SALU_CYCLE_1)
	s_or_b32 exec_lo, exec_lo, s2
                                        ; implicit-def: $vgpr24
.LBB6_46:                               ;   in Loop: Header=BB6_30 Depth=1
	s_and_not1_saveexec_b32 s2, s5
; %bb.47:                               ;   in Loop: Header=BB6_30 Depth=1
	v_cmp_eq_u64_e32 vcc_lo, 0, v[17:18]
	v_or_b32_e32 v24, 0x7f, v24
	s_delay_alu instid0(VALU_DEP_1)
	v_cndmask_b32_e32 v23, v24, v23, vcc_lo
; %bb.48:                               ;   in Loop: Header=BB6_30 Depth=1
	s_or_b32 exec_lo, exec_lo, s2
	v_and_b32_e32 v0, 0xffff0000, v0
	s_mov_b32 s2, exec_lo
	s_delay_alu instid0(VALU_DEP_1) | instskip(NEXT) | instid1(VALU_DEP_1)
	v_div_scale_f32 v17, null, s16, s16, v0
	v_rcp_f32_e32 v24, v17
	s_waitcnt_depctr 0xfff
	v_fma_f32 v25, -v17, v24, 1.0
	s_delay_alu instid0(VALU_DEP_1) | instskip(SKIP_1) | instid1(VALU_DEP_1)
	v_fmac_f32_e32 v24, v25, v24
	v_div_scale_f32 v25, vcc_lo, v0, s16, v0
	v_mul_f32_e32 v26, v25, v24
	s_delay_alu instid0(VALU_DEP_1) | instskip(NEXT) | instid1(VALU_DEP_1)
	v_fma_f32 v27, -v17, v26, v25
	v_fmac_f32_e32 v26, v27, v24
	s_delay_alu instid0(VALU_DEP_1) | instskip(NEXT) | instid1(VALU_DEP_1)
	v_fma_f32 v17, -v17, v26, v25
	v_div_fmas_f32 v17, v17, v24, v26
	s_delay_alu instid0(VALU_DEP_1) | instskip(NEXT) | instid1(VALU_DEP_1)
	v_div_fixup_f32 v26, v17, s16, v0
	v_dual_mov_b32 v28, v18 :: v_dual_and_b32 v17, 0x7fffff, v26
	v_lshrrev_b32_e32 v25, 24, v26
	v_and_b32_e32 v27, 0x7f800000, v26
	s_delay_alu instid0(VALU_DEP_2) | instskip(NEXT) | instid1(VALU_DEP_1)
	v_and_b32_e32 v0, 0x80, v25
	v_or_b32_e32 v24, 0x7e, v0
	s_delay_alu instid0(VALU_DEP_3)
	v_cmpx_ne_u64_e32 0x7f800000, v[27:28]
	s_xor_b32 s5, exec_lo, s2
	s_cbranch_execz .LBB6_64
; %bb.49:                               ;   in Loop: Header=BB6_30 Depth=1
	v_dual_mov_b32 v28, v18 :: v_dual_and_b32 v27, 0x7fffffff, v26
	s_mov_b32 s2, exec_lo
	s_delay_alu instid0(VALU_DEP_1)
	v_cmpx_gt_u64_e32 0x43e00001, v[27:28]
	s_xor_b32 s6, exec_lo, s2
	s_cbranch_execz .LBB6_63
; %bb.50:                               ;   in Loop: Header=BB6_30 Depth=1
	s_mov_b32 s7, exec_lo
	v_mov_b32_e32 v24, 0
	v_mov_b32_e32 v25, 0
	v_cmpx_ne_u32_e32 0, v26
	s_cbranch_execz .LBB6_62
; %bb.51:                               ;   in Loop: Header=BB6_30 Depth=1
	v_bfe_u32 v28, v26, 23, 8
	v_or_b32_e32 v26, 0x800000, v17
	s_delay_alu instid0(VALU_DEP_2) | instskip(SKIP_1) | instid1(VALU_DEP_2)
	v_sub_nc_u32_e32 v24, 0x79, v28
	v_cmp_gt_u32_e32 vcc_lo, 0x7a, v28
	v_cndmask_b32_e32 v24, 0, v24, vcc_lo
	v_cmp_eq_u32_e32 vcc_lo, 0, v28
	v_cndmask_b32_e32 v17, v26, v17, vcc_lo
	s_delay_alu instid0(VALU_DEP_3) | instskip(NEXT) | instid1(VALU_DEP_1)
	v_cndmask_b32_e64 v29, v24, 0x78, vcc_lo
	v_add_nc_u32_e32 v24, 20, v29
	v_add_nc_u32_e32 v26, 19, v29
	s_delay_alu instid0(VALU_DEP_2) | instskip(NEXT) | instid1(VALU_DEP_2)
	v_lshlrev_b64 v[24:25], v24, -1
	v_lshlrev_b64 v[26:27], v26, 1
	s_delay_alu instid0(VALU_DEP_2) | instskip(NEXT) | instid1(VALU_DEP_3)
	v_not_b32_e32 v25, v25
	v_not_b32_e32 v24, v24
	s_delay_alu instid0(VALU_DEP_2) | instskip(NEXT) | instid1(VALU_DEP_2)
	v_and_b32_e32 v31, 0, v25
	v_and_b32_e32 v30, v17, v24
	v_lshrrev_b64 v[24:25], v29, v[17:18]
	s_delay_alu instid0(VALU_DEP_2) | instskip(NEXT) | instid1(VALU_DEP_2)
	v_cmp_eq_u64_e64 s2, v[30:31], v[26:27]
	v_dual_mov_b32 v27, v25 :: v_dual_mov_b32 v26, v24
	s_delay_alu instid0(VALU_DEP_2)
	s_and_saveexec_b32 s8, s2
; %bb.52:                               ;   in Loop: Header=BB6_30 Depth=1
	v_bfe_u32 v17, v24, 20, 1
	s_delay_alu instid0(VALU_DEP_1) | instskip(NEXT) | instid1(VALU_DEP_1)
	v_add_co_u32 v17, s2, v24, v17
	v_add_co_u32 v26, s2, v17, -1
; %bb.53:                               ;   in Loop: Header=BB6_30 Depth=1
	s_or_b32 exec_lo, exec_lo, s8
	v_add_nc_u32_e32 v17, 0xffffff81, v28
	v_lshrrev_b32_e32 v27, 23, v24
	s_mov_b32 s2, exec_lo
	s_delay_alu instid0(VALU_DEP_2) | instskip(NEXT) | instid1(VALU_DEP_1)
	v_cndmask_b32_e64 v17, v17, 0xffffff82, vcc_lo
	v_add3_u32 v27, v29, v17, v27
	v_and_b32_e32 v17, 0xfffff, v26
	s_delay_alu instid0(VALU_DEP_2) | instskip(NEXT) | instid1(VALU_DEP_2)
	v_add_nc_u32_e32 v26, 6, v27
	v_add_co_u32 v24, vcc_lo, v17, v24
	v_add_co_ci_u32_e32 v25, vcc_lo, 0, v25, vcc_lo
                                        ; implicit-def: $vgpr17
	s_delay_alu instid0(VALU_DEP_3)
	v_cmpx_ne_u32_e32 0, v26
	s_xor_b32 s2, exec_lo, s2
; %bb.54:                               ;   in Loop: Header=BB6_30 Depth=1
	s_delay_alu instid0(VALU_DEP_2) | instskip(SKIP_1) | instid1(VALU_DEP_1)
	v_cmp_lt_u64_e32 vcc_lo, 0xffffff, v[24:25]
	v_add_nc_u32_e32 v17, 7, v27
	v_cndmask_b32_e32 v17, v26, v17, vcc_lo
	v_cndmask_b32_e64 v26, 0, 1, vcc_lo
	s_delay_alu instid0(VALU_DEP_1)
	v_lshrrev_b64 v[24:25], v26, v[24:25]
; %bb.55:                               ;   in Loop: Header=BB6_30 Depth=1
	s_and_not1_saveexec_b32 s2, s2
; %bb.56:                               ;   in Loop: Header=BB6_30 Depth=1
	s_delay_alu instid0(VALU_DEP_1)
	v_bfe_u32 v17, v24, 23, 1
; %bb.57:                               ;   in Loop: Header=BB6_30 Depth=1
	s_or_b32 exec_lo, exec_lo, s2
	s_delay_alu instid0(VALU_DEP_2) | instskip(NEXT) | instid1(VALU_DEP_2)
	v_lshrrev_b64 v[24:25], 20, v[24:25]
	v_cmp_gt_i32_e32 vcc_lo, 16, v17
	v_cmp_ne_u32_e64 s2, 0, v17
	s_delay_alu instid0(VALU_DEP_3) | instskip(NEXT) | instid1(VALU_DEP_1)
	v_dual_cndmask_b32 v27, 0, v25 :: v_dual_cndmask_b32 v26, 7, v24
                                        ; implicit-def: $vgpr24_vgpr25
	v_cmp_ne_u64_e32 vcc_lo, 0, v[26:27]
	s_delay_alu instid0(VALU_DEP_3) | instskip(NEXT) | instid1(SALU_CYCLE_1)
	s_or_b32 s2, s2, vcc_lo
	s_and_saveexec_b32 s8, s2
	s_delay_alu instid0(SALU_CYCLE_1)
	s_xor_b32 s2, exec_lo, s8
; %bb.58:                               ;   in Loop: Header=BB6_30 Depth=1
	v_min_i32_e32 v17, 15, v17
	s_delay_alu instid0(VALU_DEP_1) | instskip(NEXT) | instid1(VALU_DEP_1)
	v_lshl_or_b32 v0, v17, 3, v0
	v_and_or_b32 v24, v26, 7, v0
                                        ; implicit-def: $vgpr0
; %bb.59:                               ;   in Loop: Header=BB6_30 Depth=1
	s_and_not1_saveexec_b32 s2, s2
; %bb.60:                               ;   in Loop: Header=BB6_30 Depth=1
	v_dual_mov_b32 v25, v1 :: v_dual_mov_b32 v24, v0
; %bb.61:                               ;   in Loop: Header=BB6_30 Depth=1
	s_or_b32 exec_lo, exec_lo, s2
.LBB6_62:                               ;   in Loop: Header=BB6_30 Depth=1
	s_delay_alu instid0(SALU_CYCLE_1)
	s_or_b32 exec_lo, exec_lo, s7
.LBB6_63:                               ;   in Loop: Header=BB6_30 Depth=1
	s_and_not1_saveexec_b32 s2, s6
	s_delay_alu instid0(SALU_CYCLE_1)
	s_or_b32 exec_lo, exec_lo, s2
                                        ; implicit-def: $vgpr25
.LBB6_64:                               ;   in Loop: Header=BB6_30 Depth=1
	s_and_not1_saveexec_b32 s2, s5
; %bb.65:                               ;   in Loop: Header=BB6_30 Depth=1
	v_cmp_eq_u64_e32 vcc_lo, 0, v[17:18]
	v_or_b32_e32 v0, 0x7f, v25
	s_delay_alu instid0(VALU_DEP_1)
	v_cndmask_b32_e32 v24, v0, v24, vcc_lo
; %bb.66:                               ;   in Loop: Header=BB6_30 Depth=1
	s_or_b32 exec_lo, exec_lo, s2
	v_dual_mov_b32 v29, v18 :: v_dual_lshlrev_b32 v0, 16, v1
	s_mov_b32 s2, exec_lo
	s_delay_alu instid0(VALU_DEP_1) | instskip(NEXT) | instid1(VALU_DEP_1)
	v_div_scale_f32 v17, null, s16, s16, v0
	v_rcp_f32_e32 v25, v17
	s_waitcnt_depctr 0xfff
	v_fma_f32 v26, -v17, v25, 1.0
	s_delay_alu instid0(VALU_DEP_1) | instskip(SKIP_1) | instid1(VALU_DEP_1)
	v_fmac_f32_e32 v25, v26, v25
	v_div_scale_f32 v26, vcc_lo, v0, s16, v0
	v_mul_f32_e32 v27, v26, v25
	s_delay_alu instid0(VALU_DEP_1) | instskip(NEXT) | instid1(VALU_DEP_1)
	v_fma_f32 v28, -v17, v27, v26
	v_fmac_f32_e32 v27, v28, v25
	s_delay_alu instid0(VALU_DEP_1) | instskip(NEXT) | instid1(VALU_DEP_1)
	v_fma_f32 v17, -v17, v27, v26
	v_div_fmas_f32 v17, v17, v25, v27
	s_delay_alu instid0(VALU_DEP_1) | instskip(NEXT) | instid1(VALU_DEP_1)
	v_div_fixup_f32 v27, v17, s16, v0
	v_lshrrev_b32_e32 v26, 24, v27
	v_and_b32_e32 v28, 0x7f800000, v27
	v_and_b32_e32 v17, 0x7fffff, v27
	s_delay_alu instid0(VALU_DEP_3) | instskip(NEXT) | instid1(VALU_DEP_1)
	v_and_b32_e32 v0, 0x80, v26
	v_or_b32_e32 v25, 0x7e, v0
	s_delay_alu instid0(VALU_DEP_4)
	v_cmpx_ne_u64_e32 0x7f800000, v[28:29]
	s_xor_b32 s5, exec_lo, s2
	s_cbranch_execz .LBB6_82
; %bb.67:                               ;   in Loop: Header=BB6_30 Depth=1
	v_dual_mov_b32 v29, v18 :: v_dual_and_b32 v28, 0x7fffffff, v27
	s_mov_b32 s2, exec_lo
	s_delay_alu instid0(VALU_DEP_1)
	v_cmpx_gt_u64_e32 0x43e00001, v[28:29]
	s_xor_b32 s6, exec_lo, s2
	s_cbranch_execz .LBB6_81
; %bb.68:                               ;   in Loop: Header=BB6_30 Depth=1
	s_mov_b32 s7, exec_lo
	v_mov_b32_e32 v25, 0
	v_mov_b32_e32 v26, 0
	v_cmpx_ne_u32_e32 0, v27
	s_cbranch_execz .LBB6_80
; %bb.69:                               ;   in Loop: Header=BB6_30 Depth=1
	v_bfe_u32 v29, v27, 23, 8
	v_or_b32_e32 v27, 0x800000, v17
	s_delay_alu instid0(VALU_DEP_2) | instskip(SKIP_1) | instid1(VALU_DEP_2)
	v_sub_nc_u32_e32 v25, 0x79, v29
	v_cmp_gt_u32_e32 vcc_lo, 0x7a, v29
	v_cndmask_b32_e32 v25, 0, v25, vcc_lo
	v_cmp_eq_u32_e32 vcc_lo, 0, v29
	s_delay_alu instid0(VALU_DEP_2) | instskip(SKIP_1) | instid1(VALU_DEP_2)
	v_cndmask_b32_e64 v30, v25, 0x78, vcc_lo
	v_cndmask_b32_e32 v17, v27, v17, vcc_lo
	v_add_nc_u32_e32 v25, 20, v30
	v_add_nc_u32_e32 v27, 19, v30
	s_delay_alu instid0(VALU_DEP_2) | instskip(NEXT) | instid1(VALU_DEP_2)
	v_lshlrev_b64 v[25:26], v25, -1
	v_lshlrev_b64 v[27:28], v27, 1
	s_delay_alu instid0(VALU_DEP_2) | instskip(NEXT) | instid1(VALU_DEP_3)
	v_not_b32_e32 v26, v26
	v_not_b32_e32 v25, v25
	s_delay_alu instid0(VALU_DEP_2) | instskip(NEXT) | instid1(VALU_DEP_2)
	v_and_b32_e32 v38, 0, v26
	v_and_b32_e32 v37, v17, v25
	v_lshrrev_b64 v[25:26], v30, v[17:18]
	s_delay_alu instid0(VALU_DEP_2) | instskip(NEXT) | instid1(VALU_DEP_2)
	v_cmp_eq_u64_e64 s2, v[37:38], v[27:28]
	v_dual_mov_b32 v28, v26 :: v_dual_mov_b32 v27, v25
	s_delay_alu instid0(VALU_DEP_2)
	s_and_saveexec_b32 s8, s2
; %bb.70:                               ;   in Loop: Header=BB6_30 Depth=1
	v_bfe_u32 v17, v25, 20, 1
	s_delay_alu instid0(VALU_DEP_1) | instskip(NEXT) | instid1(VALU_DEP_1)
	v_add_co_u32 v17, s2, v25, v17
	v_add_co_u32 v27, s2, v17, -1
; %bb.71:                               ;   in Loop: Header=BB6_30 Depth=1
	s_or_b32 exec_lo, exec_lo, s8
	v_add_nc_u32_e32 v17, 0xffffff81, v29
	v_lshrrev_b32_e32 v28, 23, v25
	s_mov_b32 s2, exec_lo
	s_delay_alu instid0(VALU_DEP_2) | instskip(NEXT) | instid1(VALU_DEP_1)
	v_cndmask_b32_e64 v17, v17, 0xffffff82, vcc_lo
	v_add3_u32 v28, v30, v17, v28
	v_and_b32_e32 v17, 0xfffff, v27
	s_delay_alu instid0(VALU_DEP_2) | instskip(NEXT) | instid1(VALU_DEP_2)
	v_add_nc_u32_e32 v27, 6, v28
	v_add_co_u32 v25, vcc_lo, v17, v25
	v_add_co_ci_u32_e32 v26, vcc_lo, 0, v26, vcc_lo
                                        ; implicit-def: $vgpr17
	s_delay_alu instid0(VALU_DEP_3)
	v_cmpx_ne_u32_e32 0, v27
	s_xor_b32 s2, exec_lo, s2
; %bb.72:                               ;   in Loop: Header=BB6_30 Depth=1
	s_delay_alu instid0(VALU_DEP_2) | instskip(SKIP_1) | instid1(VALU_DEP_1)
	v_cmp_lt_u64_e32 vcc_lo, 0xffffff, v[25:26]
	v_add_nc_u32_e32 v17, 7, v28
	v_cndmask_b32_e32 v17, v27, v17, vcc_lo
	v_cndmask_b32_e64 v27, 0, 1, vcc_lo
	s_delay_alu instid0(VALU_DEP_1)
	v_lshrrev_b64 v[25:26], v27, v[25:26]
; %bb.73:                               ;   in Loop: Header=BB6_30 Depth=1
	s_and_not1_saveexec_b32 s2, s2
; %bb.74:                               ;   in Loop: Header=BB6_30 Depth=1
	s_delay_alu instid0(VALU_DEP_1)
	v_bfe_u32 v17, v25, 23, 1
; %bb.75:                               ;   in Loop: Header=BB6_30 Depth=1
	s_or_b32 exec_lo, exec_lo, s2
	s_delay_alu instid0(VALU_DEP_2) | instskip(NEXT) | instid1(VALU_DEP_2)
	v_lshrrev_b64 v[25:26], 20, v[25:26]
	v_cmp_gt_i32_e32 vcc_lo, 16, v17
	v_cmp_ne_u32_e64 s2, 0, v17
	s_delay_alu instid0(VALU_DEP_3) | instskip(NEXT) | instid1(VALU_DEP_1)
	v_dual_cndmask_b32 v28, 0, v26 :: v_dual_cndmask_b32 v27, 7, v25
                                        ; implicit-def: $vgpr25_vgpr26
	v_cmp_ne_u64_e32 vcc_lo, 0, v[27:28]
	s_delay_alu instid0(VALU_DEP_3) | instskip(NEXT) | instid1(SALU_CYCLE_1)
	s_or_b32 s2, s2, vcc_lo
	s_and_saveexec_b32 s8, s2
	s_delay_alu instid0(SALU_CYCLE_1)
	s_xor_b32 s2, exec_lo, s8
; %bb.76:                               ;   in Loop: Header=BB6_30 Depth=1
	v_min_i32_e32 v17, 15, v17
	s_delay_alu instid0(VALU_DEP_1) | instskip(NEXT) | instid1(VALU_DEP_1)
	v_lshl_or_b32 v0, v17, 3, v0
	v_and_or_b32 v25, v27, 7, v0
                                        ; implicit-def: $vgpr0
; %bb.77:                               ;   in Loop: Header=BB6_30 Depth=1
	s_and_not1_saveexec_b32 s2, s2
; %bb.78:                               ;   in Loop: Header=BB6_30 Depth=1
	v_dual_mov_b32 v26, v1 :: v_dual_mov_b32 v25, v0
; %bb.79:                               ;   in Loop: Header=BB6_30 Depth=1
	s_or_b32 exec_lo, exec_lo, s2
.LBB6_80:                               ;   in Loop: Header=BB6_30 Depth=1
	s_delay_alu instid0(SALU_CYCLE_1)
	s_or_b32 exec_lo, exec_lo, s7
.LBB6_81:                               ;   in Loop: Header=BB6_30 Depth=1
	s_and_not1_saveexec_b32 s2, s6
	s_delay_alu instid0(SALU_CYCLE_1)
	s_or_b32 exec_lo, exec_lo, s2
                                        ; implicit-def: $vgpr26
.LBB6_82:                               ;   in Loop: Header=BB6_30 Depth=1
	s_and_not1_saveexec_b32 s2, s5
; %bb.83:                               ;   in Loop: Header=BB6_30 Depth=1
	v_cmp_eq_u64_e32 vcc_lo, 0, v[17:18]
	v_or_b32_e32 v0, 0x7f, v26
	s_delay_alu instid0(VALU_DEP_1)
	v_cndmask_b32_e32 v25, v0, v25, vcc_lo
; %bb.84:                               ;   in Loop: Header=BB6_30 Depth=1
	s_or_b32 exec_lo, exec_lo, s2
	v_dual_mov_b32 v29, v18 :: v_dual_and_b32 v0, 0xffff0000, v1
	s_mov_b32 s2, exec_lo
	s_delay_alu instid0(VALU_DEP_1) | instskip(NEXT) | instid1(VALU_DEP_1)
	v_div_scale_f32 v1, null, s16, s16, v0
	v_rcp_f32_e32 v17, v1
	s_waitcnt_depctr 0xfff
	v_fma_f32 v26, -v1, v17, 1.0
	s_delay_alu instid0(VALU_DEP_1) | instskip(SKIP_1) | instid1(VALU_DEP_1)
	v_fmac_f32_e32 v17, v26, v17
	v_div_scale_f32 v26, vcc_lo, v0, s16, v0
	v_mul_f32_e32 v27, v26, v17
	s_delay_alu instid0(VALU_DEP_1) | instskip(NEXT) | instid1(VALU_DEP_1)
	v_fma_f32 v28, -v1, v27, v26
	v_fmac_f32_e32 v27, v28, v17
	s_delay_alu instid0(VALU_DEP_1) | instskip(NEXT) | instid1(VALU_DEP_1)
	v_fma_f32 v1, -v1, v27, v26
	v_div_fmas_f32 v1, v1, v17, v27
	s_delay_alu instid0(VALU_DEP_1) | instskip(NEXT) | instid1(VALU_DEP_1)
	v_div_fixup_f32 v27, v1, s16, v0
	v_and_b32_e32 v28, 0x7f800000, v27
	v_lshrrev_b32_e32 v1, 24, v27
	v_and_b32_e32 v17, 0x7fffff, v27
	s_delay_alu instid0(VALU_DEP_2) | instskip(NEXT) | instid1(VALU_DEP_1)
	v_and_b32_e32 v26, 0x80, v1
	v_or_b32_e32 v0, 0x7e, v26
	v_cmpx_ne_u64_e32 0x7f800000, v[28:29]
	s_xor_b32 s5, exec_lo, s2
	s_cbranch_execz .LBB6_100
; %bb.85:                               ;   in Loop: Header=BB6_30 Depth=1
	v_dual_mov_b32 v29, v18 :: v_dual_and_b32 v28, 0x7fffffff, v27
	s_mov_b32 s2, exec_lo
	s_delay_alu instid0(VALU_DEP_1)
	v_cmpx_gt_u64_e32 0x43e00001, v[28:29]
	s_xor_b32 s6, exec_lo, s2
	s_cbranch_execz .LBB6_99
; %bb.86:                               ;   in Loop: Header=BB6_30 Depth=1
	s_mov_b32 s7, exec_lo
	v_mov_b32_e32 v0, 0
	v_mov_b32_e32 v1, 0
	v_cmpx_ne_u32_e32 0, v27
	s_cbranch_execz .LBB6_98
; %bb.87:                               ;   in Loop: Header=BB6_30 Depth=1
	v_bfe_u32 v29, v27, 23, 8
	v_or_b32_e32 v27, 0x800000, v17
	s_delay_alu instid0(VALU_DEP_2) | instskip(SKIP_1) | instid1(VALU_DEP_2)
	v_sub_nc_u32_e32 v0, 0x79, v29
	v_cmp_gt_u32_e32 vcc_lo, 0x7a, v29
	v_cndmask_b32_e32 v0, 0, v0, vcc_lo
	v_cmp_eq_u32_e32 vcc_lo, 0, v29
	v_cndmask_b32_e32 v17, v27, v17, vcc_lo
	s_delay_alu instid0(VALU_DEP_3) | instskip(NEXT) | instid1(VALU_DEP_1)
	v_cndmask_b32_e64 v30, v0, 0x78, vcc_lo
	v_add_nc_u32_e32 v0, 20, v30
	v_add_nc_u32_e32 v27, 19, v30
	s_delay_alu instid0(VALU_DEP_2) | instskip(NEXT) | instid1(VALU_DEP_2)
	v_lshlrev_b64 v[0:1], v0, -1
	v_lshlrev_b64 v[27:28], v27, 1
	s_delay_alu instid0(VALU_DEP_2) | instskip(NEXT) | instid1(VALU_DEP_3)
	v_not_b32_e32 v1, v1
	v_not_b32_e32 v0, v0
	s_delay_alu instid0(VALU_DEP_2) | instskip(NEXT) | instid1(VALU_DEP_2)
	v_and_b32_e32 v38, 0, v1
	v_and_b32_e32 v37, v17, v0
	v_lshrrev_b64 v[0:1], v30, v[17:18]
	s_delay_alu instid0(VALU_DEP_2) | instskip(NEXT) | instid1(VALU_DEP_2)
	v_cmp_eq_u64_e64 s2, v[37:38], v[27:28]
	v_dual_mov_b32 v28, v1 :: v_dual_mov_b32 v27, v0
	s_delay_alu instid0(VALU_DEP_2)
	s_and_saveexec_b32 s8, s2
; %bb.88:                               ;   in Loop: Header=BB6_30 Depth=1
	v_bfe_u32 v17, v0, 20, 1
	s_delay_alu instid0(VALU_DEP_1) | instskip(NEXT) | instid1(VALU_DEP_1)
	v_add_co_u32 v17, s2, v0, v17
	v_add_co_u32 v27, s2, v17, -1
; %bb.89:                               ;   in Loop: Header=BB6_30 Depth=1
	s_or_b32 exec_lo, exec_lo, s8
	v_add_nc_u32_e32 v17, 0xffffff81, v29
	v_lshrrev_b32_e32 v28, 23, v0
	s_mov_b32 s2, exec_lo
	s_delay_alu instid0(VALU_DEP_2) | instskip(NEXT) | instid1(VALU_DEP_1)
	v_cndmask_b32_e64 v17, v17, 0xffffff82, vcc_lo
	v_add3_u32 v28, v30, v17, v28
	v_and_b32_e32 v17, 0xfffff, v27
	s_delay_alu instid0(VALU_DEP_2) | instskip(NEXT) | instid1(VALU_DEP_2)
	v_add_nc_u32_e32 v27, 6, v28
	v_add_co_u32 v0, vcc_lo, v17, v0
	v_add_co_ci_u32_e32 v1, vcc_lo, 0, v1, vcc_lo
                                        ; implicit-def: $vgpr17
	s_delay_alu instid0(VALU_DEP_3)
	v_cmpx_ne_u32_e32 0, v27
	s_xor_b32 s2, exec_lo, s2
; %bb.90:                               ;   in Loop: Header=BB6_30 Depth=1
	s_delay_alu instid0(VALU_DEP_2) | instskip(SKIP_1) | instid1(VALU_DEP_1)
	v_cmp_lt_u64_e32 vcc_lo, 0xffffff, v[0:1]
	v_add_nc_u32_e32 v17, 7, v28
	v_cndmask_b32_e32 v17, v27, v17, vcc_lo
	v_cndmask_b32_e64 v27, 0, 1, vcc_lo
	s_delay_alu instid0(VALU_DEP_1)
	v_lshrrev_b64 v[0:1], v27, v[0:1]
; %bb.91:                               ;   in Loop: Header=BB6_30 Depth=1
	s_and_not1_saveexec_b32 s2, s2
; %bb.92:                               ;   in Loop: Header=BB6_30 Depth=1
	s_delay_alu instid0(VALU_DEP_1)
	v_bfe_u32 v17, v0, 23, 1
; %bb.93:                               ;   in Loop: Header=BB6_30 Depth=1
	s_or_b32 exec_lo, exec_lo, s2
	s_delay_alu instid0(VALU_DEP_2) | instskip(NEXT) | instid1(VALU_DEP_2)
	v_lshrrev_b64 v[0:1], 20, v[0:1]
	v_cmp_gt_i32_e32 vcc_lo, 16, v17
	v_cmp_ne_u32_e64 s2, 0, v17
	s_delay_alu instid0(VALU_DEP_3) | instskip(NEXT) | instid1(VALU_DEP_1)
	v_dual_cndmask_b32 v28, 0, v1 :: v_dual_cndmask_b32 v27, 7, v0
                                        ; implicit-def: $vgpr0_vgpr1
	v_cmp_ne_u64_e32 vcc_lo, 0, v[27:28]
	s_delay_alu instid0(VALU_DEP_3) | instskip(NEXT) | instid1(SALU_CYCLE_1)
	s_or_b32 s2, s2, vcc_lo
	s_and_saveexec_b32 s8, s2
	s_delay_alu instid0(SALU_CYCLE_1)
	s_xor_b32 s2, exec_lo, s8
; %bb.94:                               ;   in Loop: Header=BB6_30 Depth=1
	v_min_i32_e32 v0, 15, v17
	s_delay_alu instid0(VALU_DEP_1) | instskip(NEXT) | instid1(VALU_DEP_1)
	v_lshl_or_b32 v0, v0, 3, v26
                                        ; implicit-def: $vgpr26
	v_and_or_b32 v0, v27, 7, v0
; %bb.95:                               ;   in Loop: Header=BB6_30 Depth=1
	s_and_not1_saveexec_b32 s2, s2
; %bb.96:                               ;   in Loop: Header=BB6_30 Depth=1
	v_dual_mov_b32 v0, v26 :: v_dual_mov_b32 v1, v27
; %bb.97:                               ;   in Loop: Header=BB6_30 Depth=1
	s_or_b32 exec_lo, exec_lo, s2
.LBB6_98:                               ;   in Loop: Header=BB6_30 Depth=1
	s_delay_alu instid0(SALU_CYCLE_1)
	s_or_b32 exec_lo, exec_lo, s7
.LBB6_99:                               ;   in Loop: Header=BB6_30 Depth=1
	s_and_not1_saveexec_b32 s2, s6
	s_delay_alu instid0(SALU_CYCLE_1)
	s_or_b32 exec_lo, exec_lo, s2
                                        ; implicit-def: $vgpr1
.LBB6_100:                              ;   in Loop: Header=BB6_30 Depth=1
	s_and_not1_saveexec_b32 s2, s5
; %bb.101:                              ;   in Loop: Header=BB6_30 Depth=1
	v_cmp_eq_u64_e32 vcc_lo, 0, v[17:18]
	v_or_b32_e32 v1, 0x7f, v1
	s_delay_alu instid0(VALU_DEP_1)
	v_cndmask_b32_e32 v0, v1, v0, vcc_lo
; %bb.102:                              ;   in Loop: Header=BB6_30 Depth=1
	s_or_b32 exec_lo, exec_lo, s2
	v_dual_mov_b32 v30, v18 :: v_dual_lshlrev_b32 v1, 16, v2
	s_mov_b32 s2, exec_lo
	s_delay_alu instid0(VALU_DEP_1) | instskip(NEXT) | instid1(VALU_DEP_1)
	v_div_scale_f32 v17, null, s16, s16, v1
	v_rcp_f32_e32 v26, v17
	s_waitcnt_depctr 0xfff
	v_fma_f32 v27, -v17, v26, 1.0
	s_delay_alu instid0(VALU_DEP_1) | instskip(SKIP_1) | instid1(VALU_DEP_1)
	v_fmac_f32_e32 v26, v27, v26
	v_div_scale_f32 v27, vcc_lo, v1, s16, v1
	v_mul_f32_e32 v28, v27, v26
	s_delay_alu instid0(VALU_DEP_1) | instskip(NEXT) | instid1(VALU_DEP_1)
	v_fma_f32 v29, -v17, v28, v27
	v_fmac_f32_e32 v28, v29, v26
	s_delay_alu instid0(VALU_DEP_1) | instskip(NEXT) | instid1(VALU_DEP_1)
	v_fma_f32 v17, -v17, v28, v27
	v_div_fmas_f32 v17, v17, v26, v28
	s_delay_alu instid0(VALU_DEP_1) | instskip(NEXT) | instid1(VALU_DEP_1)
	v_div_fixup_f32 v28, v17, s16, v1
	v_lshrrev_b32_e32 v27, 24, v28
	v_and_b32_e32 v29, 0x7f800000, v28
	v_and_b32_e32 v17, 0x7fffff, v28
	s_delay_alu instid0(VALU_DEP_3) | instskip(NEXT) | instid1(VALU_DEP_1)
	v_and_b32_e32 v1, 0x80, v27
	v_or_b32_e32 v26, 0x7e, v1
	s_delay_alu instid0(VALU_DEP_4)
	v_cmpx_ne_u64_e32 0x7f800000, v[29:30]
	s_xor_b32 s5, exec_lo, s2
	s_cbranch_execz .LBB6_118
; %bb.103:                              ;   in Loop: Header=BB6_30 Depth=1
	v_dual_mov_b32 v30, v18 :: v_dual_and_b32 v29, 0x7fffffff, v28
	s_mov_b32 s2, exec_lo
	s_delay_alu instid0(VALU_DEP_1)
	v_cmpx_gt_u64_e32 0x43e00001, v[29:30]
	s_xor_b32 s6, exec_lo, s2
	s_cbranch_execz .LBB6_117
; %bb.104:                              ;   in Loop: Header=BB6_30 Depth=1
	s_mov_b32 s7, exec_lo
	v_mov_b32_e32 v26, 0
	v_mov_b32_e32 v27, 0
	v_cmpx_ne_u32_e32 0, v28
	s_cbranch_execz .LBB6_116
; %bb.105:                              ;   in Loop: Header=BB6_30 Depth=1
	v_bfe_u32 v30, v28, 23, 8
	v_or_b32_e32 v28, 0x800000, v17
	s_delay_alu instid0(VALU_DEP_2) | instskip(SKIP_1) | instid1(VALU_DEP_2)
	v_sub_nc_u32_e32 v26, 0x79, v30
	v_cmp_gt_u32_e32 vcc_lo, 0x7a, v30
	v_cndmask_b32_e32 v26, 0, v26, vcc_lo
	v_cmp_eq_u32_e32 vcc_lo, 0, v30
	v_cndmask_b32_e32 v17, v28, v17, vcc_lo
	s_delay_alu instid0(VALU_DEP_3) | instskip(NEXT) | instid1(VALU_DEP_1)
	v_cndmask_b32_e64 v31, v26, 0x78, vcc_lo
	v_add_nc_u32_e32 v26, 20, v31
	v_add_nc_u32_e32 v28, 19, v31
	s_delay_alu instid0(VALU_DEP_2) | instskip(NEXT) | instid1(VALU_DEP_2)
	v_lshlrev_b64 v[26:27], v26, -1
	v_lshlrev_b64 v[28:29], v28, 1
	s_delay_alu instid0(VALU_DEP_2) | instskip(NEXT) | instid1(VALU_DEP_3)
	v_not_b32_e32 v27, v27
	v_not_b32_e32 v26, v26
	s_delay_alu instid0(VALU_DEP_2) | instskip(NEXT) | instid1(VALU_DEP_2)
	v_and_b32_e32 v38, 0, v27
	v_and_b32_e32 v37, v17, v26
	v_lshrrev_b64 v[26:27], v31, v[17:18]
	s_delay_alu instid0(VALU_DEP_2) | instskip(NEXT) | instid1(VALU_DEP_2)
	v_cmp_eq_u64_e64 s2, v[37:38], v[28:29]
	v_dual_mov_b32 v29, v27 :: v_dual_mov_b32 v28, v26
	s_delay_alu instid0(VALU_DEP_2)
	s_and_saveexec_b32 s8, s2
; %bb.106:                              ;   in Loop: Header=BB6_30 Depth=1
	v_bfe_u32 v17, v26, 20, 1
	s_delay_alu instid0(VALU_DEP_1) | instskip(NEXT) | instid1(VALU_DEP_1)
	v_add_co_u32 v17, s2, v26, v17
	v_add_co_u32 v28, s2, v17, -1
; %bb.107:                              ;   in Loop: Header=BB6_30 Depth=1
	s_or_b32 exec_lo, exec_lo, s8
	v_add_nc_u32_e32 v17, 0xffffff81, v30
	v_lshrrev_b32_e32 v29, 23, v26
	s_mov_b32 s2, exec_lo
	s_delay_alu instid0(VALU_DEP_2) | instskip(NEXT) | instid1(VALU_DEP_1)
	v_cndmask_b32_e64 v17, v17, 0xffffff82, vcc_lo
	v_add3_u32 v29, v31, v17, v29
	v_and_b32_e32 v17, 0xfffff, v28
	s_delay_alu instid0(VALU_DEP_2) | instskip(NEXT) | instid1(VALU_DEP_2)
	v_add_nc_u32_e32 v28, 6, v29
	v_add_co_u32 v26, vcc_lo, v17, v26
	v_add_co_ci_u32_e32 v27, vcc_lo, 0, v27, vcc_lo
                                        ; implicit-def: $vgpr17
	s_delay_alu instid0(VALU_DEP_3)
	v_cmpx_ne_u32_e32 0, v28
	s_xor_b32 s2, exec_lo, s2
; %bb.108:                              ;   in Loop: Header=BB6_30 Depth=1
	s_delay_alu instid0(VALU_DEP_2) | instskip(SKIP_1) | instid1(VALU_DEP_1)
	v_cmp_lt_u64_e32 vcc_lo, 0xffffff, v[26:27]
	v_add_nc_u32_e32 v17, 7, v29
	v_cndmask_b32_e32 v17, v28, v17, vcc_lo
	v_cndmask_b32_e64 v28, 0, 1, vcc_lo
	s_delay_alu instid0(VALU_DEP_1)
	v_lshrrev_b64 v[26:27], v28, v[26:27]
; %bb.109:                              ;   in Loop: Header=BB6_30 Depth=1
	s_and_not1_saveexec_b32 s2, s2
; %bb.110:                              ;   in Loop: Header=BB6_30 Depth=1
	s_delay_alu instid0(VALU_DEP_1)
	v_bfe_u32 v17, v26, 23, 1
; %bb.111:                              ;   in Loop: Header=BB6_30 Depth=1
	s_or_b32 exec_lo, exec_lo, s2
	s_delay_alu instid0(VALU_DEP_2) | instskip(NEXT) | instid1(VALU_DEP_2)
	v_lshrrev_b64 v[26:27], 20, v[26:27]
	v_cmp_gt_i32_e32 vcc_lo, 16, v17
	v_cmp_ne_u32_e64 s2, 0, v17
	s_delay_alu instid0(VALU_DEP_3) | instskip(NEXT) | instid1(VALU_DEP_1)
	v_dual_cndmask_b32 v29, 0, v27 :: v_dual_cndmask_b32 v28, 7, v26
                                        ; implicit-def: $vgpr26_vgpr27
	v_cmp_ne_u64_e32 vcc_lo, 0, v[28:29]
	s_delay_alu instid0(VALU_DEP_3) | instskip(NEXT) | instid1(SALU_CYCLE_1)
	s_or_b32 s2, s2, vcc_lo
	s_and_saveexec_b32 s8, s2
	s_delay_alu instid0(SALU_CYCLE_1)
	s_xor_b32 s2, exec_lo, s8
; %bb.112:                              ;   in Loop: Header=BB6_30 Depth=1
	v_min_i32_e32 v17, 15, v17
	s_delay_alu instid0(VALU_DEP_1) | instskip(NEXT) | instid1(VALU_DEP_1)
	v_lshl_or_b32 v1, v17, 3, v1
	v_and_or_b32 v26, v28, 7, v1
                                        ; implicit-def: $vgpr1
; %bb.113:                              ;   in Loop: Header=BB6_30 Depth=1
	s_and_not1_saveexec_b32 s2, s2
; %bb.114:                              ;   in Loop: Header=BB6_30 Depth=1
	v_dual_mov_b32 v27, v2 :: v_dual_mov_b32 v26, v1
; %bb.115:                              ;   in Loop: Header=BB6_30 Depth=1
	s_or_b32 exec_lo, exec_lo, s2
.LBB6_116:                              ;   in Loop: Header=BB6_30 Depth=1
	s_delay_alu instid0(SALU_CYCLE_1)
	s_or_b32 exec_lo, exec_lo, s7
.LBB6_117:                              ;   in Loop: Header=BB6_30 Depth=1
	s_and_not1_saveexec_b32 s2, s6
	s_delay_alu instid0(SALU_CYCLE_1)
	s_or_b32 exec_lo, exec_lo, s2
                                        ; implicit-def: $vgpr27
.LBB6_118:                              ;   in Loop: Header=BB6_30 Depth=1
	s_and_not1_saveexec_b32 s2, s5
; %bb.119:                              ;   in Loop: Header=BB6_30 Depth=1
	v_cmp_eq_u64_e32 vcc_lo, 0, v[17:18]
	v_or_b32_e32 v1, 0x7f, v27
	s_delay_alu instid0(VALU_DEP_1)
	v_cndmask_b32_e32 v26, v1, v26, vcc_lo
; %bb.120:                              ;   in Loop: Header=BB6_30 Depth=1
	s_or_b32 exec_lo, exec_lo, s2
	v_and_b32_e32 v1, 0xffff0000, v2
	s_mov_b32 s2, exec_lo
	v_mov_b32_e32 v30, v18
	s_delay_alu instid0(VALU_DEP_2) | instskip(NEXT) | instid1(VALU_DEP_1)
	v_div_scale_f32 v2, null, s16, s16, v1
	v_rcp_f32_e32 v17, v2
	s_waitcnt_depctr 0xfff
	v_fma_f32 v27, -v2, v17, 1.0
	s_delay_alu instid0(VALU_DEP_1) | instskip(SKIP_1) | instid1(VALU_DEP_1)
	v_fmac_f32_e32 v17, v27, v17
	v_div_scale_f32 v27, vcc_lo, v1, s16, v1
	v_mul_f32_e32 v28, v27, v17
	s_delay_alu instid0(VALU_DEP_1) | instskip(NEXT) | instid1(VALU_DEP_1)
	v_fma_f32 v29, -v2, v28, v27
	v_fmac_f32_e32 v28, v29, v17
	s_delay_alu instid0(VALU_DEP_1) | instskip(NEXT) | instid1(VALU_DEP_1)
	v_fma_f32 v2, -v2, v28, v27
	v_div_fmas_f32 v2, v2, v17, v28
	s_delay_alu instid0(VALU_DEP_1) | instskip(NEXT) | instid1(VALU_DEP_1)
	v_div_fixup_f32 v28, v2, s16, v1
	v_lshrrev_b32_e32 v2, 24, v28
	v_and_b32_e32 v29, 0x7f800000, v28
	v_and_b32_e32 v17, 0x7fffff, v28
	s_delay_alu instid0(VALU_DEP_3) | instskip(NEXT) | instid1(VALU_DEP_1)
	v_and_b32_e32 v27, 0x80, v2
	v_or_b32_e32 v1, 0x7e, v27
	s_delay_alu instid0(VALU_DEP_4)
	v_cmpx_ne_u64_e32 0x7f800000, v[29:30]
	s_xor_b32 s5, exec_lo, s2
	s_cbranch_execz .LBB6_136
; %bb.121:                              ;   in Loop: Header=BB6_30 Depth=1
	v_dual_mov_b32 v30, v18 :: v_dual_and_b32 v29, 0x7fffffff, v28
	s_mov_b32 s2, exec_lo
	s_delay_alu instid0(VALU_DEP_1)
	v_cmpx_gt_u64_e32 0x43e00001, v[29:30]
	s_xor_b32 s6, exec_lo, s2
	s_cbranch_execz .LBB6_135
; %bb.122:                              ;   in Loop: Header=BB6_30 Depth=1
	s_mov_b32 s7, exec_lo
	v_mov_b32_e32 v1, 0
	v_mov_b32_e32 v2, 0
	v_cmpx_ne_u32_e32 0, v28
	s_cbranch_execz .LBB6_134
; %bb.123:                              ;   in Loop: Header=BB6_30 Depth=1
	v_bfe_u32 v30, v28, 23, 8
	v_or_b32_e32 v28, 0x800000, v17
	s_delay_alu instid0(VALU_DEP_2) | instskip(SKIP_1) | instid1(VALU_DEP_2)
	v_sub_nc_u32_e32 v1, 0x79, v30
	v_cmp_gt_u32_e32 vcc_lo, 0x7a, v30
	v_cndmask_b32_e32 v1, 0, v1, vcc_lo
	v_cmp_eq_u32_e32 vcc_lo, 0, v30
	s_delay_alu instid0(VALU_DEP_2) | instskip(NEXT) | instid1(VALU_DEP_1)
	v_cndmask_b32_e64 v31, v1, 0x78, vcc_lo
	v_add_nc_u32_e32 v1, 20, v31
	s_delay_alu instid0(VALU_DEP_1) | instskip(NEXT) | instid1(VALU_DEP_1)
	v_lshlrev_b64 v[1:2], v1, -1
	v_not_b32_e32 v2, v2
	v_dual_cndmask_b32 v17, v28, v17 :: v_dual_add_nc_u32 v28, 19, v31
	s_delay_alu instid0(VALU_DEP_3) | instskip(NEXT) | instid1(VALU_DEP_3)
	v_not_b32_e32 v1, v1
	v_and_b32_e32 v38, 0, v2
	s_delay_alu instid0(VALU_DEP_3) | instskip(NEXT) | instid1(VALU_DEP_3)
	v_lshlrev_b64 v[28:29], v28, 1
	v_and_b32_e32 v37, v17, v1
	v_lshrrev_b64 v[1:2], v31, v[17:18]
	s_delay_alu instid0(VALU_DEP_2) | instskip(NEXT) | instid1(VALU_DEP_2)
	v_cmp_eq_u64_e64 s2, v[37:38], v[28:29]
	v_dual_mov_b32 v29, v2 :: v_dual_mov_b32 v28, v1
	s_delay_alu instid0(VALU_DEP_2)
	s_and_saveexec_b32 s8, s2
; %bb.124:                              ;   in Loop: Header=BB6_30 Depth=1
	v_bfe_u32 v17, v1, 20, 1
	s_delay_alu instid0(VALU_DEP_1) | instskip(NEXT) | instid1(VALU_DEP_1)
	v_add_co_u32 v17, s2, v1, v17
	v_add_co_u32 v28, s2, v17, -1
; %bb.125:                              ;   in Loop: Header=BB6_30 Depth=1
	s_or_b32 exec_lo, exec_lo, s8
	v_add_nc_u32_e32 v17, 0xffffff81, v30
	v_lshrrev_b32_e32 v29, 23, v1
	s_mov_b32 s2, exec_lo
	s_delay_alu instid0(VALU_DEP_2) | instskip(NEXT) | instid1(VALU_DEP_1)
	v_cndmask_b32_e64 v17, v17, 0xffffff82, vcc_lo
	v_add3_u32 v29, v31, v17, v29
	v_and_b32_e32 v17, 0xfffff, v28
	s_delay_alu instid0(VALU_DEP_2) | instskip(NEXT) | instid1(VALU_DEP_2)
	v_add_nc_u32_e32 v28, 6, v29
	v_add_co_u32 v1, vcc_lo, v17, v1
	v_add_co_ci_u32_e32 v2, vcc_lo, 0, v2, vcc_lo
                                        ; implicit-def: $vgpr17
	s_delay_alu instid0(VALU_DEP_3)
	v_cmpx_ne_u32_e32 0, v28
	s_xor_b32 s2, exec_lo, s2
; %bb.126:                              ;   in Loop: Header=BB6_30 Depth=1
	s_delay_alu instid0(VALU_DEP_2) | instskip(SKIP_1) | instid1(VALU_DEP_1)
	v_cmp_lt_u64_e32 vcc_lo, 0xffffff, v[1:2]
	v_add_nc_u32_e32 v17, 7, v29
	v_cndmask_b32_e32 v17, v28, v17, vcc_lo
	v_cndmask_b32_e64 v28, 0, 1, vcc_lo
	s_delay_alu instid0(VALU_DEP_1)
	v_lshrrev_b64 v[1:2], v28, v[1:2]
; %bb.127:                              ;   in Loop: Header=BB6_30 Depth=1
	s_and_not1_saveexec_b32 s2, s2
; %bb.128:                              ;   in Loop: Header=BB6_30 Depth=1
	s_delay_alu instid0(VALU_DEP_1)
	v_bfe_u32 v17, v1, 23, 1
; %bb.129:                              ;   in Loop: Header=BB6_30 Depth=1
	s_or_b32 exec_lo, exec_lo, s2
	s_delay_alu instid0(VALU_DEP_2) | instskip(NEXT) | instid1(VALU_DEP_2)
	v_lshrrev_b64 v[1:2], 20, v[1:2]
	v_cmp_gt_i32_e32 vcc_lo, 16, v17
	v_cmp_ne_u32_e64 s2, 0, v17
	s_delay_alu instid0(VALU_DEP_3) | instskip(NEXT) | instid1(VALU_DEP_1)
	v_dual_cndmask_b32 v29, 0, v2 :: v_dual_cndmask_b32 v28, 7, v1
                                        ; implicit-def: $vgpr1_vgpr2
	v_cmp_ne_u64_e32 vcc_lo, 0, v[28:29]
	s_delay_alu instid0(VALU_DEP_3) | instskip(NEXT) | instid1(SALU_CYCLE_1)
	s_or_b32 s2, s2, vcc_lo
	s_and_saveexec_b32 s8, s2
	s_delay_alu instid0(SALU_CYCLE_1)
	s_xor_b32 s2, exec_lo, s8
; %bb.130:                              ;   in Loop: Header=BB6_30 Depth=1
	v_min_i32_e32 v1, 15, v17
	s_delay_alu instid0(VALU_DEP_1) | instskip(NEXT) | instid1(VALU_DEP_1)
	v_lshl_or_b32 v1, v1, 3, v27
                                        ; implicit-def: $vgpr27
	v_and_or_b32 v1, v28, 7, v1
; %bb.131:                              ;   in Loop: Header=BB6_30 Depth=1
	s_and_not1_saveexec_b32 s2, s2
; %bb.132:                              ;   in Loop: Header=BB6_30 Depth=1
	v_dual_mov_b32 v1, v27 :: v_dual_mov_b32 v2, v28
; %bb.133:                              ;   in Loop: Header=BB6_30 Depth=1
	s_or_b32 exec_lo, exec_lo, s2
.LBB6_134:                              ;   in Loop: Header=BB6_30 Depth=1
	s_delay_alu instid0(SALU_CYCLE_1)
	s_or_b32 exec_lo, exec_lo, s7
.LBB6_135:                              ;   in Loop: Header=BB6_30 Depth=1
	s_and_not1_saveexec_b32 s2, s6
	s_delay_alu instid0(SALU_CYCLE_1)
	s_or_b32 exec_lo, exec_lo, s2
                                        ; implicit-def: $vgpr2
.LBB6_136:                              ;   in Loop: Header=BB6_30 Depth=1
	s_and_not1_saveexec_b32 s2, s5
; %bb.137:                              ;   in Loop: Header=BB6_30 Depth=1
	v_cmp_eq_u64_e32 vcc_lo, 0, v[17:18]
	v_or_b32_e32 v2, 0x7f, v2
	s_delay_alu instid0(VALU_DEP_1)
	v_cndmask_b32_e32 v1, v2, v1, vcc_lo
; %bb.138:                              ;   in Loop: Header=BB6_30 Depth=1
	s_or_b32 exec_lo, exec_lo, s2
	v_dual_mov_b32 v31, v18 :: v_dual_lshlrev_b32 v2, 16, v3
	s_mov_b32 s2, exec_lo
	s_delay_alu instid0(VALU_DEP_1) | instskip(NEXT) | instid1(VALU_DEP_1)
	v_div_scale_f32 v17, null, s16, s16, v2
	v_rcp_f32_e32 v27, v17
	s_waitcnt_depctr 0xfff
	v_fma_f32 v28, -v17, v27, 1.0
	s_delay_alu instid0(VALU_DEP_1) | instskip(SKIP_1) | instid1(VALU_DEP_1)
	v_fmac_f32_e32 v27, v28, v27
	v_div_scale_f32 v28, vcc_lo, v2, s16, v2
	v_mul_f32_e32 v29, v28, v27
	s_delay_alu instid0(VALU_DEP_1) | instskip(NEXT) | instid1(VALU_DEP_1)
	v_fma_f32 v30, -v17, v29, v28
	v_fmac_f32_e32 v29, v30, v27
	s_delay_alu instid0(VALU_DEP_1) | instskip(NEXT) | instid1(VALU_DEP_1)
	v_fma_f32 v17, -v17, v29, v28
	v_div_fmas_f32 v17, v17, v27, v29
	s_delay_alu instid0(VALU_DEP_1) | instskip(NEXT) | instid1(VALU_DEP_1)
	v_div_fixup_f32 v29, v17, s16, v2
	v_lshrrev_b32_e32 v28, 24, v29
	v_and_b32_e32 v30, 0x7f800000, v29
	v_and_b32_e32 v17, 0x7fffff, v29
	s_delay_alu instid0(VALU_DEP_3) | instskip(NEXT) | instid1(VALU_DEP_1)
	v_and_b32_e32 v2, 0x80, v28
	v_or_b32_e32 v27, 0x7e, v2
	s_delay_alu instid0(VALU_DEP_4)
	v_cmpx_ne_u64_e32 0x7f800000, v[30:31]
	s_xor_b32 s5, exec_lo, s2
	s_cbranch_execz .LBB6_154
; %bb.139:                              ;   in Loop: Header=BB6_30 Depth=1
	v_dual_mov_b32 v31, v18 :: v_dual_and_b32 v30, 0x7fffffff, v29
	s_mov_b32 s2, exec_lo
	s_delay_alu instid0(VALU_DEP_1)
	v_cmpx_gt_u64_e32 0x43e00001, v[30:31]
	s_xor_b32 s6, exec_lo, s2
	s_cbranch_execz .LBB6_153
; %bb.140:                              ;   in Loop: Header=BB6_30 Depth=1
	s_mov_b32 s7, exec_lo
	v_mov_b32_e32 v27, 0
	v_mov_b32_e32 v28, 0
	v_cmpx_ne_u32_e32 0, v29
	s_cbranch_execz .LBB6_152
; %bb.141:                              ;   in Loop: Header=BB6_30 Depth=1
	v_bfe_u32 v31, v29, 23, 8
	v_or_b32_e32 v29, 0x800000, v17
	s_delay_alu instid0(VALU_DEP_2) | instskip(SKIP_1) | instid1(VALU_DEP_2)
	v_sub_nc_u32_e32 v27, 0x79, v31
	v_cmp_gt_u32_e32 vcc_lo, 0x7a, v31
	v_cndmask_b32_e32 v27, 0, v27, vcc_lo
	v_cmp_eq_u32_e32 vcc_lo, 0, v31
	s_delay_alu instid0(VALU_DEP_2) | instskip(SKIP_1) | instid1(VALU_DEP_2)
	v_cndmask_b32_e64 v37, v27, 0x78, vcc_lo
	v_cndmask_b32_e32 v17, v29, v17, vcc_lo
	v_add_nc_u32_e32 v27, 20, v37
	v_add_nc_u32_e32 v29, 19, v37
	s_delay_alu instid0(VALU_DEP_2) | instskip(NEXT) | instid1(VALU_DEP_2)
	v_lshlrev_b64 v[27:28], v27, -1
	v_lshlrev_b64 v[29:30], v29, 1
	s_delay_alu instid0(VALU_DEP_2) | instskip(NEXT) | instid1(VALU_DEP_3)
	v_not_b32_e32 v28, v28
	v_not_b32_e32 v27, v27
	s_delay_alu instid0(VALU_DEP_2) | instskip(NEXT) | instid1(VALU_DEP_2)
	v_and_b32_e32 v39, 0, v28
	v_and_b32_e32 v38, v17, v27
	v_lshrrev_b64 v[27:28], v37, v[17:18]
	s_delay_alu instid0(VALU_DEP_2) | instskip(NEXT) | instid1(VALU_DEP_2)
	v_cmp_eq_u64_e64 s2, v[38:39], v[29:30]
	v_dual_mov_b32 v30, v28 :: v_dual_mov_b32 v29, v27
	s_delay_alu instid0(VALU_DEP_2)
	s_and_saveexec_b32 s8, s2
; %bb.142:                              ;   in Loop: Header=BB6_30 Depth=1
	v_bfe_u32 v17, v27, 20, 1
	s_delay_alu instid0(VALU_DEP_1) | instskip(NEXT) | instid1(VALU_DEP_1)
	v_add_co_u32 v17, s2, v27, v17
	v_add_co_u32 v29, s2, v17, -1
; %bb.143:                              ;   in Loop: Header=BB6_30 Depth=1
	s_or_b32 exec_lo, exec_lo, s8
	v_add_nc_u32_e32 v17, 0xffffff81, v31
	v_lshrrev_b32_e32 v30, 23, v27
	s_mov_b32 s2, exec_lo
	s_delay_alu instid0(VALU_DEP_2) | instskip(NEXT) | instid1(VALU_DEP_1)
	v_cndmask_b32_e64 v17, v17, 0xffffff82, vcc_lo
	v_add3_u32 v30, v37, v17, v30
	v_and_b32_e32 v17, 0xfffff, v29
	s_delay_alu instid0(VALU_DEP_2) | instskip(NEXT) | instid1(VALU_DEP_2)
	v_add_nc_u32_e32 v29, 6, v30
	v_add_co_u32 v27, vcc_lo, v17, v27
	v_add_co_ci_u32_e32 v28, vcc_lo, 0, v28, vcc_lo
                                        ; implicit-def: $vgpr17
	s_delay_alu instid0(VALU_DEP_3)
	v_cmpx_ne_u32_e32 0, v29
	s_xor_b32 s2, exec_lo, s2
; %bb.144:                              ;   in Loop: Header=BB6_30 Depth=1
	s_delay_alu instid0(VALU_DEP_2) | instskip(SKIP_1) | instid1(VALU_DEP_1)
	v_cmp_lt_u64_e32 vcc_lo, 0xffffff, v[27:28]
	v_add_nc_u32_e32 v17, 7, v30
	v_cndmask_b32_e32 v17, v29, v17, vcc_lo
	v_cndmask_b32_e64 v29, 0, 1, vcc_lo
	s_delay_alu instid0(VALU_DEP_1)
	v_lshrrev_b64 v[27:28], v29, v[27:28]
; %bb.145:                              ;   in Loop: Header=BB6_30 Depth=1
	s_and_not1_saveexec_b32 s2, s2
; %bb.146:                              ;   in Loop: Header=BB6_30 Depth=1
	s_delay_alu instid0(VALU_DEP_1)
	v_bfe_u32 v17, v27, 23, 1
; %bb.147:                              ;   in Loop: Header=BB6_30 Depth=1
	s_or_b32 exec_lo, exec_lo, s2
	s_delay_alu instid0(VALU_DEP_2) | instskip(NEXT) | instid1(VALU_DEP_2)
	v_lshrrev_b64 v[27:28], 20, v[27:28]
	v_cmp_gt_i32_e32 vcc_lo, 16, v17
	v_cmp_ne_u32_e64 s2, 0, v17
	s_delay_alu instid0(VALU_DEP_3) | instskip(NEXT) | instid1(VALU_DEP_1)
	v_dual_cndmask_b32 v30, 0, v28 :: v_dual_cndmask_b32 v29, 7, v27
                                        ; implicit-def: $vgpr27_vgpr28
	v_cmp_ne_u64_e32 vcc_lo, 0, v[29:30]
	s_delay_alu instid0(VALU_DEP_3) | instskip(NEXT) | instid1(SALU_CYCLE_1)
	s_or_b32 s2, s2, vcc_lo
	s_and_saveexec_b32 s8, s2
	s_delay_alu instid0(SALU_CYCLE_1)
	s_xor_b32 s2, exec_lo, s8
; %bb.148:                              ;   in Loop: Header=BB6_30 Depth=1
	v_min_i32_e32 v17, 15, v17
	s_delay_alu instid0(VALU_DEP_1) | instskip(NEXT) | instid1(VALU_DEP_1)
	v_lshl_or_b32 v2, v17, 3, v2
	v_and_or_b32 v27, v29, 7, v2
                                        ; implicit-def: $vgpr2
; %bb.149:                              ;   in Loop: Header=BB6_30 Depth=1
	s_and_not1_saveexec_b32 s2, s2
; %bb.150:                              ;   in Loop: Header=BB6_30 Depth=1
	v_dual_mov_b32 v28, v3 :: v_dual_mov_b32 v27, v2
; %bb.151:                              ;   in Loop: Header=BB6_30 Depth=1
	s_or_b32 exec_lo, exec_lo, s2
.LBB6_152:                              ;   in Loop: Header=BB6_30 Depth=1
	s_delay_alu instid0(SALU_CYCLE_1)
	s_or_b32 exec_lo, exec_lo, s7
.LBB6_153:                              ;   in Loop: Header=BB6_30 Depth=1
	s_and_not1_saveexec_b32 s2, s6
	s_delay_alu instid0(SALU_CYCLE_1)
	s_or_b32 exec_lo, exec_lo, s2
                                        ; implicit-def: $vgpr28
.LBB6_154:                              ;   in Loop: Header=BB6_30 Depth=1
	s_and_not1_saveexec_b32 s2, s5
; %bb.155:                              ;   in Loop: Header=BB6_30 Depth=1
	v_cmp_eq_u64_e32 vcc_lo, 0, v[17:18]
	v_or_b32_e32 v2, 0x7f, v28
	s_delay_alu instid0(VALU_DEP_1)
	v_cndmask_b32_e32 v27, v2, v27, vcc_lo
; %bb.156:                              ;   in Loop: Header=BB6_30 Depth=1
	s_or_b32 exec_lo, exec_lo, s2
	v_and_b32_e32 v2, 0xffff0000, v3
	s_mov_b32 s2, exec_lo
	s_delay_alu instid0(VALU_DEP_1) | instskip(NEXT) | instid1(VALU_DEP_1)
	v_div_scale_f32 v3, null, s16, s16, v2
	v_rcp_f32_e32 v17, v3
	s_waitcnt_depctr 0xfff
	v_fma_f32 v28, -v3, v17, 1.0
	s_delay_alu instid0(VALU_DEP_1) | instskip(SKIP_1) | instid1(VALU_DEP_1)
	v_fmac_f32_e32 v17, v28, v17
	v_div_scale_f32 v28, vcc_lo, v2, s16, v2
	v_mul_f32_e32 v29, v28, v17
	s_delay_alu instid0(VALU_DEP_1) | instskip(NEXT) | instid1(VALU_DEP_1)
	v_fma_f32 v30, -v3, v29, v28
	v_fmac_f32_e32 v29, v30, v17
	s_delay_alu instid0(VALU_DEP_1) | instskip(NEXT) | instid1(VALU_DEP_1)
	v_fma_f32 v3, -v3, v29, v28
	v_div_fmas_f32 v3, v3, v17, v29
	s_delay_alu instid0(VALU_DEP_1) | instskip(NEXT) | instid1(VALU_DEP_1)
	v_div_fixup_f32 v3, v3, s16, v2
	v_and_b32_e32 v30, 0x7f800000, v3
	v_lshrrev_b32_e32 v29, 24, v3
	v_mov_b32_e32 v31, v18
	v_and_b32_e32 v17, 0x7fffff, v3
	s_delay_alu instid0(VALU_DEP_3) | instskip(NEXT) | instid1(VALU_DEP_1)
	v_and_b32_e32 v2, 0x80, v29
	v_or_b32_e32 v28, 0x7e, v2
	s_delay_alu instid0(VALU_DEP_4)
	v_cmpx_ne_u64_e32 0x7f800000, v[30:31]
	s_xor_b32 s5, exec_lo, s2
	s_cbranch_execz .LBB6_172
; %bb.157:                              ;   in Loop: Header=BB6_30 Depth=1
	v_dual_mov_b32 v30, v18 :: v_dual_and_b32 v29, 0x7fffffff, v3
	s_mov_b32 s2, exec_lo
	s_delay_alu instid0(VALU_DEP_1)
	v_cmpx_gt_u64_e32 0x43e00001, v[29:30]
	s_xor_b32 s6, exec_lo, s2
	s_cbranch_execz .LBB6_171
; %bb.158:                              ;   in Loop: Header=BB6_30 Depth=1
	s_mov_b32 s7, exec_lo
	v_mov_b32_e32 v28, 0
	v_mov_b32_e32 v29, 0
	v_cmpx_ne_u32_e32 0, v3
	s_cbranch_execz .LBB6_170
; %bb.159:                              ;   in Loop: Header=BB6_30 Depth=1
	v_bfe_u32 v3, v3, 23, 8
	v_or_b32_e32 v30, 0x800000, v17
	s_delay_alu instid0(VALU_DEP_2) | instskip(SKIP_1) | instid1(VALU_DEP_2)
	v_sub_nc_u32_e32 v28, 0x79, v3
	v_cmp_gt_u32_e32 vcc_lo, 0x7a, v3
	v_cndmask_b32_e32 v28, 0, v28, vcc_lo
	v_cmp_eq_u32_e32 vcc_lo, 0, v3
	v_cndmask_b32_e32 v17, v30, v17, vcc_lo
	s_delay_alu instid0(VALU_DEP_3) | instskip(NEXT) | instid1(VALU_DEP_1)
	v_cndmask_b32_e64 v37, v28, 0x78, vcc_lo
	v_add_nc_u32_e32 v28, 20, v37
	v_add_nc_u32_e32 v30, 19, v37
	s_delay_alu instid0(VALU_DEP_2) | instskip(NEXT) | instid1(VALU_DEP_2)
	v_lshlrev_b64 v[28:29], v28, -1
	v_lshlrev_b64 v[30:31], v30, 1
	s_delay_alu instid0(VALU_DEP_2) | instskip(NEXT) | instid1(VALU_DEP_3)
	v_not_b32_e32 v29, v29
	v_not_b32_e32 v28, v28
	s_delay_alu instid0(VALU_DEP_2) | instskip(NEXT) | instid1(VALU_DEP_2)
	v_and_b32_e32 v39, 0, v29
	v_and_b32_e32 v38, v17, v28
	v_lshrrev_b64 v[28:29], v37, v[17:18]
	s_delay_alu instid0(VALU_DEP_2) | instskip(NEXT) | instid1(VALU_DEP_2)
	v_cmp_eq_u64_e64 s2, v[38:39], v[30:31]
	v_dual_mov_b32 v31, v29 :: v_dual_mov_b32 v30, v28
	s_delay_alu instid0(VALU_DEP_2)
	s_and_saveexec_b32 s8, s2
; %bb.160:                              ;   in Loop: Header=BB6_30 Depth=1
	v_bfe_u32 v17, v28, 20, 1
	s_delay_alu instid0(VALU_DEP_1) | instskip(NEXT) | instid1(VALU_DEP_1)
	v_add_co_u32 v17, s2, v28, v17
	v_add_co_u32 v30, s2, v17, -1
; %bb.161:                              ;   in Loop: Header=BB6_30 Depth=1
	s_or_b32 exec_lo, exec_lo, s8
	v_add_nc_u32_e32 v3, 0xffffff81, v3
	v_lshrrev_b32_e32 v17, 23, v28
	s_mov_b32 s2, exec_lo
	s_delay_alu instid0(VALU_DEP_2) | instskip(NEXT) | instid1(VALU_DEP_1)
	v_cndmask_b32_e64 v3, v3, 0xffffff82, vcc_lo
	v_add3_u32 v17, v37, v3, v17
	v_and_b32_e32 v3, 0xfffff, v30
	s_delay_alu instid0(VALU_DEP_2) | instskip(NEXT) | instid1(VALU_DEP_2)
	v_add_nc_u32_e32 v30, 6, v17
	v_add_co_u32 v28, vcc_lo, v3, v28
	v_add_co_ci_u32_e32 v29, vcc_lo, 0, v29, vcc_lo
                                        ; implicit-def: $vgpr3
	s_delay_alu instid0(VALU_DEP_3)
	v_cmpx_ne_u32_e32 0, v30
	s_xor_b32 s2, exec_lo, s2
; %bb.162:                              ;   in Loop: Header=BB6_30 Depth=1
	s_delay_alu instid0(VALU_DEP_2) | instskip(SKIP_2) | instid1(VALU_DEP_2)
	v_cmp_lt_u64_e32 vcc_lo, 0xffffff, v[28:29]
	v_add_nc_u32_e32 v3, 7, v17
	v_cndmask_b32_e64 v17, 0, 1, vcc_lo
	v_cndmask_b32_e32 v3, v30, v3, vcc_lo
	s_delay_alu instid0(VALU_DEP_2)
	v_lshrrev_b64 v[28:29], v17, v[28:29]
; %bb.163:                              ;   in Loop: Header=BB6_30 Depth=1
	s_and_not1_saveexec_b32 s2, s2
; %bb.164:                              ;   in Loop: Header=BB6_30 Depth=1
	s_delay_alu instid0(VALU_DEP_1)
	v_bfe_u32 v3, v28, 23, 1
; %bb.165:                              ;   in Loop: Header=BB6_30 Depth=1
	s_or_b32 exec_lo, exec_lo, s2
	s_delay_alu instid0(VALU_DEP_2) | instskip(NEXT) | instid1(VALU_DEP_2)
	v_lshrrev_b64 v[28:29], 20, v[28:29]
	v_cmp_gt_i32_e32 vcc_lo, 16, v3
	v_cmp_ne_u32_e64 s2, 0, v3
	s_delay_alu instid0(VALU_DEP_3) | instskip(NEXT) | instid1(VALU_DEP_1)
	v_dual_cndmask_b32 v31, 0, v29 :: v_dual_cndmask_b32 v30, 7, v28
                                        ; implicit-def: $vgpr28_vgpr29
	v_cmp_ne_u64_e32 vcc_lo, 0, v[30:31]
	s_delay_alu instid0(VALU_DEP_3) | instskip(NEXT) | instid1(SALU_CYCLE_1)
	s_or_b32 s2, s2, vcc_lo
	s_and_saveexec_b32 s8, s2
	s_delay_alu instid0(SALU_CYCLE_1)
	s_xor_b32 s2, exec_lo, s8
; %bb.166:                              ;   in Loop: Header=BB6_30 Depth=1
	v_min_i32_e32 v3, 15, v3
	s_delay_alu instid0(VALU_DEP_1) | instskip(NEXT) | instid1(VALU_DEP_1)
	v_lshl_or_b32 v2, v3, 3, v2
	v_and_or_b32 v28, v30, 7, v2
                                        ; implicit-def: $vgpr2
; %bb.167:                              ;   in Loop: Header=BB6_30 Depth=1
	s_and_not1_saveexec_b32 s2, s2
; %bb.168:                              ;   in Loop: Header=BB6_30 Depth=1
	v_dual_mov_b32 v29, v3 :: v_dual_mov_b32 v28, v2
; %bb.169:                              ;   in Loop: Header=BB6_30 Depth=1
	s_or_b32 exec_lo, exec_lo, s2
.LBB6_170:                              ;   in Loop: Header=BB6_30 Depth=1
	s_delay_alu instid0(SALU_CYCLE_1)
	s_or_b32 exec_lo, exec_lo, s7
.LBB6_171:                              ;   in Loop: Header=BB6_30 Depth=1
	s_and_not1_saveexec_b32 s2, s6
	s_delay_alu instid0(SALU_CYCLE_1)
	s_or_b32 exec_lo, exec_lo, s2
                                        ; implicit-def: $vgpr29
.LBB6_172:                              ;   in Loop: Header=BB6_30 Depth=1
	s_and_not1_saveexec_b32 s2, s5
	s_cbranch_execz .LBB6_29
; %bb.173:                              ;   in Loop: Header=BB6_30 Depth=1
	v_cmp_eq_u64_e32 vcc_lo, 0, v[17:18]
	v_or_b32_e32 v2, 0x7f, v29
	s_delay_alu instid0(VALU_DEP_1)
	v_cndmask_b32_e32 v28, v2, v28, vcc_lo
	s_branch .LBB6_29
.LBB6_174:
	s_or_b32 exec_lo, exec_lo, s3
	s_delay_alu instid0(VALU_DEP_2) | instskip(SKIP_1) | instid1(VALU_DEP_1)
	v_lshlrev_b32_e32 v0, 3, v35
	s_mov_b32 s44, exec_lo
	v_cmpx_lt_i32_e64 v0, v34
	s_cbranch_execz .LBB6_200
; %bb.175:
	v_add_nc_u32_e32 v1, v11, v0
	s_mov_b32 s2, -1
	s_mov_b32 s45, exec_lo
	s_delay_alu instid0(VALU_DEP_1) | instskip(NEXT) | instid1(VALU_DEP_1)
	v_sub_nc_u32_e32 v3, s21, v1
	v_cmpx_lt_u32_e32 1, v3
	s_cbranch_execz .LBB6_179
; %bb.176:
	s_add_u32 s2, s28, s38
	s_addc_u32 s3, s29, s37
	v_add_co_u32 v1, vcc_lo, s2, v9
	v_add_co_ci_u32_e32 v2, vcc_lo, s3, v10, vcc_lo
	s_mul_i32 s2, s36, s40
	s_delay_alu instid0(VALU_DEP_2) | instskip(NEXT) | instid1(VALU_DEP_2)
	v_add_co_u32 v1, vcc_lo, v1, v32
	v_add_co_ci_u32_e32 v2, vcc_lo, v2, v33, vcc_lo
	s_mul_i32 s3, s33, s42
	v_and_b32_e32 v19, -2, v3
	s_waitcnt lgkmcnt(0)
	s_mov_b32 s47, s16
	v_mad_u64_u32 v[20:21], null, s33, s40, v[1:2]
	v_dual_mov_b32 v2, 0 :: v_dual_mov_b32 v17, v0
	v_mov_b32_e32 v22, v19
	s_mov_b32 s46, 0
	s_delay_alu instid0(VALU_DEP_3) | instskip(NEXT) | instid1(VALU_DEP_4)
	v_add3_u32 v1, s3, s2, v21
	v_add_co_u32 v20, vcc_lo, v20, v11
	s_delay_alu instid0(VALU_DEP_2)
	v_add_co_ci_u32_e32 v21, vcc_lo, v1, v12, vcc_lo
.LBB6_177:                              ; =>This Inner Loop Header: Depth=1
	v_ashrrev_i32_e32 v18, 31, v17
	v_mov_b32_e32 v30, v2
	v_add_nc_u32_e32 v22, -2, v22
	s_delay_alu instid0(VALU_DEP_3) | instskip(NEXT) | instid1(VALU_DEP_1)
	v_lshlrev_b64 v[23:24], 1, v[17:18]
	v_add_co_u32 v23, vcc_lo, v15, v23
	s_delay_alu instid0(VALU_DEP_2) | instskip(SKIP_4) | instid1(VALU_DEP_2)
	v_add_co_ci_u32_e32 v24, vcc_lo, v16, v24, vcc_lo
	global_load_b32 v1, v[23:24], off
	s_waitcnt vmcnt(0)
	v_and_b32_e32 v23, 0xffff0000, v1
	v_lshlrev_b32_e32 v1, 16, v1
	v_div_scale_f32 v25, null, s47, s47, v23
	s_delay_alu instid0(VALU_DEP_2) | instskip(NEXT) | instid1(VALU_DEP_2)
	v_div_scale_f32 v27, null, s16, s16, v1
	v_rcp_f32_e32 v29, v25
	s_delay_alu instid0(VALU_DEP_1) | instskip(SKIP_3) | instid1(VALU_DEP_2)
	v_rcp_f32_e32 v35, v27
	s_waitcnt_depctr 0xfff
	v_fma_f32 v24, -v25, v29, 1.0
	v_fma_f32 v26, -v27, v35, 1.0
	v_dual_fmac_f32 v29, v24, v29 :: v_dual_mov_b32 v24, v2
	v_div_scale_f32 v31, vcc_lo, v23, s47, v23
	s_delay_alu instid0(VALU_DEP_1) | instskip(NEXT) | instid1(VALU_DEP_1)
	v_dual_fmac_f32 v35, v26, v35 :: v_dual_mul_f32 v38, v31, v29
	v_fma_f32 v26, -v25, v38, v31
	s_delay_alu instid0(VALU_DEP_1) | instskip(SKIP_2) | instid1(VALU_DEP_1)
	v_fmac_f32_e32 v38, v26, v29
	v_mov_b32_e32 v26, v2
	v_div_scale_f32 v37, s2, v1, s16, v1
	v_mul_f32_e32 v39, v37, v35
	s_delay_alu instid0(VALU_DEP_1) | instskip(NEXT) | instid1(VALU_DEP_1)
	v_fma_f32 v28, -v27, v39, v37
	v_fmac_f32_e32 v39, v28, v35
	v_fma_f32 v25, -v25, v38, v31
	v_mov_b32_e32 v28, v2
	s_delay_alu instid0(VALU_DEP_3) | instskip(NEXT) | instid1(VALU_DEP_3)
	v_fma_f32 v27, -v27, v39, v37
	v_div_fmas_f32 v25, v25, v29, v38
	s_mov_b32 vcc_lo, s2
	s_delay_alu instid0(VALU_DEP_2) | instskip(NEXT) | instid1(VALU_DEP_2)
	v_div_fmas_f32 v27, v27, v35, v39
	v_div_fixup_f32 v29, v25, s47, v23
	v_mov_b32_e32 v36, v2
	v_mov_b32_e32 v38, v2
	v_mov_b32_e32 v40, v2
	v_div_fixup_f32 v39, v27, s16, v1
	v_and_b32_e32 v35, 0x7fffffff, v29
	v_and_b32_e32 v25, 0x7f800000, v29
	v_bfe_u32 v41, v29, 23, 8
	v_and_b32_e32 v23, 0x7fffff, v29
	v_bfe_u32 v43, v39, 23, 8
	v_cmp_lt_u64_e64 s6, 0x43e00000, v[35:36]
	v_cmp_ne_u64_e64 s5, 0x7f800000, v[25:26]
	v_cmp_gt_u64_e64 s7, 0x43e00001, v[35:36]
	v_and_b32_e32 v27, 0x7f800000, v39
	v_sub_nc_u32_e32 v26, 0x79, v41
	v_cmp_gt_u32_e64 s15, 0x7a, v41
	v_and_b32_e32 v1, 0x7fffff, v39
	v_cmp_eq_u32_e64 s8, 0, v41
	v_or_b32_e32 v35, 0x800000, v23
	v_cmp_ne_u64_e64 s10, 0x7f800000, v[27:28]
	v_sub_nc_u32_e32 v27, 0x79, v43
	v_cndmask_b32_e64 v26, 0, v26, s15
	s_and_b32 s7, s5, s7
	s_and_b32 s15, s5, s6
	v_cmp_gt_u32_e64 s5, 0x7a, v43
	v_lshrrev_b32_e32 v42, 24, v29
	v_cmp_eq_u32_e32 vcc_lo, 0, v29
	v_cmp_ne_u32_e64 s2, 0, v29
	v_and_b32_e32 v29, 0x7fffffff, v39
	v_cmp_eq_u64_e64 s9, 0, v[23:24]
	v_cmp_eq_u32_e64 s13, 0, v43
	v_or_b32_e32 v28, 0x800000, v1
	v_cndmask_b32_e64 v36, v35, v23, s8
	v_cndmask_b32_e64 v23, 0, v27, s5
	v_cndmask_b32_e64 v50, v26, 0x78, s8
	v_cmp_lt_u64_e64 s11, 0x43e00000, v[29:30]
	v_cmp_gt_u64_e64 s12, 0x43e00001, v[29:30]
	v_cmp_eq_u64_e64 s14, 0, v[1:2]
	v_cndmask_b32_e64 v30, v28, v1, s13
	v_cndmask_b32_e64 v1, v23, 0x78, s13
	v_dual_mov_b32 v31, v2 :: v_dual_add_nc_u32 v24, 0xffffff81, v43
	v_add_nc_u32_e32 v23, 20, v50
	s_delay_alu instid0(VALU_DEP_3) | instskip(SKIP_1) | instid1(VALU_DEP_4)
	v_dual_mov_b32 v37, v2 :: v_dual_add_nc_u32 v26, 20, v1
	v_add_nc_u32_e32 v25, 0xffffff81, v41
	v_cndmask_b32_e64 v51, v24, 0xffffff82, s13
	s_delay_alu instid0(VALU_DEP_4)
	v_lshlrev_b64 v[23:24], v23, -1
	v_lshrrev_b32_e32 v44, 24, v39
	v_lshlrev_b64 v[26:27], v26, -1
	v_cmp_eq_u32_e64 s3, 0, v39
	v_cmp_ne_u32_e64 s4, 0, v39
	v_add_nc_u32_e32 v39, 19, v50
	v_cndmask_b32_e64 v49, v25, 0xffffff82, s8
	v_lshrrev_b64 v[24:25], v50, v[36:37]
	v_add_nc_u32_e32 v37, 19, v1
	v_not_b32_e32 v23, v23
	v_or_b32_e32 v46, 0x7f, v42
	v_and_b32_e32 v47, 0x80, v44
	v_and_b32_e32 v45, 0x80, v42
	v_lshlrev_b64 v[41:42], v39, 1
	v_not_b32_e32 v26, v26
	v_or_b32_e32 v29, 0x7f, v44
	v_lshlrev_b64 v[43:44], v37, 1
	v_and_b32_e32 v37, v36, v23
	v_lshrrev_b64 v[27:28], v1, v[30:31]
	v_bfe_u32 v52, v24, 20, 1
	v_and_b32_e32 v39, v30, v26
	s_and_b32 s8, s10, s12
	s_and_b32 s12, s7, s2
	v_cmp_ne_u64_e64 s2, v[37:38], v[41:42]
	v_lshrrev_b32_e32 v23, 23, v27
	v_bfe_u32 v36, v27, 20, 1
	v_lshrrev_b32_e32 v31, 23, v24
	v_add3_u32 v30, v24, v52, -1
	s_and_b32 s13, s8, s4
	v_cmp_ne_u64_e64 s4, v[39:40], v[43:44]
	s_and_b32 s2, s12, s2
	v_add3_u32 v1, v1, v51, v23
	v_add3_u32 v23, v27, v36, -1
	v_add3_u32 v26, v50, v49, v31
	v_cndmask_b32_e64 v30, v30, v24, s2
	s_and_b32 s2, s13, s4
	v_add_nc_u32_e32 v37, 6, v1
	v_cndmask_b32_e64 v23, v23, v27, s2
	v_add_nc_u32_e32 v31, 6, v26
	v_add_nc_u32_e32 v36, 7, v26
	v_and_b32_e32 v26, 0xfffff, v30
	v_add_nc_u32_e32 v1, 7, v1
	v_and_b32_e32 v30, 0xfffff, v23
	v_cmp_ne_u32_e64 s2, 0, v31
	v_or_b32_e32 v48, 0x7e, v45
	v_add_co_u32 v23, s4, v26, v24
	s_delay_alu instid0(VALU_DEP_1) | instskip(SKIP_1) | instid1(VALU_DEP_1)
	v_add_co_ci_u32_e64 v24, s4, 0, v25, s4
	v_add_co_u32 v25, s4, v30, v27
	v_add_co_ci_u32_e64 v26, s4, 0, v28, s4
	s_delay_alu instid0(VALU_DEP_3) | instskip(SKIP_2) | instid1(VALU_DEP_4)
	v_cmp_lt_u64_e64 s5, 0xffffff, v[23:24]
	v_bfe_u32 v28, v23, 23, 1
	v_cmp_ne_u32_e64 s4, 0, v37
	v_cmp_lt_u64_e64 s6, 0xffffff, v[25:26]
	s_and_b32 s2, s12, s2
	v_bfe_u32 v30, v25, 23, 1
	v_cndmask_b32_e64 v27, v31, v36, s5
	v_or_b32_e32 v35, 0x7e, v47
	s_and_b32 s3, s8, s3
	v_cndmask_b32_e64 v1, v37, v1, s6
	s_delay_alu instid0(VALU_DEP_3) | instskip(SKIP_1) | instid1(SALU_CYCLE_1)
	v_cndmask_b32_e64 v27, v28, v27, s2
	s_and_b32 s2, s2, s5
	v_cndmask_b32_e64 v28, 0, 1, s2
	s_and_b32 s2, s13, s4
	s_and_b32 s4, s10, s11
	v_cndmask_b32_e64 v1, v30, v1, s2
	s_and_b32 s2, s2, s6
	v_lshrrev_b64 v[23:24], v28, v[23:24]
	v_cndmask_b32_e64 v30, 0, 1, s2
	s_or_b32 s2, s15, s9
	s_delay_alu instid0(SALU_CYCLE_1) | instskip(SKIP_1) | instid1(VALU_DEP_2)
	v_cndmask_b32_e64 v31, v46, v48, s2
	s_or_b32 s2, s4, s14
	v_lshrrev_b64 v[25:26], v30, v[25:26]
	v_cndmask_b32_e64 v28, v29, v35, s2
	s_and_b32 s2, s7, vcc_lo
	v_lshrrev_b64 v[23:24], 20, v[23:24]
	v_cndmask_b32_e64 v29, v31, 0, s2
	v_cmp_gt_i32_e64 s2, 16, v27
	v_lshrrev_b64 v[25:26], 20, v[25:26]
	v_cmp_gt_i32_e64 s4, 16, v1
	v_cmp_eq_u32_e32 vcc_lo, 0, v27
	v_min_i32_e32 v27, 15, v27
	v_cndmask_b32_e64 v24, 0, v24, s2
	v_cndmask_b32_e64 v23, 7, v23, s2
	;; [unrolled: 1-line block ×4, first 2 shown]
	v_min_i32_e32 v30, 15, v1
	v_cmp_eq_u32_e64 s2, 0, v1
	v_cmp_eq_u64_e64 s4, 0, v[23:24]
	v_lshl_or_b32 v1, v27, 3, v45
	v_cmp_eq_u64_e64 s5, 0, v[25:26]
	v_lshl_or_b32 v27, v30, 3, v47
	v_cndmask_b32_e64 v24, v28, 0, s3
	s_and_b32 s3, vcc_lo, s4
	v_and_or_b32 v1, v23, 7, v1
	s_delay_alu instid0(VALU_DEP_4)
	s_and_b32 s2, s2, s5
	s_and_b32 vcc_lo, s12, s3
	v_and_or_b32 v23, v25, 7, v27
	v_cndmask_b32_e32 v25, v29, v45, vcc_lo
	s_and_b32 vcc_lo, s13, s2
	s_xor_b32 s4, s3, -1
	v_cndmask_b32_e32 v24, v24, v47, vcc_lo
	s_xor_b32 s2, s2, -1
	s_and_b32 vcc_lo, s12, s4
	v_cndmask_b32_e32 v1, v25, v1, vcc_lo
	s_and_b32 vcc_lo, s13, s2
	v_cndmask_b32_e32 v23, v24, v23, vcc_lo
	v_cmp_eq_u32_e32 vcc_lo, 0, v22
	s_delay_alu instid0(VALU_DEP_3) | instskip(NEXT) | instid1(VALU_DEP_3)
	v_lshlrev_b16 v1, 8, v1
	v_and_b32_e32 v25, 0xff, v23
	v_add_co_u32 v23, s2, v20, v17
	s_delay_alu instid0(VALU_DEP_1) | instskip(NEXT) | instid1(VALU_DEP_3)
	v_add_co_ci_u32_e64 v24, s2, v21, v18, s2
	v_or_b32_e32 v1, v25, v1
	v_add_nc_u32_e32 v17, 2, v17
	s_or_b32 s46, vcc_lo, s46
	global_store_b16 v[23:24], v1, off
	s_and_not1_b32 exec_lo, exec_lo, s46
	s_cbranch_execnz .LBB6_177
; %bb.178:
	s_or_b32 exec_lo, exec_lo, s46
	v_cmp_ne_u32_e32 vcc_lo, v3, v19
	v_add_nc_u32_e32 v0, v0, v19
	s_or_not1_b32 s2, vcc_lo, exec_lo
.LBB6_179:
	s_or_b32 exec_lo, exec_lo, s45
	s_delay_alu instid0(SALU_CYCLE_1)
	s_and_b32 exec_lo, exec_lo, s2
	s_cbranch_execz .LBB6_200
; %bb.180:
	s_add_u32 s2, s39, -1
	s_addc_u32 s3, s41, -1
	s_mul_hi_u32 s4, s30, s2
	s_mul_i32 s3, s30, s3
	v_ashrrev_i32_e32 v1, 31, v0
	s_add_i32 s3, s4, s3
	s_mul_i32 s4, s30, s2
	s_mul_i32 s2, s31, s2
	;; [unrolled: 1-line block ×3, first 2 shown]
	s_mul_hi_u32 s6, s4, s26
	s_add_i32 s2, s3, s2
	s_add_i32 s3, s6, s5
	s_mul_i32 s2, s2, s26
	s_mul_i32 s4, s4, s26
	s_add_i32 s3, s3, s2
	s_add_u32 s2, s24, s4
	v_add_co_u32 v13, vcc_lo, s18, v13
	v_mad_u64_u32 v[2:3], null, s2, s40, v[11:12]
	v_lshlrev_b64 v[11:12], 1, v[0:1]
	s_addc_u32 s3, s25, s3
	v_add_co_ci_u32_e32 v14, vcc_lo, s19, v14, vcc_lo
	s_mul_i32 s3, s3, s40
	s_mul_i32 s2, s2, s42
	s_delay_alu instid0(VALU_DEP_2) | instskip(NEXT) | instid1(VALU_DEP_4)
	v_add_co_u32 v11, vcc_lo, v13, v11
	v_add3_u32 v3, s2, s3, v3
	v_add_co_ci_u32_e32 v12, vcc_lo, v14, v12, vcc_lo
	v_add_co_u32 v2, vcc_lo, v2, v0
	s_delay_alu instid0(VALU_DEP_3) | instskip(SKIP_1) | instid1(VALU_DEP_4)
	v_add_co_ci_u32_e32 v1, vcc_lo, v3, v1, vcc_lo
	v_add_co_u32 v3, vcc_lo, v11, v6
	v_add_co_ci_u32_e32 v11, vcc_lo, v12, v7, vcc_lo
	s_delay_alu instid0(VALU_DEP_4) | instskip(NEXT) | instid1(VALU_DEP_4)
	v_add_co_u32 v2, vcc_lo, v2, v9
	v_add_co_ci_u32_e32 v1, vcc_lo, v1, v10, vcc_lo
	s_delay_alu instid0(VALU_DEP_4) | instskip(NEXT) | instid1(VALU_DEP_4)
	;; [unrolled: 3-line block ×5, first 2 shown]
	v_add_co_u32 v11, vcc_lo, s28, v12
	v_add_co_ci_u32_e32 v12, vcc_lo, s29, v13, vcc_lo
	v_mov_b32_e32 v14, 0
	s_mov_b32 s3, 0
	s_branch .LBB6_182
.LBB6_181:                              ;   in Loop: Header=BB6_182 Depth=1
	s_or_b32 exec_lo, exec_lo, s2
	v_add_nc_u32_e32 v0, 1, v0
	v_add_co_u32 v1, vcc_lo, v1, 2
	v_add_co_ci_u32_e32 v2, vcc_lo, 0, v2, vcc_lo
	global_store_b8 v[11:12], v16, off
	v_cmp_ge_i32_e32 vcc_lo, v0, v34
	v_add_co_u32 v11, s2, v11, 1
	s_delay_alu instid0(VALU_DEP_1) | instskip(SKIP_1) | instid1(SALU_CYCLE_1)
	v_add_co_ci_u32_e64 v12, s2, 0, v12, s2
	s_or_b32 s3, vcc_lo, s3
	s_and_not1_b32 exec_lo, exec_lo, s3
	s_cbranch_execz .LBB6_200
.LBB6_182:                              ; =>This Inner Loop Header: Depth=1
	global_load_u16 v3, v[1:2], off
	s_mov_b32 s2, exec_lo
	v_mov_b32_e32 v19, v14
	s_waitcnt vmcnt(0)
	v_lshlrev_b32_e32 v3, 16, v3
	s_waitcnt lgkmcnt(0)
	s_delay_alu instid0(VALU_DEP_1) | instskip(NEXT) | instid1(VALU_DEP_1)
	v_div_scale_f32 v13, null, s16, s16, v3
	v_rcp_f32_e32 v15, v13
	s_waitcnt_depctr 0xfff
	v_fma_f32 v16, -v13, v15, 1.0
	s_delay_alu instid0(VALU_DEP_1) | instskip(SKIP_1) | instid1(VALU_DEP_1)
	v_fmac_f32_e32 v15, v16, v15
	v_div_scale_f32 v16, vcc_lo, v3, s16, v3
	v_mul_f32_e32 v17, v16, v15
	s_delay_alu instid0(VALU_DEP_1) | instskip(NEXT) | instid1(VALU_DEP_1)
	v_fma_f32 v18, -v13, v17, v16
	v_fmac_f32_e32 v17, v18, v15
	s_delay_alu instid0(VALU_DEP_1) | instskip(NEXT) | instid1(VALU_DEP_1)
	v_fma_f32 v13, -v13, v17, v16
	v_div_fmas_f32 v13, v13, v15, v17
	s_delay_alu instid0(VALU_DEP_1) | instskip(NEXT) | instid1(VALU_DEP_1)
	v_div_fixup_f32 v15, v13, s16, v3
	v_lshrrev_b32_e32 v17, 24, v15
	v_and_b32_e32 v18, 0x7f800000, v15
	v_and_b32_e32 v13, 0x7fffff, v15
	s_delay_alu instid0(VALU_DEP_3) | instskip(NEXT) | instid1(VALU_DEP_1)
	v_and_b32_e32 v3, 0x80, v17
	v_or_b32_e32 v16, 0x7e, v3
	s_delay_alu instid0(VALU_DEP_4)
	v_cmpx_ne_u64_e32 0x7f800000, v[18:19]
	s_xor_b32 s4, exec_lo, s2
	s_cbranch_execz .LBB6_198
; %bb.183:                              ;   in Loop: Header=BB6_182 Depth=1
	v_dual_mov_b32 v18, v14 :: v_dual_and_b32 v17, 0x7fffffff, v15
	s_mov_b32 s2, exec_lo
	s_delay_alu instid0(VALU_DEP_1)
	v_cmpx_gt_u64_e32 0x43e00001, v[17:18]
	s_xor_b32 s5, exec_lo, s2
	s_cbranch_execz .LBB6_197
; %bb.184:                              ;   in Loop: Header=BB6_182 Depth=1
	v_mov_b32_e32 v16, 0
	s_mov_b32 s6, exec_lo
	v_cmpx_ne_u32_e32 0, v15
	s_cbranch_execz .LBB6_196
; %bb.185:                              ;   in Loop: Header=BB6_182 Depth=1
	v_bfe_u32 v19, v15, 23, 8
	v_or_b32_e32 v17, 0x800000, v13
	s_delay_alu instid0(VALU_DEP_2) | instskip(SKIP_1) | instid1(VALU_DEP_2)
	v_sub_nc_u32_e32 v15, 0x79, v19
	v_cmp_gt_u32_e32 vcc_lo, 0x7a, v19
	v_cndmask_b32_e32 v15, 0, v15, vcc_lo
	v_cmp_eq_u32_e32 vcc_lo, 0, v19
	s_delay_alu instid0(VALU_DEP_2) | instskip(SKIP_1) | instid1(VALU_DEP_2)
	v_cndmask_b32_e64 v20, v15, 0x78, vcc_lo
	v_cndmask_b32_e32 v13, v17, v13, vcc_lo
	v_add_nc_u32_e32 v15, 20, v20
	v_add_nc_u32_e32 v17, 19, v20
	s_delay_alu instid0(VALU_DEP_2) | instskip(NEXT) | instid1(VALU_DEP_2)
	v_lshlrev_b64 v[15:16], v15, -1
	v_lshlrev_b64 v[17:18], v17, 1
	s_delay_alu instid0(VALU_DEP_2) | instskip(NEXT) | instid1(VALU_DEP_3)
	v_not_b32_e32 v16, v16
	v_not_b32_e32 v15, v15
	s_delay_alu instid0(VALU_DEP_2) | instskip(NEXT) | instid1(VALU_DEP_2)
	v_and_b32_e32 v22, 0, v16
	v_and_b32_e32 v21, v13, v15
	v_lshrrev_b64 v[15:16], v20, v[13:14]
	s_delay_alu instid0(VALU_DEP_2) | instskip(NEXT) | instid1(VALU_DEP_2)
	v_cmp_eq_u64_e64 s2, v[21:22], v[17:18]
	v_dual_mov_b32 v18, v16 :: v_dual_mov_b32 v17, v15
	s_delay_alu instid0(VALU_DEP_2)
	s_and_saveexec_b32 s7, s2
; %bb.186:                              ;   in Loop: Header=BB6_182 Depth=1
	v_bfe_u32 v13, v15, 20, 1
	s_delay_alu instid0(VALU_DEP_1) | instskip(NEXT) | instid1(VALU_DEP_1)
	v_add_co_u32 v13, s2, v15, v13
	v_add_co_u32 v17, s2, v13, -1
; %bb.187:                              ;   in Loop: Header=BB6_182 Depth=1
	s_or_b32 exec_lo, exec_lo, s7
	v_add_nc_u32_e32 v13, 0xffffff81, v19
	v_lshrrev_b32_e32 v18, 23, v15
	s_mov_b32 s2, exec_lo
	s_delay_alu instid0(VALU_DEP_2) | instskip(NEXT) | instid1(VALU_DEP_1)
	v_cndmask_b32_e64 v13, v13, 0xffffff82, vcc_lo
	v_add3_u32 v18, v20, v13, v18
	v_and_b32_e32 v13, 0xfffff, v17
	s_delay_alu instid0(VALU_DEP_2) | instskip(NEXT) | instid1(VALU_DEP_2)
	v_add_nc_u32_e32 v17, 6, v18
	v_add_co_u32 v15, vcc_lo, v13, v15
	v_add_co_ci_u32_e32 v16, vcc_lo, 0, v16, vcc_lo
                                        ; implicit-def: $vgpr13
	s_delay_alu instid0(VALU_DEP_3)
	v_cmpx_ne_u32_e32 0, v17
	s_xor_b32 s2, exec_lo, s2
; %bb.188:                              ;   in Loop: Header=BB6_182 Depth=1
	s_delay_alu instid0(VALU_DEP_2) | instskip(SKIP_1) | instid1(VALU_DEP_1)
	v_cmp_lt_u64_e32 vcc_lo, 0xffffff, v[15:16]
	v_add_nc_u32_e32 v13, 7, v18
	v_cndmask_b32_e32 v13, v17, v13, vcc_lo
	v_cndmask_b32_e64 v17, 0, 1, vcc_lo
	s_delay_alu instid0(VALU_DEP_1)
	v_lshrrev_b64 v[15:16], v17, v[15:16]
; %bb.189:                              ;   in Loop: Header=BB6_182 Depth=1
	s_and_not1_saveexec_b32 s2, s2
; %bb.190:                              ;   in Loop: Header=BB6_182 Depth=1
	s_delay_alu instid0(VALU_DEP_1)
	v_bfe_u32 v13, v15, 23, 1
; %bb.191:                              ;   in Loop: Header=BB6_182 Depth=1
	s_or_b32 exec_lo, exec_lo, s2
	s_delay_alu instid0(VALU_DEP_2) | instskip(NEXT) | instid1(VALU_DEP_2)
	v_lshrrev_b64 v[15:16], 20, v[15:16]
	v_cmp_gt_i32_e32 vcc_lo, 16, v13
	v_cmp_ne_u32_e64 s2, 0, v13
	s_delay_alu instid0(VALU_DEP_3) | instskip(NEXT) | instid1(VALU_DEP_1)
	v_dual_cndmask_b32 v16, 0, v16 :: v_dual_cndmask_b32 v15, 7, v15
	v_cmp_ne_u64_e32 vcc_lo, 0, v[15:16]
                                        ; implicit-def: $vgpr16
	s_delay_alu instid0(VALU_DEP_3) | instskip(NEXT) | instid1(SALU_CYCLE_1)
	s_or_b32 s2, s2, vcc_lo
	s_and_saveexec_b32 s7, s2
	s_delay_alu instid0(SALU_CYCLE_1)
	s_xor_b32 s2, exec_lo, s7
; %bb.192:                              ;   in Loop: Header=BB6_182 Depth=1
	v_min_i32_e32 v13, 15, v13
	s_delay_alu instid0(VALU_DEP_1) | instskip(NEXT) | instid1(VALU_DEP_1)
	v_lshl_or_b32 v3, v13, 3, v3
	v_and_or_b32 v16, v15, 7, v3
                                        ; implicit-def: $vgpr3
; %bb.193:                              ;   in Loop: Header=BB6_182 Depth=1
	s_and_not1_saveexec_b32 s2, s2
; %bb.194:                              ;   in Loop: Header=BB6_182 Depth=1
	v_mov_b32_e32 v16, v3
; %bb.195:                              ;   in Loop: Header=BB6_182 Depth=1
	s_or_b32 exec_lo, exec_lo, s2
.LBB6_196:                              ;   in Loop: Header=BB6_182 Depth=1
	s_delay_alu instid0(SALU_CYCLE_1)
	s_or_b32 exec_lo, exec_lo, s6
.LBB6_197:                              ;   in Loop: Header=BB6_182 Depth=1
	s_and_not1_saveexec_b32 s2, s5
	s_delay_alu instid0(SALU_CYCLE_1)
	s_or_b32 exec_lo, exec_lo, s2
                                        ; implicit-def: $vgpr17
.LBB6_198:                              ;   in Loop: Header=BB6_182 Depth=1
	s_and_not1_saveexec_b32 s2, s4
	s_cbranch_execz .LBB6_181
; %bb.199:                              ;   in Loop: Header=BB6_182 Depth=1
	v_cmp_eq_u64_e32 vcc_lo, 0, v[13:14]
	v_or_b32_e32 v3, 0x7f, v17
	s_delay_alu instid0(VALU_DEP_1)
	v_cndmask_b32_e32 v16, v3, v16, vcc_lo
	s_branch .LBB6_181
.LBB6_200:
	s_or_b32 exec_lo, exec_lo, s44
                                        ; implicit-def: $vgpr15_vgpr16
                                        ; implicit-def: $vgpr32
                                        ; implicit-def: $vgpr33
.LBB6_201:
	s_and_not1_saveexec_b32 s3, s43
	s_cbranch_execz .LBB6_349
; %bb.202:
	s_ashr_i32 s4, s21, 3
	s_delay_alu instid0(SALU_CYCLE_1)
	s_cmp_lt_i32 s4, 1
	s_cbranch_scc1 .LBB6_349
; %bb.203:
	s_add_u32 s2, s39, -1
	s_addc_u32 s5, s41, -1
	s_mul_hi_u32 s6, s30, s2
	s_mul_i32 s5, s30, s5
	s_mul_i32 s7, s30, s2
	s_add_i32 s5, s6, s5
	s_mul_i32 s2, s31, s2
	s_mul_i32 s6, s7, s27
	s_mul_hi_u32 s8, s7, s26
	s_add_i32 s2, s5, s2
	s_add_i32 s5, s8, s6
	s_mul_i32 s2, s2, s26
	s_mul_i32 s7, s7, s26
	s_add_i32 s5, s5, s2
	s_add_u32 s2, s24, s7
	s_addc_u32 s5, s25, s5
	v_mad_u64_u32 v[0:1], null, s2, s40, v[9:10]
	s_mul_i32 s2, s2, s42
	s_mul_i32 s5, s5, s40
	v_mov_b32_e32 v14, 0
	s_delay_alu instid0(VALU_DEP_2) | instskip(NEXT) | instid1(VALU_DEP_3)
	v_add3_u32 v1, s2, s5, v1
	v_add_co_u32 v0, vcc_lo, v0, v32
	s_delay_alu instid0(VALU_DEP_2) | instskip(NEXT) | instid1(VALU_DEP_2)
	v_add_co_ci_u32_e32 v1, vcc_lo, v1, v33, vcc_lo
	v_add_co_u32 v11, vcc_lo, s28, v0
	s_delay_alu instid0(VALU_DEP_2)
	v_add_co_ci_u32_e32 v12, vcc_lo, s29, v1, vcc_lo
	s_branch .LBB6_205
.LBB6_204:                              ;   in Loop: Header=BB6_205 Depth=1
	s_or_b32 exec_lo, exec_lo, s2
	v_lshlrev_b32_e32 v2, 16, v21
	v_lshlrev_b32_e32 v3, 16, v19
	v_lshlrev_b32_e32 v13, 24, v22
	v_lshlrev_b32_e32 v1, 8, v1
	v_lshlrev_b32_e32 v18, 8, v18
	v_and_b32_e32 v2, 0xff0000, v2
	v_perm_b32 v0, v0, v3, 0x4020c0c
	v_and_b32_e32 v3, 0xff, v20
	v_and_b32_e32 v17, 0xff, v17
	;; [unrolled: 1-line block ×3, first 2 shown]
	v_or_b32_e32 v2, v13, v2
	v_and_or_b32 v0, 0xff00, v18, v0
	s_add_i32 s4, s4, -1
	s_delay_alu instid0(SALU_CYCLE_1) | instskip(NEXT) | instid1(VALU_DEP_2)
	s_cmp_eq_u32 s4, 0
	v_or3_b32 v1, v2, v1, v3
	s_delay_alu instid0(VALU_DEP_2)
	v_or_b32_e32 v0, v0, v17
	global_store_b64 v[11:12], v[0:1], off
	v_add_co_u32 v11, vcc_lo, v11, 8
	v_add_co_ci_u32_e32 v12, vcc_lo, 0, v12, vcc_lo
	v_add_co_u32 v15, vcc_lo, v15, 16
	v_add_co_ci_u32_e32 v16, vcc_lo, 0, v16, vcc_lo
	s_cbranch_scc1 .LBB6_349
.LBB6_205:                              ; =>This Inner Loop Header: Depth=1
	global_load_b128 v[0:3], v[15:16], off
	s_mov_b32 s2, exec_lo
	s_waitcnt vmcnt(0)
	v_dual_mov_b32 v22, v14 :: v_dual_lshlrev_b32 v13, 16, v0
	s_waitcnt lgkmcnt(0)
	s_delay_alu instid0(VALU_DEP_1) | instskip(NEXT) | instid1(VALU_DEP_1)
	v_div_scale_f32 v17, null, s16, s16, v13
	v_rcp_f32_e32 v18, v17
	s_waitcnt_depctr 0xfff
	v_fma_f32 v19, -v17, v18, 1.0
	s_delay_alu instid0(VALU_DEP_1) | instskip(SKIP_1) | instid1(VALU_DEP_1)
	v_fmac_f32_e32 v18, v19, v18
	v_div_scale_f32 v19, vcc_lo, v13, s16, v13
	v_mul_f32_e32 v20, v19, v18
	s_delay_alu instid0(VALU_DEP_1) | instskip(NEXT) | instid1(VALU_DEP_1)
	v_fma_f32 v21, -v17, v20, v19
	v_fmac_f32_e32 v20, v21, v18
	s_delay_alu instid0(VALU_DEP_1) | instskip(NEXT) | instid1(VALU_DEP_1)
	v_fma_f32 v17, -v17, v20, v19
	v_div_fmas_f32 v17, v17, v18, v20
	s_delay_alu instid0(VALU_DEP_1) | instskip(NEXT) | instid1(VALU_DEP_1)
	v_div_fixup_f32 v20, v17, s16, v13
	v_lshrrev_b32_e32 v18, 24, v20
	v_and_b32_e32 v21, 0x7f800000, v20
	v_and_b32_e32 v13, 0x7fffff, v20
	s_delay_alu instid0(VALU_DEP_3) | instskip(NEXT) | instid1(VALU_DEP_1)
	v_and_b32_e32 v19, 0x80, v18
	v_or_b32_e32 v17, 0x7e, v19
	s_delay_alu instid0(VALU_DEP_4)
	v_cmpx_ne_u64_e32 0x7f800000, v[21:22]
	s_xor_b32 s5, exec_lo, s2
	s_cbranch_execz .LBB6_221
; %bb.206:                              ;   in Loop: Header=BB6_205 Depth=1
	v_dual_mov_b32 v22, v14 :: v_dual_and_b32 v21, 0x7fffffff, v20
	s_mov_b32 s2, exec_lo
	s_delay_alu instid0(VALU_DEP_1)
	v_cmpx_gt_u64_e32 0x43e00001, v[21:22]
	s_xor_b32 s6, exec_lo, s2
	s_cbranch_execz .LBB6_220
; %bb.207:                              ;   in Loop: Header=BB6_205 Depth=1
	s_mov_b32 s7, exec_lo
	v_mov_b32_e32 v17, 0
	v_mov_b32_e32 v18, 0
	v_cmpx_ne_u32_e32 0, v20
	s_cbranch_execz .LBB6_219
; %bb.208:                              ;   in Loop: Header=BB6_205 Depth=1
	v_bfe_u32 v22, v20, 23, 8
	v_or_b32_e32 v20, 0x800000, v13
	s_delay_alu instid0(VALU_DEP_2) | instskip(SKIP_1) | instid1(VALU_DEP_2)
	v_sub_nc_u32_e32 v17, 0x79, v22
	v_cmp_gt_u32_e32 vcc_lo, 0x7a, v22
	v_cndmask_b32_e32 v17, 0, v17, vcc_lo
	v_cmp_eq_u32_e32 vcc_lo, 0, v22
	s_delay_alu instid0(VALU_DEP_2) | instskip(SKIP_1) | instid1(VALU_DEP_2)
	v_cndmask_b32_e64 v23, v17, 0x78, vcc_lo
	v_cndmask_b32_e32 v13, v20, v13, vcc_lo
	v_add_nc_u32_e32 v17, 20, v23
	v_add_nc_u32_e32 v20, 19, v23
	s_delay_alu instid0(VALU_DEP_2) | instskip(NEXT) | instid1(VALU_DEP_2)
	v_lshlrev_b64 v[17:18], v17, -1
	v_lshlrev_b64 v[20:21], v20, 1
	s_delay_alu instid0(VALU_DEP_2) | instskip(NEXT) | instid1(VALU_DEP_3)
	v_not_b32_e32 v18, v18
	v_not_b32_e32 v17, v17
	s_delay_alu instid0(VALU_DEP_2) | instskip(NEXT) | instid1(VALU_DEP_2)
	v_and_b32_e32 v25, 0, v18
	v_and_b32_e32 v24, v13, v17
	v_lshrrev_b64 v[17:18], v23, v[13:14]
	s_delay_alu instid0(VALU_DEP_2) | instskip(NEXT) | instid1(VALU_DEP_2)
	v_cmp_eq_u64_e64 s2, v[24:25], v[20:21]
	v_dual_mov_b32 v21, v18 :: v_dual_mov_b32 v20, v17
	s_delay_alu instid0(VALU_DEP_2)
	s_and_saveexec_b32 s8, s2
; %bb.209:                              ;   in Loop: Header=BB6_205 Depth=1
	v_bfe_u32 v13, v17, 20, 1
	s_delay_alu instid0(VALU_DEP_1) | instskip(NEXT) | instid1(VALU_DEP_1)
	v_add_co_u32 v13, s2, v17, v13
	v_add_co_u32 v20, s2, v13, -1
; %bb.210:                              ;   in Loop: Header=BB6_205 Depth=1
	s_or_b32 exec_lo, exec_lo, s8
	v_add_nc_u32_e32 v13, 0xffffff81, v22
	v_lshrrev_b32_e32 v21, 23, v17
	s_mov_b32 s2, exec_lo
	s_delay_alu instid0(VALU_DEP_2) | instskip(NEXT) | instid1(VALU_DEP_1)
	v_cndmask_b32_e64 v13, v13, 0xffffff82, vcc_lo
	v_add3_u32 v21, v23, v13, v21
	v_and_b32_e32 v13, 0xfffff, v20
	s_delay_alu instid0(VALU_DEP_2) | instskip(NEXT) | instid1(VALU_DEP_2)
	v_add_nc_u32_e32 v20, 6, v21
	v_add_co_u32 v17, vcc_lo, v13, v17
	v_add_co_ci_u32_e32 v18, vcc_lo, 0, v18, vcc_lo
                                        ; implicit-def: $vgpr13
	s_delay_alu instid0(VALU_DEP_3)
	v_cmpx_ne_u32_e32 0, v20
	s_xor_b32 s2, exec_lo, s2
; %bb.211:                              ;   in Loop: Header=BB6_205 Depth=1
	s_delay_alu instid0(VALU_DEP_2) | instskip(SKIP_1) | instid1(VALU_DEP_1)
	v_cmp_lt_u64_e32 vcc_lo, 0xffffff, v[17:18]
	v_add_nc_u32_e32 v13, 7, v21
	v_cndmask_b32_e32 v13, v20, v13, vcc_lo
	v_cndmask_b32_e64 v20, 0, 1, vcc_lo
	s_delay_alu instid0(VALU_DEP_1)
	v_lshrrev_b64 v[17:18], v20, v[17:18]
; %bb.212:                              ;   in Loop: Header=BB6_205 Depth=1
	s_and_not1_saveexec_b32 s2, s2
; %bb.213:                              ;   in Loop: Header=BB6_205 Depth=1
	s_delay_alu instid0(VALU_DEP_1)
	v_bfe_u32 v13, v17, 23, 1
; %bb.214:                              ;   in Loop: Header=BB6_205 Depth=1
	s_or_b32 exec_lo, exec_lo, s2
	s_delay_alu instid0(VALU_DEP_2) | instskip(NEXT) | instid1(VALU_DEP_2)
	v_lshrrev_b64 v[17:18], 20, v[17:18]
	v_cmp_gt_i32_e32 vcc_lo, 16, v13
	v_cmp_ne_u32_e64 s2, 0, v13
	s_delay_alu instid0(VALU_DEP_3) | instskip(NEXT) | instid1(VALU_DEP_1)
	v_dual_cndmask_b32 v21, 0, v18 :: v_dual_cndmask_b32 v20, 7, v17
                                        ; implicit-def: $vgpr17_vgpr18
	v_cmp_ne_u64_e32 vcc_lo, 0, v[20:21]
	s_delay_alu instid0(VALU_DEP_3) | instskip(NEXT) | instid1(SALU_CYCLE_1)
	s_or_b32 s2, s2, vcc_lo
	s_and_saveexec_b32 s8, s2
	s_delay_alu instid0(SALU_CYCLE_1)
	s_xor_b32 s2, exec_lo, s8
; %bb.215:                              ;   in Loop: Header=BB6_205 Depth=1
	v_min_i32_e32 v13, 15, v13
	s_delay_alu instid0(VALU_DEP_1) | instskip(NEXT) | instid1(VALU_DEP_1)
	v_lshl_or_b32 v13, v13, 3, v19
                                        ; implicit-def: $vgpr19
	v_and_or_b32 v17, v20, 7, v13
; %bb.216:                              ;   in Loop: Header=BB6_205 Depth=1
	s_and_not1_saveexec_b32 s2, s2
; %bb.217:                              ;   in Loop: Header=BB6_205 Depth=1
	v_dual_mov_b32 v17, v19 :: v_dual_mov_b32 v18, v20
; %bb.218:                              ;   in Loop: Header=BB6_205 Depth=1
	s_or_b32 exec_lo, exec_lo, s2
.LBB6_219:                              ;   in Loop: Header=BB6_205 Depth=1
	s_delay_alu instid0(SALU_CYCLE_1)
	s_or_b32 exec_lo, exec_lo, s7
.LBB6_220:                              ;   in Loop: Header=BB6_205 Depth=1
	s_and_not1_saveexec_b32 s2, s6
	s_delay_alu instid0(SALU_CYCLE_1)
	s_or_b32 exec_lo, exec_lo, s2
                                        ; implicit-def: $vgpr18
.LBB6_221:                              ;   in Loop: Header=BB6_205 Depth=1
	s_and_not1_saveexec_b32 s2, s5
; %bb.222:                              ;   in Loop: Header=BB6_205 Depth=1
	v_cmp_eq_u64_e32 vcc_lo, 0, v[13:14]
	v_or_b32_e32 v18, 0x7f, v18
	s_delay_alu instid0(VALU_DEP_1)
	v_cndmask_b32_e32 v17, v18, v17, vcc_lo
; %bb.223:                              ;   in Loop: Header=BB6_205 Depth=1
	s_or_b32 exec_lo, exec_lo, s2
	v_and_b32_e32 v0, 0xffff0000, v0
	s_mov_b32 s2, exec_lo
	s_delay_alu instid0(VALU_DEP_1) | instskip(NEXT) | instid1(VALU_DEP_1)
	v_div_scale_f32 v13, null, s16, s16, v0
	v_rcp_f32_e32 v18, v13
	s_waitcnt_depctr 0xfff
	v_fma_f32 v19, -v13, v18, 1.0
	s_delay_alu instid0(VALU_DEP_1) | instskip(SKIP_1) | instid1(VALU_DEP_1)
	v_fmac_f32_e32 v18, v19, v18
	v_div_scale_f32 v19, vcc_lo, v0, s16, v0
	v_mul_f32_e32 v20, v19, v18
	s_delay_alu instid0(VALU_DEP_1) | instskip(NEXT) | instid1(VALU_DEP_1)
	v_fma_f32 v21, -v13, v20, v19
	v_fmac_f32_e32 v20, v21, v18
	s_delay_alu instid0(VALU_DEP_1) | instskip(NEXT) | instid1(VALU_DEP_1)
	v_fma_f32 v13, -v13, v20, v19
	v_div_fmas_f32 v13, v13, v18, v20
	s_delay_alu instid0(VALU_DEP_1) | instskip(NEXT) | instid1(VALU_DEP_1)
	v_div_fixup_f32 v20, v13, s16, v0
	v_dual_mov_b32 v22, v14 :: v_dual_and_b32 v13, 0x7fffff, v20
	v_lshrrev_b32_e32 v19, 24, v20
	v_and_b32_e32 v21, 0x7f800000, v20
	s_delay_alu instid0(VALU_DEP_2) | instskip(NEXT) | instid1(VALU_DEP_1)
	v_and_b32_e32 v0, 0x80, v19
	v_or_b32_e32 v18, 0x7e, v0
	s_delay_alu instid0(VALU_DEP_3)
	v_cmpx_ne_u64_e32 0x7f800000, v[21:22]
	s_xor_b32 s5, exec_lo, s2
	s_cbranch_execz .LBB6_239
; %bb.224:                              ;   in Loop: Header=BB6_205 Depth=1
	v_dual_mov_b32 v22, v14 :: v_dual_and_b32 v21, 0x7fffffff, v20
	s_mov_b32 s2, exec_lo
	s_delay_alu instid0(VALU_DEP_1)
	v_cmpx_gt_u64_e32 0x43e00001, v[21:22]
	s_xor_b32 s6, exec_lo, s2
	s_cbranch_execz .LBB6_238
; %bb.225:                              ;   in Loop: Header=BB6_205 Depth=1
	s_mov_b32 s7, exec_lo
	v_mov_b32_e32 v18, 0
	v_mov_b32_e32 v19, 0
	v_cmpx_ne_u32_e32 0, v20
	s_cbranch_execz .LBB6_237
; %bb.226:                              ;   in Loop: Header=BB6_205 Depth=1
	v_bfe_u32 v22, v20, 23, 8
	v_or_b32_e32 v20, 0x800000, v13
	s_delay_alu instid0(VALU_DEP_2) | instskip(SKIP_1) | instid1(VALU_DEP_2)
	v_sub_nc_u32_e32 v18, 0x79, v22
	v_cmp_gt_u32_e32 vcc_lo, 0x7a, v22
	v_cndmask_b32_e32 v18, 0, v18, vcc_lo
	v_cmp_eq_u32_e32 vcc_lo, 0, v22
	v_cndmask_b32_e32 v13, v20, v13, vcc_lo
	s_delay_alu instid0(VALU_DEP_3) | instskip(NEXT) | instid1(VALU_DEP_1)
	v_cndmask_b32_e64 v23, v18, 0x78, vcc_lo
	v_add_nc_u32_e32 v18, 20, v23
	v_add_nc_u32_e32 v20, 19, v23
	s_delay_alu instid0(VALU_DEP_2) | instskip(NEXT) | instid1(VALU_DEP_2)
	v_lshlrev_b64 v[18:19], v18, -1
	v_lshlrev_b64 v[20:21], v20, 1
	s_delay_alu instid0(VALU_DEP_2) | instskip(NEXT) | instid1(VALU_DEP_3)
	v_not_b32_e32 v19, v19
	v_not_b32_e32 v18, v18
	s_delay_alu instid0(VALU_DEP_2) | instskip(NEXT) | instid1(VALU_DEP_2)
	v_and_b32_e32 v25, 0, v19
	v_and_b32_e32 v24, v13, v18
	v_lshrrev_b64 v[18:19], v23, v[13:14]
	s_delay_alu instid0(VALU_DEP_2) | instskip(NEXT) | instid1(VALU_DEP_2)
	v_cmp_eq_u64_e64 s2, v[24:25], v[20:21]
	v_dual_mov_b32 v21, v19 :: v_dual_mov_b32 v20, v18
	s_delay_alu instid0(VALU_DEP_2)
	s_and_saveexec_b32 s8, s2
; %bb.227:                              ;   in Loop: Header=BB6_205 Depth=1
	v_bfe_u32 v13, v18, 20, 1
	s_delay_alu instid0(VALU_DEP_1) | instskip(NEXT) | instid1(VALU_DEP_1)
	v_add_co_u32 v13, s2, v18, v13
	v_add_co_u32 v20, s2, v13, -1
; %bb.228:                              ;   in Loop: Header=BB6_205 Depth=1
	s_or_b32 exec_lo, exec_lo, s8
	v_add_nc_u32_e32 v13, 0xffffff81, v22
	v_lshrrev_b32_e32 v21, 23, v18
	s_mov_b32 s2, exec_lo
	s_delay_alu instid0(VALU_DEP_2) | instskip(NEXT) | instid1(VALU_DEP_1)
	v_cndmask_b32_e64 v13, v13, 0xffffff82, vcc_lo
	v_add3_u32 v21, v23, v13, v21
	v_and_b32_e32 v13, 0xfffff, v20
	s_delay_alu instid0(VALU_DEP_2) | instskip(NEXT) | instid1(VALU_DEP_2)
	v_add_nc_u32_e32 v20, 6, v21
	v_add_co_u32 v18, vcc_lo, v13, v18
	v_add_co_ci_u32_e32 v19, vcc_lo, 0, v19, vcc_lo
                                        ; implicit-def: $vgpr13
	s_delay_alu instid0(VALU_DEP_3)
	v_cmpx_ne_u32_e32 0, v20
	s_xor_b32 s2, exec_lo, s2
; %bb.229:                              ;   in Loop: Header=BB6_205 Depth=1
	s_delay_alu instid0(VALU_DEP_2) | instskip(SKIP_1) | instid1(VALU_DEP_1)
	v_cmp_lt_u64_e32 vcc_lo, 0xffffff, v[18:19]
	v_add_nc_u32_e32 v13, 7, v21
	v_cndmask_b32_e32 v13, v20, v13, vcc_lo
	v_cndmask_b32_e64 v20, 0, 1, vcc_lo
	s_delay_alu instid0(VALU_DEP_1)
	v_lshrrev_b64 v[18:19], v20, v[18:19]
; %bb.230:                              ;   in Loop: Header=BB6_205 Depth=1
	s_and_not1_saveexec_b32 s2, s2
; %bb.231:                              ;   in Loop: Header=BB6_205 Depth=1
	s_delay_alu instid0(VALU_DEP_1)
	v_bfe_u32 v13, v18, 23, 1
; %bb.232:                              ;   in Loop: Header=BB6_205 Depth=1
	s_or_b32 exec_lo, exec_lo, s2
	s_delay_alu instid0(VALU_DEP_2) | instskip(NEXT) | instid1(VALU_DEP_2)
	v_lshrrev_b64 v[18:19], 20, v[18:19]
	v_cmp_gt_i32_e32 vcc_lo, 16, v13
	v_cmp_ne_u32_e64 s2, 0, v13
	s_delay_alu instid0(VALU_DEP_3) | instskip(NEXT) | instid1(VALU_DEP_1)
	v_dual_cndmask_b32 v21, 0, v19 :: v_dual_cndmask_b32 v20, 7, v18
                                        ; implicit-def: $vgpr18_vgpr19
	v_cmp_ne_u64_e32 vcc_lo, 0, v[20:21]
	s_delay_alu instid0(VALU_DEP_3) | instskip(NEXT) | instid1(SALU_CYCLE_1)
	s_or_b32 s2, s2, vcc_lo
	s_and_saveexec_b32 s8, s2
	s_delay_alu instid0(SALU_CYCLE_1)
	s_xor_b32 s2, exec_lo, s8
; %bb.233:                              ;   in Loop: Header=BB6_205 Depth=1
	v_min_i32_e32 v13, 15, v13
	s_delay_alu instid0(VALU_DEP_1) | instskip(NEXT) | instid1(VALU_DEP_1)
	v_lshl_or_b32 v0, v13, 3, v0
	v_and_or_b32 v18, v20, 7, v0
                                        ; implicit-def: $vgpr0
; %bb.234:                              ;   in Loop: Header=BB6_205 Depth=1
	s_and_not1_saveexec_b32 s2, s2
; %bb.235:                              ;   in Loop: Header=BB6_205 Depth=1
	v_dual_mov_b32 v19, v1 :: v_dual_mov_b32 v18, v0
; %bb.236:                              ;   in Loop: Header=BB6_205 Depth=1
	s_or_b32 exec_lo, exec_lo, s2
.LBB6_237:                              ;   in Loop: Header=BB6_205 Depth=1
	s_delay_alu instid0(SALU_CYCLE_1)
	s_or_b32 exec_lo, exec_lo, s7
.LBB6_238:                              ;   in Loop: Header=BB6_205 Depth=1
	s_and_not1_saveexec_b32 s2, s6
	s_delay_alu instid0(SALU_CYCLE_1)
	s_or_b32 exec_lo, exec_lo, s2
                                        ; implicit-def: $vgpr19
.LBB6_239:                              ;   in Loop: Header=BB6_205 Depth=1
	s_and_not1_saveexec_b32 s2, s5
; %bb.240:                              ;   in Loop: Header=BB6_205 Depth=1
	v_cmp_eq_u64_e32 vcc_lo, 0, v[13:14]
	v_or_b32_e32 v0, 0x7f, v19
	s_delay_alu instid0(VALU_DEP_1)
	v_cndmask_b32_e32 v18, v0, v18, vcc_lo
; %bb.241:                              ;   in Loop: Header=BB6_205 Depth=1
	s_or_b32 exec_lo, exec_lo, s2
	v_lshlrev_b32_e32 v0, 16, v1
	s_mov_b32 s2, exec_lo
	v_mov_b32_e32 v23, v14
	s_delay_alu instid0(VALU_DEP_2) | instskip(NEXT) | instid1(VALU_DEP_1)
	v_div_scale_f32 v13, null, s16, s16, v0
	v_rcp_f32_e32 v19, v13
	s_waitcnt_depctr 0xfff
	v_fma_f32 v20, -v13, v19, 1.0
	s_delay_alu instid0(VALU_DEP_1) | instskip(SKIP_1) | instid1(VALU_DEP_1)
	v_fmac_f32_e32 v19, v20, v19
	v_div_scale_f32 v20, vcc_lo, v0, s16, v0
	v_mul_f32_e32 v21, v20, v19
	s_delay_alu instid0(VALU_DEP_1) | instskip(NEXT) | instid1(VALU_DEP_1)
	v_fma_f32 v22, -v13, v21, v20
	v_fmac_f32_e32 v21, v22, v19
	s_delay_alu instid0(VALU_DEP_1) | instskip(NEXT) | instid1(VALU_DEP_1)
	v_fma_f32 v13, -v13, v21, v20
	v_div_fmas_f32 v13, v13, v19, v21
	s_delay_alu instid0(VALU_DEP_1) | instskip(NEXT) | instid1(VALU_DEP_1)
	v_div_fixup_f32 v21, v13, s16, v0
	v_lshrrev_b32_e32 v20, 24, v21
	v_and_b32_e32 v22, 0x7f800000, v21
	v_and_b32_e32 v13, 0x7fffff, v21
	s_delay_alu instid0(VALU_DEP_3) | instskip(NEXT) | instid1(VALU_DEP_1)
	v_and_b32_e32 v0, 0x80, v20
	v_or_b32_e32 v19, 0x7e, v0
	s_delay_alu instid0(VALU_DEP_4)
	v_cmpx_ne_u64_e32 0x7f800000, v[22:23]
	s_xor_b32 s5, exec_lo, s2
	s_cbranch_execz .LBB6_257
; %bb.242:                              ;   in Loop: Header=BB6_205 Depth=1
	v_dual_mov_b32 v23, v14 :: v_dual_and_b32 v22, 0x7fffffff, v21
	s_mov_b32 s2, exec_lo
	s_delay_alu instid0(VALU_DEP_1)
	v_cmpx_gt_u64_e32 0x43e00001, v[22:23]
	s_xor_b32 s6, exec_lo, s2
	s_cbranch_execz .LBB6_256
; %bb.243:                              ;   in Loop: Header=BB6_205 Depth=1
	s_mov_b32 s7, exec_lo
	v_mov_b32_e32 v19, 0
	v_mov_b32_e32 v20, 0
	v_cmpx_ne_u32_e32 0, v21
	s_cbranch_execz .LBB6_255
; %bb.244:                              ;   in Loop: Header=BB6_205 Depth=1
	v_bfe_u32 v23, v21, 23, 8
	v_or_b32_e32 v21, 0x800000, v13
	s_delay_alu instid0(VALU_DEP_2) | instskip(SKIP_1) | instid1(VALU_DEP_2)
	v_sub_nc_u32_e32 v19, 0x79, v23
	v_cmp_gt_u32_e32 vcc_lo, 0x7a, v23
	v_cndmask_b32_e32 v19, 0, v19, vcc_lo
	v_cmp_eq_u32_e32 vcc_lo, 0, v23
	s_delay_alu instid0(VALU_DEP_2) | instskip(SKIP_1) | instid1(VALU_DEP_2)
	v_cndmask_b32_e64 v24, v19, 0x78, vcc_lo
	v_cndmask_b32_e32 v13, v21, v13, vcc_lo
	v_add_nc_u32_e32 v19, 20, v24
	v_add_nc_u32_e32 v21, 19, v24
	s_delay_alu instid0(VALU_DEP_2) | instskip(NEXT) | instid1(VALU_DEP_2)
	v_lshlrev_b64 v[19:20], v19, -1
	v_lshlrev_b64 v[21:22], v21, 1
	s_delay_alu instid0(VALU_DEP_2) | instskip(NEXT) | instid1(VALU_DEP_3)
	v_not_b32_e32 v20, v20
	v_not_b32_e32 v19, v19
	s_delay_alu instid0(VALU_DEP_2) | instskip(NEXT) | instid1(VALU_DEP_2)
	v_and_b32_e32 v26, 0, v20
	v_and_b32_e32 v25, v13, v19
	v_lshrrev_b64 v[19:20], v24, v[13:14]
	s_delay_alu instid0(VALU_DEP_2) | instskip(NEXT) | instid1(VALU_DEP_2)
	v_cmp_eq_u64_e64 s2, v[25:26], v[21:22]
	v_dual_mov_b32 v22, v20 :: v_dual_mov_b32 v21, v19
	s_delay_alu instid0(VALU_DEP_2)
	s_and_saveexec_b32 s8, s2
; %bb.245:                              ;   in Loop: Header=BB6_205 Depth=1
	v_bfe_u32 v13, v19, 20, 1
	s_delay_alu instid0(VALU_DEP_1) | instskip(NEXT) | instid1(VALU_DEP_1)
	v_add_co_u32 v13, s2, v19, v13
	v_add_co_u32 v21, s2, v13, -1
; %bb.246:                              ;   in Loop: Header=BB6_205 Depth=1
	s_or_b32 exec_lo, exec_lo, s8
	v_add_nc_u32_e32 v13, 0xffffff81, v23
	v_lshrrev_b32_e32 v22, 23, v19
	s_mov_b32 s2, exec_lo
	s_delay_alu instid0(VALU_DEP_2) | instskip(NEXT) | instid1(VALU_DEP_1)
	v_cndmask_b32_e64 v13, v13, 0xffffff82, vcc_lo
	v_add3_u32 v22, v24, v13, v22
	v_and_b32_e32 v13, 0xfffff, v21
	s_delay_alu instid0(VALU_DEP_2) | instskip(NEXT) | instid1(VALU_DEP_2)
	v_add_nc_u32_e32 v21, 6, v22
	v_add_co_u32 v19, vcc_lo, v13, v19
	v_add_co_ci_u32_e32 v20, vcc_lo, 0, v20, vcc_lo
                                        ; implicit-def: $vgpr13
	s_delay_alu instid0(VALU_DEP_3)
	v_cmpx_ne_u32_e32 0, v21
	s_xor_b32 s2, exec_lo, s2
; %bb.247:                              ;   in Loop: Header=BB6_205 Depth=1
	s_delay_alu instid0(VALU_DEP_2) | instskip(SKIP_1) | instid1(VALU_DEP_1)
	v_cmp_lt_u64_e32 vcc_lo, 0xffffff, v[19:20]
	v_add_nc_u32_e32 v13, 7, v22
	v_cndmask_b32_e32 v13, v21, v13, vcc_lo
	v_cndmask_b32_e64 v21, 0, 1, vcc_lo
	s_delay_alu instid0(VALU_DEP_1)
	v_lshrrev_b64 v[19:20], v21, v[19:20]
; %bb.248:                              ;   in Loop: Header=BB6_205 Depth=1
	s_and_not1_saveexec_b32 s2, s2
; %bb.249:                              ;   in Loop: Header=BB6_205 Depth=1
	s_delay_alu instid0(VALU_DEP_1)
	v_bfe_u32 v13, v19, 23, 1
; %bb.250:                              ;   in Loop: Header=BB6_205 Depth=1
	s_or_b32 exec_lo, exec_lo, s2
	s_delay_alu instid0(VALU_DEP_2) | instskip(NEXT) | instid1(VALU_DEP_2)
	v_lshrrev_b64 v[19:20], 20, v[19:20]
	v_cmp_gt_i32_e32 vcc_lo, 16, v13
	v_cmp_ne_u32_e64 s2, 0, v13
	s_delay_alu instid0(VALU_DEP_3) | instskip(NEXT) | instid1(VALU_DEP_1)
	v_dual_cndmask_b32 v22, 0, v20 :: v_dual_cndmask_b32 v21, 7, v19
                                        ; implicit-def: $vgpr19_vgpr20
	v_cmp_ne_u64_e32 vcc_lo, 0, v[21:22]
	s_delay_alu instid0(VALU_DEP_3) | instskip(NEXT) | instid1(SALU_CYCLE_1)
	s_or_b32 s2, s2, vcc_lo
	s_and_saveexec_b32 s8, s2
	s_delay_alu instid0(SALU_CYCLE_1)
	s_xor_b32 s2, exec_lo, s8
; %bb.251:                              ;   in Loop: Header=BB6_205 Depth=1
	v_min_i32_e32 v13, 15, v13
	s_delay_alu instid0(VALU_DEP_1) | instskip(NEXT) | instid1(VALU_DEP_1)
	v_lshl_or_b32 v0, v13, 3, v0
	v_and_or_b32 v19, v21, 7, v0
                                        ; implicit-def: $vgpr0
; %bb.252:                              ;   in Loop: Header=BB6_205 Depth=1
	s_and_not1_saveexec_b32 s2, s2
; %bb.253:                              ;   in Loop: Header=BB6_205 Depth=1
	v_dual_mov_b32 v20, v1 :: v_dual_mov_b32 v19, v0
; %bb.254:                              ;   in Loop: Header=BB6_205 Depth=1
	s_or_b32 exec_lo, exec_lo, s2
.LBB6_255:                              ;   in Loop: Header=BB6_205 Depth=1
	s_delay_alu instid0(SALU_CYCLE_1)
	s_or_b32 exec_lo, exec_lo, s7
.LBB6_256:                              ;   in Loop: Header=BB6_205 Depth=1
	s_and_not1_saveexec_b32 s2, s6
	s_delay_alu instid0(SALU_CYCLE_1)
	s_or_b32 exec_lo, exec_lo, s2
                                        ; implicit-def: $vgpr20
.LBB6_257:                              ;   in Loop: Header=BB6_205 Depth=1
	s_and_not1_saveexec_b32 s2, s5
; %bb.258:                              ;   in Loop: Header=BB6_205 Depth=1
	v_cmp_eq_u64_e32 vcc_lo, 0, v[13:14]
	v_or_b32_e32 v0, 0x7f, v20
	s_delay_alu instid0(VALU_DEP_1)
	v_cndmask_b32_e32 v19, v0, v19, vcc_lo
; %bb.259:                              ;   in Loop: Header=BB6_205 Depth=1
	s_or_b32 exec_lo, exec_lo, s2
	v_dual_mov_b32 v23, v14 :: v_dual_and_b32 v0, 0xffff0000, v1
	s_mov_b32 s2, exec_lo
	s_delay_alu instid0(VALU_DEP_1) | instskip(NEXT) | instid1(VALU_DEP_1)
	v_div_scale_f32 v1, null, s16, s16, v0
	v_rcp_f32_e32 v13, v1
	s_waitcnt_depctr 0xfff
	v_fma_f32 v20, -v1, v13, 1.0
	s_delay_alu instid0(VALU_DEP_1) | instskip(SKIP_1) | instid1(VALU_DEP_1)
	v_fmac_f32_e32 v13, v20, v13
	v_div_scale_f32 v20, vcc_lo, v0, s16, v0
	v_mul_f32_e32 v21, v20, v13
	s_delay_alu instid0(VALU_DEP_1) | instskip(NEXT) | instid1(VALU_DEP_1)
	v_fma_f32 v22, -v1, v21, v20
	v_fmac_f32_e32 v21, v22, v13
	s_delay_alu instid0(VALU_DEP_1) | instskip(NEXT) | instid1(VALU_DEP_1)
	v_fma_f32 v1, -v1, v21, v20
	v_div_fmas_f32 v1, v1, v13, v21
	s_delay_alu instid0(VALU_DEP_1) | instskip(NEXT) | instid1(VALU_DEP_1)
	v_div_fixup_f32 v21, v1, s16, v0
	v_lshrrev_b32_e32 v1, 24, v21
	v_and_b32_e32 v22, 0x7f800000, v21
	v_and_b32_e32 v13, 0x7fffff, v21
	s_delay_alu instid0(VALU_DEP_3) | instskip(NEXT) | instid1(VALU_DEP_1)
	v_and_b32_e32 v20, 0x80, v1
	v_or_b32_e32 v0, 0x7e, v20
	s_delay_alu instid0(VALU_DEP_4)
	v_cmpx_ne_u64_e32 0x7f800000, v[22:23]
	s_xor_b32 s5, exec_lo, s2
	s_cbranch_execz .LBB6_275
; %bb.260:                              ;   in Loop: Header=BB6_205 Depth=1
	v_dual_mov_b32 v23, v14 :: v_dual_and_b32 v22, 0x7fffffff, v21
	s_mov_b32 s2, exec_lo
	s_delay_alu instid0(VALU_DEP_1)
	v_cmpx_gt_u64_e32 0x43e00001, v[22:23]
	s_xor_b32 s6, exec_lo, s2
	s_cbranch_execz .LBB6_274
; %bb.261:                              ;   in Loop: Header=BB6_205 Depth=1
	s_mov_b32 s7, exec_lo
	v_mov_b32_e32 v0, 0
	v_mov_b32_e32 v1, 0
	v_cmpx_ne_u32_e32 0, v21
	s_cbranch_execz .LBB6_273
; %bb.262:                              ;   in Loop: Header=BB6_205 Depth=1
	v_bfe_u32 v23, v21, 23, 8
	v_or_b32_e32 v21, 0x800000, v13
	s_delay_alu instid0(VALU_DEP_2) | instskip(SKIP_1) | instid1(VALU_DEP_2)
	v_sub_nc_u32_e32 v0, 0x79, v23
	v_cmp_gt_u32_e32 vcc_lo, 0x7a, v23
	v_cndmask_b32_e32 v0, 0, v0, vcc_lo
	v_cmp_eq_u32_e32 vcc_lo, 0, v23
	v_cndmask_b32_e32 v13, v21, v13, vcc_lo
	s_delay_alu instid0(VALU_DEP_3) | instskip(NEXT) | instid1(VALU_DEP_1)
	v_cndmask_b32_e64 v24, v0, 0x78, vcc_lo
	v_add_nc_u32_e32 v0, 20, v24
	v_add_nc_u32_e32 v21, 19, v24
	s_delay_alu instid0(VALU_DEP_2) | instskip(NEXT) | instid1(VALU_DEP_2)
	v_lshlrev_b64 v[0:1], v0, -1
	v_lshlrev_b64 v[21:22], v21, 1
	s_delay_alu instid0(VALU_DEP_2) | instskip(NEXT) | instid1(VALU_DEP_3)
	v_not_b32_e32 v1, v1
	v_not_b32_e32 v0, v0
	s_delay_alu instid0(VALU_DEP_2) | instskip(NEXT) | instid1(VALU_DEP_2)
	v_and_b32_e32 v26, 0, v1
	v_and_b32_e32 v25, v13, v0
	v_lshrrev_b64 v[0:1], v24, v[13:14]
	s_delay_alu instid0(VALU_DEP_2) | instskip(NEXT) | instid1(VALU_DEP_2)
	v_cmp_eq_u64_e64 s2, v[25:26], v[21:22]
	v_dual_mov_b32 v22, v1 :: v_dual_mov_b32 v21, v0
	s_delay_alu instid0(VALU_DEP_2)
	s_and_saveexec_b32 s8, s2
; %bb.263:                              ;   in Loop: Header=BB6_205 Depth=1
	v_bfe_u32 v13, v0, 20, 1
	s_delay_alu instid0(VALU_DEP_1) | instskip(NEXT) | instid1(VALU_DEP_1)
	v_add_co_u32 v13, s2, v0, v13
	v_add_co_u32 v21, s2, v13, -1
; %bb.264:                              ;   in Loop: Header=BB6_205 Depth=1
	s_or_b32 exec_lo, exec_lo, s8
	v_add_nc_u32_e32 v13, 0xffffff81, v23
	v_lshrrev_b32_e32 v22, 23, v0
	s_mov_b32 s2, exec_lo
	s_delay_alu instid0(VALU_DEP_2) | instskip(NEXT) | instid1(VALU_DEP_1)
	v_cndmask_b32_e64 v13, v13, 0xffffff82, vcc_lo
	v_add3_u32 v22, v24, v13, v22
	v_and_b32_e32 v13, 0xfffff, v21
	s_delay_alu instid0(VALU_DEP_2) | instskip(NEXT) | instid1(VALU_DEP_2)
	v_add_nc_u32_e32 v21, 6, v22
	v_add_co_u32 v0, vcc_lo, v13, v0
	v_add_co_ci_u32_e32 v1, vcc_lo, 0, v1, vcc_lo
                                        ; implicit-def: $vgpr13
	s_delay_alu instid0(VALU_DEP_3)
	v_cmpx_ne_u32_e32 0, v21
	s_xor_b32 s2, exec_lo, s2
; %bb.265:                              ;   in Loop: Header=BB6_205 Depth=1
	s_delay_alu instid0(VALU_DEP_2) | instskip(SKIP_1) | instid1(VALU_DEP_1)
	v_cmp_lt_u64_e32 vcc_lo, 0xffffff, v[0:1]
	v_add_nc_u32_e32 v13, 7, v22
	v_cndmask_b32_e32 v13, v21, v13, vcc_lo
	v_cndmask_b32_e64 v21, 0, 1, vcc_lo
	s_delay_alu instid0(VALU_DEP_1)
	v_lshrrev_b64 v[0:1], v21, v[0:1]
; %bb.266:                              ;   in Loop: Header=BB6_205 Depth=1
	s_and_not1_saveexec_b32 s2, s2
; %bb.267:                              ;   in Loop: Header=BB6_205 Depth=1
	s_delay_alu instid0(VALU_DEP_1)
	v_bfe_u32 v13, v0, 23, 1
; %bb.268:                              ;   in Loop: Header=BB6_205 Depth=1
	s_or_b32 exec_lo, exec_lo, s2
	s_delay_alu instid0(VALU_DEP_2) | instskip(NEXT) | instid1(VALU_DEP_2)
	v_lshrrev_b64 v[0:1], 20, v[0:1]
	v_cmp_gt_i32_e32 vcc_lo, 16, v13
	v_cmp_ne_u32_e64 s2, 0, v13
	s_delay_alu instid0(VALU_DEP_3) | instskip(NEXT) | instid1(VALU_DEP_1)
	v_dual_cndmask_b32 v22, 0, v1 :: v_dual_cndmask_b32 v21, 7, v0
                                        ; implicit-def: $vgpr0_vgpr1
	v_cmp_ne_u64_e32 vcc_lo, 0, v[21:22]
	s_delay_alu instid0(VALU_DEP_3) | instskip(NEXT) | instid1(SALU_CYCLE_1)
	s_or_b32 s2, s2, vcc_lo
	s_and_saveexec_b32 s8, s2
	s_delay_alu instid0(SALU_CYCLE_1)
	s_xor_b32 s2, exec_lo, s8
; %bb.269:                              ;   in Loop: Header=BB6_205 Depth=1
	v_min_i32_e32 v0, 15, v13
	s_delay_alu instid0(VALU_DEP_1) | instskip(NEXT) | instid1(VALU_DEP_1)
	v_lshl_or_b32 v0, v0, 3, v20
                                        ; implicit-def: $vgpr20
	v_and_or_b32 v0, v21, 7, v0
; %bb.270:                              ;   in Loop: Header=BB6_205 Depth=1
	s_and_not1_saveexec_b32 s2, s2
; %bb.271:                              ;   in Loop: Header=BB6_205 Depth=1
	v_dual_mov_b32 v0, v20 :: v_dual_mov_b32 v1, v21
; %bb.272:                              ;   in Loop: Header=BB6_205 Depth=1
	s_or_b32 exec_lo, exec_lo, s2
.LBB6_273:                              ;   in Loop: Header=BB6_205 Depth=1
	s_delay_alu instid0(SALU_CYCLE_1)
	s_or_b32 exec_lo, exec_lo, s7
.LBB6_274:                              ;   in Loop: Header=BB6_205 Depth=1
	s_and_not1_saveexec_b32 s2, s6
	s_delay_alu instid0(SALU_CYCLE_1)
	s_or_b32 exec_lo, exec_lo, s2
                                        ; implicit-def: $vgpr1
.LBB6_275:                              ;   in Loop: Header=BB6_205 Depth=1
	s_and_not1_saveexec_b32 s2, s5
; %bb.276:                              ;   in Loop: Header=BB6_205 Depth=1
	v_cmp_eq_u64_e32 vcc_lo, 0, v[13:14]
	v_or_b32_e32 v1, 0x7f, v1
	s_delay_alu instid0(VALU_DEP_1)
	v_cndmask_b32_e32 v0, v1, v0, vcc_lo
; %bb.277:                              ;   in Loop: Header=BB6_205 Depth=1
	s_or_b32 exec_lo, exec_lo, s2
	v_lshlrev_b32_e32 v1, 16, v2
	s_mov_b32 s2, exec_lo
	v_mov_b32_e32 v24, v14
	s_delay_alu instid0(VALU_DEP_2) | instskip(NEXT) | instid1(VALU_DEP_1)
	v_div_scale_f32 v13, null, s16, s16, v1
	v_rcp_f32_e32 v20, v13
	s_waitcnt_depctr 0xfff
	v_fma_f32 v21, -v13, v20, 1.0
	s_delay_alu instid0(VALU_DEP_1) | instskip(SKIP_1) | instid1(VALU_DEP_1)
	v_fmac_f32_e32 v20, v21, v20
	v_div_scale_f32 v21, vcc_lo, v1, s16, v1
	v_mul_f32_e32 v22, v21, v20
	s_delay_alu instid0(VALU_DEP_1) | instskip(NEXT) | instid1(VALU_DEP_1)
	v_fma_f32 v23, -v13, v22, v21
	v_fmac_f32_e32 v22, v23, v20
	s_delay_alu instid0(VALU_DEP_1) | instskip(NEXT) | instid1(VALU_DEP_1)
	v_fma_f32 v13, -v13, v22, v21
	v_div_fmas_f32 v13, v13, v20, v22
	s_delay_alu instid0(VALU_DEP_1) | instskip(NEXT) | instid1(VALU_DEP_1)
	v_div_fixup_f32 v22, v13, s16, v1
	v_lshrrev_b32_e32 v21, 24, v22
	v_and_b32_e32 v23, 0x7f800000, v22
	v_and_b32_e32 v13, 0x7fffff, v22
	s_delay_alu instid0(VALU_DEP_3) | instskip(NEXT) | instid1(VALU_DEP_1)
	v_and_b32_e32 v1, 0x80, v21
	v_or_b32_e32 v20, 0x7e, v1
	s_delay_alu instid0(VALU_DEP_4)
	v_cmpx_ne_u64_e32 0x7f800000, v[23:24]
	s_xor_b32 s5, exec_lo, s2
	s_cbranch_execz .LBB6_293
; %bb.278:                              ;   in Loop: Header=BB6_205 Depth=1
	v_dual_mov_b32 v24, v14 :: v_dual_and_b32 v23, 0x7fffffff, v22
	s_mov_b32 s2, exec_lo
	s_delay_alu instid0(VALU_DEP_1)
	v_cmpx_gt_u64_e32 0x43e00001, v[23:24]
	s_xor_b32 s6, exec_lo, s2
	s_cbranch_execz .LBB6_292
; %bb.279:                              ;   in Loop: Header=BB6_205 Depth=1
	s_mov_b32 s7, exec_lo
	v_mov_b32_e32 v20, 0
	v_mov_b32_e32 v21, 0
	v_cmpx_ne_u32_e32 0, v22
	s_cbranch_execz .LBB6_291
; %bb.280:                              ;   in Loop: Header=BB6_205 Depth=1
	v_bfe_u32 v24, v22, 23, 8
	v_or_b32_e32 v22, 0x800000, v13
	s_delay_alu instid0(VALU_DEP_2) | instskip(SKIP_1) | instid1(VALU_DEP_2)
	v_sub_nc_u32_e32 v20, 0x79, v24
	v_cmp_gt_u32_e32 vcc_lo, 0x7a, v24
	v_cndmask_b32_e32 v20, 0, v20, vcc_lo
	v_cmp_eq_u32_e32 vcc_lo, 0, v24
	v_cndmask_b32_e32 v13, v22, v13, vcc_lo
	s_delay_alu instid0(VALU_DEP_3) | instskip(NEXT) | instid1(VALU_DEP_1)
	v_cndmask_b32_e64 v25, v20, 0x78, vcc_lo
	v_add_nc_u32_e32 v20, 20, v25
	v_add_nc_u32_e32 v22, 19, v25
	s_delay_alu instid0(VALU_DEP_2) | instskip(NEXT) | instid1(VALU_DEP_2)
	v_lshlrev_b64 v[20:21], v20, -1
	v_lshlrev_b64 v[22:23], v22, 1
	s_delay_alu instid0(VALU_DEP_2) | instskip(NEXT) | instid1(VALU_DEP_3)
	v_not_b32_e32 v21, v21
	v_not_b32_e32 v20, v20
	s_delay_alu instid0(VALU_DEP_2) | instskip(NEXT) | instid1(VALU_DEP_2)
	v_and_b32_e32 v27, 0, v21
	v_and_b32_e32 v26, v13, v20
	v_lshrrev_b64 v[20:21], v25, v[13:14]
	s_delay_alu instid0(VALU_DEP_2) | instskip(NEXT) | instid1(VALU_DEP_2)
	v_cmp_eq_u64_e64 s2, v[26:27], v[22:23]
	v_dual_mov_b32 v23, v21 :: v_dual_mov_b32 v22, v20
	s_delay_alu instid0(VALU_DEP_2)
	s_and_saveexec_b32 s8, s2
; %bb.281:                              ;   in Loop: Header=BB6_205 Depth=1
	v_bfe_u32 v13, v20, 20, 1
	s_delay_alu instid0(VALU_DEP_1) | instskip(NEXT) | instid1(VALU_DEP_1)
	v_add_co_u32 v13, s2, v20, v13
	v_add_co_u32 v22, s2, v13, -1
; %bb.282:                              ;   in Loop: Header=BB6_205 Depth=1
	s_or_b32 exec_lo, exec_lo, s8
	v_add_nc_u32_e32 v13, 0xffffff81, v24
	v_lshrrev_b32_e32 v23, 23, v20
	s_mov_b32 s2, exec_lo
	s_delay_alu instid0(VALU_DEP_2) | instskip(NEXT) | instid1(VALU_DEP_1)
	v_cndmask_b32_e64 v13, v13, 0xffffff82, vcc_lo
	v_add3_u32 v23, v25, v13, v23
	v_and_b32_e32 v13, 0xfffff, v22
	s_delay_alu instid0(VALU_DEP_2) | instskip(NEXT) | instid1(VALU_DEP_2)
	v_add_nc_u32_e32 v22, 6, v23
	v_add_co_u32 v20, vcc_lo, v13, v20
	v_add_co_ci_u32_e32 v21, vcc_lo, 0, v21, vcc_lo
                                        ; implicit-def: $vgpr13
	s_delay_alu instid0(VALU_DEP_3)
	v_cmpx_ne_u32_e32 0, v22
	s_xor_b32 s2, exec_lo, s2
; %bb.283:                              ;   in Loop: Header=BB6_205 Depth=1
	s_delay_alu instid0(VALU_DEP_2) | instskip(SKIP_1) | instid1(VALU_DEP_1)
	v_cmp_lt_u64_e32 vcc_lo, 0xffffff, v[20:21]
	v_add_nc_u32_e32 v13, 7, v23
	v_cndmask_b32_e32 v13, v22, v13, vcc_lo
	v_cndmask_b32_e64 v22, 0, 1, vcc_lo
	s_delay_alu instid0(VALU_DEP_1)
	v_lshrrev_b64 v[20:21], v22, v[20:21]
; %bb.284:                              ;   in Loop: Header=BB6_205 Depth=1
	s_and_not1_saveexec_b32 s2, s2
; %bb.285:                              ;   in Loop: Header=BB6_205 Depth=1
	s_delay_alu instid0(VALU_DEP_1)
	v_bfe_u32 v13, v20, 23, 1
; %bb.286:                              ;   in Loop: Header=BB6_205 Depth=1
	s_or_b32 exec_lo, exec_lo, s2
	s_delay_alu instid0(VALU_DEP_2) | instskip(NEXT) | instid1(VALU_DEP_2)
	v_lshrrev_b64 v[20:21], 20, v[20:21]
	v_cmp_gt_i32_e32 vcc_lo, 16, v13
	v_cmp_ne_u32_e64 s2, 0, v13
	s_delay_alu instid0(VALU_DEP_3) | instskip(NEXT) | instid1(VALU_DEP_1)
	v_dual_cndmask_b32 v23, 0, v21 :: v_dual_cndmask_b32 v22, 7, v20
                                        ; implicit-def: $vgpr20_vgpr21
	v_cmp_ne_u64_e32 vcc_lo, 0, v[22:23]
	s_delay_alu instid0(VALU_DEP_3) | instskip(NEXT) | instid1(SALU_CYCLE_1)
	s_or_b32 s2, s2, vcc_lo
	s_and_saveexec_b32 s8, s2
	s_delay_alu instid0(SALU_CYCLE_1)
	s_xor_b32 s2, exec_lo, s8
; %bb.287:                              ;   in Loop: Header=BB6_205 Depth=1
	v_min_i32_e32 v13, 15, v13
	s_delay_alu instid0(VALU_DEP_1) | instskip(NEXT) | instid1(VALU_DEP_1)
	v_lshl_or_b32 v1, v13, 3, v1
	v_and_or_b32 v20, v22, 7, v1
                                        ; implicit-def: $vgpr1
; %bb.288:                              ;   in Loop: Header=BB6_205 Depth=1
	s_and_not1_saveexec_b32 s2, s2
; %bb.289:                              ;   in Loop: Header=BB6_205 Depth=1
	v_dual_mov_b32 v21, v2 :: v_dual_mov_b32 v20, v1
; %bb.290:                              ;   in Loop: Header=BB6_205 Depth=1
	s_or_b32 exec_lo, exec_lo, s2
.LBB6_291:                              ;   in Loop: Header=BB6_205 Depth=1
	s_delay_alu instid0(SALU_CYCLE_1)
	s_or_b32 exec_lo, exec_lo, s7
.LBB6_292:                              ;   in Loop: Header=BB6_205 Depth=1
	s_and_not1_saveexec_b32 s2, s6
	s_delay_alu instid0(SALU_CYCLE_1)
	s_or_b32 exec_lo, exec_lo, s2
                                        ; implicit-def: $vgpr21
.LBB6_293:                              ;   in Loop: Header=BB6_205 Depth=1
	s_and_not1_saveexec_b32 s2, s5
; %bb.294:                              ;   in Loop: Header=BB6_205 Depth=1
	v_cmp_eq_u64_e32 vcc_lo, 0, v[13:14]
	v_or_b32_e32 v1, 0x7f, v21
	s_delay_alu instid0(VALU_DEP_1)
	v_cndmask_b32_e32 v20, v1, v20, vcc_lo
; %bb.295:                              ;   in Loop: Header=BB6_205 Depth=1
	s_or_b32 exec_lo, exec_lo, s2
	v_and_b32_e32 v1, 0xffff0000, v2
	s_mov_b32 s2, exec_lo
	v_mov_b32_e32 v24, v14
	s_delay_alu instid0(VALU_DEP_2) | instskip(NEXT) | instid1(VALU_DEP_1)
	v_div_scale_f32 v2, null, s16, s16, v1
	v_rcp_f32_e32 v13, v2
	s_waitcnt_depctr 0xfff
	v_fma_f32 v21, -v2, v13, 1.0
	s_delay_alu instid0(VALU_DEP_1) | instskip(SKIP_1) | instid1(VALU_DEP_1)
	v_fmac_f32_e32 v13, v21, v13
	v_div_scale_f32 v21, vcc_lo, v1, s16, v1
	v_mul_f32_e32 v22, v21, v13
	s_delay_alu instid0(VALU_DEP_1) | instskip(NEXT) | instid1(VALU_DEP_1)
	v_fma_f32 v23, -v2, v22, v21
	v_fmac_f32_e32 v22, v23, v13
	s_delay_alu instid0(VALU_DEP_1) | instskip(NEXT) | instid1(VALU_DEP_1)
	v_fma_f32 v2, -v2, v22, v21
	v_div_fmas_f32 v2, v2, v13, v22
	s_delay_alu instid0(VALU_DEP_1) | instskip(NEXT) | instid1(VALU_DEP_1)
	v_div_fixup_f32 v22, v2, s16, v1
	v_lshrrev_b32_e32 v2, 24, v22
	v_and_b32_e32 v23, 0x7f800000, v22
	v_and_b32_e32 v13, 0x7fffff, v22
	s_delay_alu instid0(VALU_DEP_3) | instskip(NEXT) | instid1(VALU_DEP_1)
	v_and_b32_e32 v21, 0x80, v2
	v_or_b32_e32 v1, 0x7e, v21
	s_delay_alu instid0(VALU_DEP_4)
	v_cmpx_ne_u64_e32 0x7f800000, v[23:24]
	s_xor_b32 s5, exec_lo, s2
	s_cbranch_execz .LBB6_311
; %bb.296:                              ;   in Loop: Header=BB6_205 Depth=1
	v_dual_mov_b32 v24, v14 :: v_dual_and_b32 v23, 0x7fffffff, v22
	s_mov_b32 s2, exec_lo
	s_delay_alu instid0(VALU_DEP_1)
	v_cmpx_gt_u64_e32 0x43e00001, v[23:24]
	s_xor_b32 s6, exec_lo, s2
	s_cbranch_execz .LBB6_310
; %bb.297:                              ;   in Loop: Header=BB6_205 Depth=1
	s_mov_b32 s7, exec_lo
	v_mov_b32_e32 v1, 0
	v_mov_b32_e32 v2, 0
	v_cmpx_ne_u32_e32 0, v22
	s_cbranch_execz .LBB6_309
; %bb.298:                              ;   in Loop: Header=BB6_205 Depth=1
	v_bfe_u32 v24, v22, 23, 8
	v_or_b32_e32 v22, 0x800000, v13
	s_delay_alu instid0(VALU_DEP_2) | instskip(SKIP_1) | instid1(VALU_DEP_2)
	v_sub_nc_u32_e32 v1, 0x79, v24
	v_cmp_gt_u32_e32 vcc_lo, 0x7a, v24
	v_cndmask_b32_e32 v1, 0, v1, vcc_lo
	v_cmp_eq_u32_e32 vcc_lo, 0, v24
	s_delay_alu instid0(VALU_DEP_2) | instskip(SKIP_1) | instid1(VALU_DEP_2)
	v_cndmask_b32_e64 v25, v1, 0x78, vcc_lo
	v_cndmask_b32_e32 v13, v22, v13, vcc_lo
	v_add_nc_u32_e32 v1, 20, v25
	v_add_nc_u32_e32 v22, 19, v25
	s_delay_alu instid0(VALU_DEP_2) | instskip(NEXT) | instid1(VALU_DEP_2)
	v_lshlrev_b64 v[1:2], v1, -1
	v_lshlrev_b64 v[22:23], v22, 1
	s_delay_alu instid0(VALU_DEP_2) | instskip(NEXT) | instid1(VALU_DEP_3)
	v_not_b32_e32 v2, v2
	v_not_b32_e32 v1, v1
	s_delay_alu instid0(VALU_DEP_2) | instskip(NEXT) | instid1(VALU_DEP_2)
	v_and_b32_e32 v27, 0, v2
	v_and_b32_e32 v26, v13, v1
	v_lshrrev_b64 v[1:2], v25, v[13:14]
	s_delay_alu instid0(VALU_DEP_2) | instskip(NEXT) | instid1(VALU_DEP_2)
	v_cmp_eq_u64_e64 s2, v[26:27], v[22:23]
	v_dual_mov_b32 v23, v2 :: v_dual_mov_b32 v22, v1
	s_delay_alu instid0(VALU_DEP_2)
	s_and_saveexec_b32 s8, s2
; %bb.299:                              ;   in Loop: Header=BB6_205 Depth=1
	v_bfe_u32 v13, v1, 20, 1
	s_delay_alu instid0(VALU_DEP_1) | instskip(NEXT) | instid1(VALU_DEP_1)
	v_add_co_u32 v13, s2, v1, v13
	v_add_co_u32 v22, s2, v13, -1
; %bb.300:                              ;   in Loop: Header=BB6_205 Depth=1
	s_or_b32 exec_lo, exec_lo, s8
	v_add_nc_u32_e32 v13, 0xffffff81, v24
	v_lshrrev_b32_e32 v23, 23, v1
	s_mov_b32 s2, exec_lo
	s_delay_alu instid0(VALU_DEP_2) | instskip(NEXT) | instid1(VALU_DEP_1)
	v_cndmask_b32_e64 v13, v13, 0xffffff82, vcc_lo
	v_add3_u32 v23, v25, v13, v23
	v_and_b32_e32 v13, 0xfffff, v22
	s_delay_alu instid0(VALU_DEP_2) | instskip(NEXT) | instid1(VALU_DEP_2)
	v_add_nc_u32_e32 v22, 6, v23
	v_add_co_u32 v1, vcc_lo, v13, v1
	v_add_co_ci_u32_e32 v2, vcc_lo, 0, v2, vcc_lo
                                        ; implicit-def: $vgpr13
	s_delay_alu instid0(VALU_DEP_3)
	v_cmpx_ne_u32_e32 0, v22
	s_xor_b32 s2, exec_lo, s2
; %bb.301:                              ;   in Loop: Header=BB6_205 Depth=1
	s_delay_alu instid0(VALU_DEP_2) | instskip(SKIP_1) | instid1(VALU_DEP_1)
	v_cmp_lt_u64_e32 vcc_lo, 0xffffff, v[1:2]
	v_add_nc_u32_e32 v13, 7, v23
	v_cndmask_b32_e32 v13, v22, v13, vcc_lo
	v_cndmask_b32_e64 v22, 0, 1, vcc_lo
	s_delay_alu instid0(VALU_DEP_1)
	v_lshrrev_b64 v[1:2], v22, v[1:2]
; %bb.302:                              ;   in Loop: Header=BB6_205 Depth=1
	s_and_not1_saveexec_b32 s2, s2
; %bb.303:                              ;   in Loop: Header=BB6_205 Depth=1
	s_delay_alu instid0(VALU_DEP_1)
	v_bfe_u32 v13, v1, 23, 1
; %bb.304:                              ;   in Loop: Header=BB6_205 Depth=1
	s_or_b32 exec_lo, exec_lo, s2
	s_delay_alu instid0(VALU_DEP_2) | instskip(NEXT) | instid1(VALU_DEP_2)
	v_lshrrev_b64 v[1:2], 20, v[1:2]
	v_cmp_gt_i32_e32 vcc_lo, 16, v13
	v_cmp_ne_u32_e64 s2, 0, v13
	s_delay_alu instid0(VALU_DEP_3) | instskip(NEXT) | instid1(VALU_DEP_1)
	v_dual_cndmask_b32 v23, 0, v2 :: v_dual_cndmask_b32 v22, 7, v1
                                        ; implicit-def: $vgpr1_vgpr2
	v_cmp_ne_u64_e32 vcc_lo, 0, v[22:23]
	s_delay_alu instid0(VALU_DEP_3) | instskip(NEXT) | instid1(SALU_CYCLE_1)
	s_or_b32 s2, s2, vcc_lo
	s_and_saveexec_b32 s8, s2
	s_delay_alu instid0(SALU_CYCLE_1)
	s_xor_b32 s2, exec_lo, s8
; %bb.305:                              ;   in Loop: Header=BB6_205 Depth=1
	v_min_i32_e32 v1, 15, v13
	s_delay_alu instid0(VALU_DEP_1) | instskip(NEXT) | instid1(VALU_DEP_1)
	v_lshl_or_b32 v1, v1, 3, v21
                                        ; implicit-def: $vgpr21
	v_and_or_b32 v1, v22, 7, v1
; %bb.306:                              ;   in Loop: Header=BB6_205 Depth=1
	s_and_not1_saveexec_b32 s2, s2
; %bb.307:                              ;   in Loop: Header=BB6_205 Depth=1
	v_dual_mov_b32 v1, v21 :: v_dual_mov_b32 v2, v22
; %bb.308:                              ;   in Loop: Header=BB6_205 Depth=1
	s_or_b32 exec_lo, exec_lo, s2
.LBB6_309:                              ;   in Loop: Header=BB6_205 Depth=1
	s_delay_alu instid0(SALU_CYCLE_1)
	s_or_b32 exec_lo, exec_lo, s7
.LBB6_310:                              ;   in Loop: Header=BB6_205 Depth=1
	s_and_not1_saveexec_b32 s2, s6
	s_delay_alu instid0(SALU_CYCLE_1)
	s_or_b32 exec_lo, exec_lo, s2
                                        ; implicit-def: $vgpr2
.LBB6_311:                              ;   in Loop: Header=BB6_205 Depth=1
	s_and_not1_saveexec_b32 s2, s5
; %bb.312:                              ;   in Loop: Header=BB6_205 Depth=1
	v_cmp_eq_u64_e32 vcc_lo, 0, v[13:14]
	v_or_b32_e32 v2, 0x7f, v2
	s_delay_alu instid0(VALU_DEP_1)
	v_cndmask_b32_e32 v1, v2, v1, vcc_lo
; %bb.313:                              ;   in Loop: Header=BB6_205 Depth=1
	s_or_b32 exec_lo, exec_lo, s2
	v_lshlrev_b32_e32 v2, 16, v3
	s_mov_b32 s2, exec_lo
	v_mov_b32_e32 v25, v14
	s_delay_alu instid0(VALU_DEP_2) | instskip(NEXT) | instid1(VALU_DEP_1)
	v_div_scale_f32 v13, null, s16, s16, v2
	v_rcp_f32_e32 v21, v13
	s_waitcnt_depctr 0xfff
	v_fma_f32 v22, -v13, v21, 1.0
	s_delay_alu instid0(VALU_DEP_1) | instskip(SKIP_1) | instid1(VALU_DEP_1)
	v_fmac_f32_e32 v21, v22, v21
	v_div_scale_f32 v22, vcc_lo, v2, s16, v2
	v_mul_f32_e32 v23, v22, v21
	s_delay_alu instid0(VALU_DEP_1) | instskip(NEXT) | instid1(VALU_DEP_1)
	v_fma_f32 v24, -v13, v23, v22
	v_fmac_f32_e32 v23, v24, v21
	s_delay_alu instid0(VALU_DEP_1) | instskip(NEXT) | instid1(VALU_DEP_1)
	v_fma_f32 v13, -v13, v23, v22
	v_div_fmas_f32 v13, v13, v21, v23
	s_delay_alu instid0(VALU_DEP_1) | instskip(NEXT) | instid1(VALU_DEP_1)
	v_div_fixup_f32 v23, v13, s16, v2
	v_lshrrev_b32_e32 v22, 24, v23
	v_and_b32_e32 v24, 0x7f800000, v23
	v_and_b32_e32 v13, 0x7fffff, v23
	s_delay_alu instid0(VALU_DEP_3) | instskip(NEXT) | instid1(VALU_DEP_1)
	v_and_b32_e32 v2, 0x80, v22
	v_or_b32_e32 v21, 0x7e, v2
	s_delay_alu instid0(VALU_DEP_4)
	v_cmpx_ne_u64_e32 0x7f800000, v[24:25]
	s_xor_b32 s5, exec_lo, s2
	s_cbranch_execz .LBB6_329
; %bb.314:                              ;   in Loop: Header=BB6_205 Depth=1
	v_dual_mov_b32 v25, v14 :: v_dual_and_b32 v24, 0x7fffffff, v23
	s_mov_b32 s2, exec_lo
	s_delay_alu instid0(VALU_DEP_1)
	v_cmpx_gt_u64_e32 0x43e00001, v[24:25]
	s_xor_b32 s6, exec_lo, s2
	s_cbranch_execz .LBB6_328
; %bb.315:                              ;   in Loop: Header=BB6_205 Depth=1
	s_mov_b32 s7, exec_lo
	v_mov_b32_e32 v21, 0
	v_mov_b32_e32 v22, 0
	v_cmpx_ne_u32_e32 0, v23
	s_cbranch_execz .LBB6_327
; %bb.316:                              ;   in Loop: Header=BB6_205 Depth=1
	v_bfe_u32 v25, v23, 23, 8
	v_or_b32_e32 v23, 0x800000, v13
	s_delay_alu instid0(VALU_DEP_2) | instskip(SKIP_1) | instid1(VALU_DEP_2)
	v_sub_nc_u32_e32 v21, 0x79, v25
	v_cmp_gt_u32_e32 vcc_lo, 0x7a, v25
	v_cndmask_b32_e32 v21, 0, v21, vcc_lo
	v_cmp_eq_u32_e32 vcc_lo, 0, v25
	s_delay_alu instid0(VALU_DEP_2) | instskip(SKIP_1) | instid1(VALU_DEP_2)
	v_cndmask_b32_e64 v26, v21, 0x78, vcc_lo
	v_cndmask_b32_e32 v13, v23, v13, vcc_lo
	v_add_nc_u32_e32 v21, 20, v26
	v_add_nc_u32_e32 v23, 19, v26
	s_delay_alu instid0(VALU_DEP_2) | instskip(NEXT) | instid1(VALU_DEP_2)
	v_lshlrev_b64 v[21:22], v21, -1
	v_lshlrev_b64 v[23:24], v23, 1
	s_delay_alu instid0(VALU_DEP_2) | instskip(NEXT) | instid1(VALU_DEP_3)
	v_not_b32_e32 v22, v22
	v_not_b32_e32 v21, v21
	s_delay_alu instid0(VALU_DEP_2) | instskip(NEXT) | instid1(VALU_DEP_2)
	v_and_b32_e32 v28, 0, v22
	v_and_b32_e32 v27, v13, v21
	v_lshrrev_b64 v[21:22], v26, v[13:14]
	s_delay_alu instid0(VALU_DEP_2) | instskip(NEXT) | instid1(VALU_DEP_2)
	v_cmp_eq_u64_e64 s2, v[27:28], v[23:24]
	v_dual_mov_b32 v24, v22 :: v_dual_mov_b32 v23, v21
	s_delay_alu instid0(VALU_DEP_2)
	s_and_saveexec_b32 s8, s2
; %bb.317:                              ;   in Loop: Header=BB6_205 Depth=1
	v_bfe_u32 v13, v21, 20, 1
	s_delay_alu instid0(VALU_DEP_1) | instskip(NEXT) | instid1(VALU_DEP_1)
	v_add_co_u32 v13, s2, v21, v13
	v_add_co_u32 v23, s2, v13, -1
; %bb.318:                              ;   in Loop: Header=BB6_205 Depth=1
	s_or_b32 exec_lo, exec_lo, s8
	v_add_nc_u32_e32 v13, 0xffffff81, v25
	v_lshrrev_b32_e32 v24, 23, v21
	s_mov_b32 s2, exec_lo
	s_delay_alu instid0(VALU_DEP_2) | instskip(NEXT) | instid1(VALU_DEP_1)
	v_cndmask_b32_e64 v13, v13, 0xffffff82, vcc_lo
	v_add3_u32 v24, v26, v13, v24
	v_and_b32_e32 v13, 0xfffff, v23
	s_delay_alu instid0(VALU_DEP_2) | instskip(NEXT) | instid1(VALU_DEP_2)
	v_add_nc_u32_e32 v23, 6, v24
	v_add_co_u32 v21, vcc_lo, v13, v21
	v_add_co_ci_u32_e32 v22, vcc_lo, 0, v22, vcc_lo
                                        ; implicit-def: $vgpr13
	s_delay_alu instid0(VALU_DEP_3)
	v_cmpx_ne_u32_e32 0, v23
	s_xor_b32 s2, exec_lo, s2
; %bb.319:                              ;   in Loop: Header=BB6_205 Depth=1
	s_delay_alu instid0(VALU_DEP_2) | instskip(SKIP_1) | instid1(VALU_DEP_1)
	v_cmp_lt_u64_e32 vcc_lo, 0xffffff, v[21:22]
	v_add_nc_u32_e32 v13, 7, v24
	v_cndmask_b32_e32 v13, v23, v13, vcc_lo
	v_cndmask_b32_e64 v23, 0, 1, vcc_lo
	s_delay_alu instid0(VALU_DEP_1)
	v_lshrrev_b64 v[21:22], v23, v[21:22]
; %bb.320:                              ;   in Loop: Header=BB6_205 Depth=1
	s_and_not1_saveexec_b32 s2, s2
; %bb.321:                              ;   in Loop: Header=BB6_205 Depth=1
	s_delay_alu instid0(VALU_DEP_1)
	v_bfe_u32 v13, v21, 23, 1
; %bb.322:                              ;   in Loop: Header=BB6_205 Depth=1
	s_or_b32 exec_lo, exec_lo, s2
	s_delay_alu instid0(VALU_DEP_2) | instskip(NEXT) | instid1(VALU_DEP_2)
	v_lshrrev_b64 v[21:22], 20, v[21:22]
	v_cmp_gt_i32_e32 vcc_lo, 16, v13
	v_cmp_ne_u32_e64 s2, 0, v13
	s_delay_alu instid0(VALU_DEP_3) | instskip(NEXT) | instid1(VALU_DEP_1)
	v_dual_cndmask_b32 v24, 0, v22 :: v_dual_cndmask_b32 v23, 7, v21
                                        ; implicit-def: $vgpr21_vgpr22
	v_cmp_ne_u64_e32 vcc_lo, 0, v[23:24]
	s_delay_alu instid0(VALU_DEP_3) | instskip(NEXT) | instid1(SALU_CYCLE_1)
	s_or_b32 s2, s2, vcc_lo
	s_and_saveexec_b32 s8, s2
	s_delay_alu instid0(SALU_CYCLE_1)
	s_xor_b32 s2, exec_lo, s8
; %bb.323:                              ;   in Loop: Header=BB6_205 Depth=1
	v_min_i32_e32 v13, 15, v13
	s_delay_alu instid0(VALU_DEP_1) | instskip(NEXT) | instid1(VALU_DEP_1)
	v_lshl_or_b32 v2, v13, 3, v2
	v_and_or_b32 v21, v23, 7, v2
                                        ; implicit-def: $vgpr2
; %bb.324:                              ;   in Loop: Header=BB6_205 Depth=1
	s_and_not1_saveexec_b32 s2, s2
; %bb.325:                              ;   in Loop: Header=BB6_205 Depth=1
	v_dual_mov_b32 v22, v3 :: v_dual_mov_b32 v21, v2
; %bb.326:                              ;   in Loop: Header=BB6_205 Depth=1
	s_or_b32 exec_lo, exec_lo, s2
.LBB6_327:                              ;   in Loop: Header=BB6_205 Depth=1
	s_delay_alu instid0(SALU_CYCLE_1)
	s_or_b32 exec_lo, exec_lo, s7
.LBB6_328:                              ;   in Loop: Header=BB6_205 Depth=1
	s_and_not1_saveexec_b32 s2, s6
	s_delay_alu instid0(SALU_CYCLE_1)
	s_or_b32 exec_lo, exec_lo, s2
                                        ; implicit-def: $vgpr22
.LBB6_329:                              ;   in Loop: Header=BB6_205 Depth=1
	s_and_not1_saveexec_b32 s2, s5
; %bb.330:                              ;   in Loop: Header=BB6_205 Depth=1
	v_cmp_eq_u64_e32 vcc_lo, 0, v[13:14]
	v_or_b32_e32 v2, 0x7f, v22
	s_delay_alu instid0(VALU_DEP_1)
	v_cndmask_b32_e32 v21, v2, v21, vcc_lo
; %bb.331:                              ;   in Loop: Header=BB6_205 Depth=1
	s_or_b32 exec_lo, exec_lo, s2
	v_and_b32_e32 v2, 0xffff0000, v3
	s_mov_b32 s2, exec_lo
	s_delay_alu instid0(VALU_DEP_1) | instskip(NEXT) | instid1(VALU_DEP_1)
	v_div_scale_f32 v3, null, s16, s16, v2
	v_rcp_f32_e32 v13, v3
	s_waitcnt_depctr 0xfff
	v_fma_f32 v22, -v3, v13, 1.0
	s_delay_alu instid0(VALU_DEP_1) | instskip(SKIP_1) | instid1(VALU_DEP_1)
	v_fmac_f32_e32 v13, v22, v13
	v_div_scale_f32 v22, vcc_lo, v2, s16, v2
	v_mul_f32_e32 v23, v22, v13
	s_delay_alu instid0(VALU_DEP_1) | instskip(NEXT) | instid1(VALU_DEP_1)
	v_fma_f32 v24, -v3, v23, v22
	v_fmac_f32_e32 v23, v24, v13
	s_delay_alu instid0(VALU_DEP_1) | instskip(NEXT) | instid1(VALU_DEP_1)
	v_fma_f32 v3, -v3, v23, v22
	v_div_fmas_f32 v3, v3, v13, v23
	s_delay_alu instid0(VALU_DEP_1) | instskip(NEXT) | instid1(VALU_DEP_1)
	v_div_fixup_f32 v3, v3, s16, v2
	v_and_b32_e32 v24, 0x7f800000, v3
	v_lshrrev_b32_e32 v23, 24, v3
	v_mov_b32_e32 v25, v14
	v_and_b32_e32 v13, 0x7fffff, v3
	s_delay_alu instid0(VALU_DEP_3) | instskip(NEXT) | instid1(VALU_DEP_1)
	v_and_b32_e32 v2, 0x80, v23
	v_or_b32_e32 v22, 0x7e, v2
	s_delay_alu instid0(VALU_DEP_4)
	v_cmpx_ne_u64_e32 0x7f800000, v[24:25]
	s_xor_b32 s5, exec_lo, s2
	s_cbranch_execz .LBB6_347
; %bb.332:                              ;   in Loop: Header=BB6_205 Depth=1
	v_dual_mov_b32 v24, v14 :: v_dual_and_b32 v23, 0x7fffffff, v3
	s_mov_b32 s2, exec_lo
	s_delay_alu instid0(VALU_DEP_1)
	v_cmpx_gt_u64_e32 0x43e00001, v[23:24]
	s_xor_b32 s6, exec_lo, s2
	s_cbranch_execz .LBB6_346
; %bb.333:                              ;   in Loop: Header=BB6_205 Depth=1
	s_mov_b32 s7, exec_lo
	v_mov_b32_e32 v22, 0
	v_mov_b32_e32 v23, 0
	v_cmpx_ne_u32_e32 0, v3
	s_cbranch_execz .LBB6_345
; %bb.334:                              ;   in Loop: Header=BB6_205 Depth=1
	v_bfe_u32 v3, v3, 23, 8
	v_or_b32_e32 v24, 0x800000, v13
	s_delay_alu instid0(VALU_DEP_2) | instskip(SKIP_1) | instid1(VALU_DEP_2)
	v_sub_nc_u32_e32 v22, 0x79, v3
	v_cmp_gt_u32_e32 vcc_lo, 0x7a, v3
	v_cndmask_b32_e32 v22, 0, v22, vcc_lo
	v_cmp_eq_u32_e32 vcc_lo, 0, v3
	v_cndmask_b32_e32 v13, v24, v13, vcc_lo
	s_delay_alu instid0(VALU_DEP_3) | instskip(NEXT) | instid1(VALU_DEP_1)
	v_cndmask_b32_e64 v26, v22, 0x78, vcc_lo
	v_add_nc_u32_e32 v22, 20, v26
	v_add_nc_u32_e32 v24, 19, v26
	s_delay_alu instid0(VALU_DEP_2) | instskip(NEXT) | instid1(VALU_DEP_2)
	v_lshlrev_b64 v[22:23], v22, -1
	v_lshlrev_b64 v[24:25], v24, 1
	s_delay_alu instid0(VALU_DEP_2) | instskip(NEXT) | instid1(VALU_DEP_3)
	v_not_b32_e32 v23, v23
	v_not_b32_e32 v22, v22
	s_delay_alu instid0(VALU_DEP_2) | instskip(NEXT) | instid1(VALU_DEP_2)
	v_and_b32_e32 v28, 0, v23
	v_and_b32_e32 v27, v13, v22
	v_lshrrev_b64 v[22:23], v26, v[13:14]
	s_delay_alu instid0(VALU_DEP_2) | instskip(NEXT) | instid1(VALU_DEP_2)
	v_cmp_eq_u64_e64 s2, v[27:28], v[24:25]
	v_dual_mov_b32 v25, v23 :: v_dual_mov_b32 v24, v22
	s_delay_alu instid0(VALU_DEP_2)
	s_and_saveexec_b32 s8, s2
; %bb.335:                              ;   in Loop: Header=BB6_205 Depth=1
	v_bfe_u32 v13, v22, 20, 1
	s_delay_alu instid0(VALU_DEP_1) | instskip(NEXT) | instid1(VALU_DEP_1)
	v_add_co_u32 v13, s2, v22, v13
	v_add_co_u32 v24, s2, v13, -1
; %bb.336:                              ;   in Loop: Header=BB6_205 Depth=1
	s_or_b32 exec_lo, exec_lo, s8
	v_add_nc_u32_e32 v3, 0xffffff81, v3
	v_lshrrev_b32_e32 v13, 23, v22
	s_mov_b32 s2, exec_lo
	s_delay_alu instid0(VALU_DEP_2) | instskip(NEXT) | instid1(VALU_DEP_1)
	v_cndmask_b32_e64 v3, v3, 0xffffff82, vcc_lo
	v_add3_u32 v13, v26, v3, v13
	v_and_b32_e32 v3, 0xfffff, v24
	s_delay_alu instid0(VALU_DEP_2) | instskip(NEXT) | instid1(VALU_DEP_2)
	v_add_nc_u32_e32 v24, 6, v13
	v_add_co_u32 v22, vcc_lo, v3, v22
	v_add_co_ci_u32_e32 v23, vcc_lo, 0, v23, vcc_lo
                                        ; implicit-def: $vgpr3
	s_delay_alu instid0(VALU_DEP_3)
	v_cmpx_ne_u32_e32 0, v24
	s_xor_b32 s2, exec_lo, s2
; %bb.337:                              ;   in Loop: Header=BB6_205 Depth=1
	s_delay_alu instid0(VALU_DEP_2) | instskip(SKIP_2) | instid1(VALU_DEP_2)
	v_cmp_lt_u64_e32 vcc_lo, 0xffffff, v[22:23]
	v_add_nc_u32_e32 v3, 7, v13
	v_cndmask_b32_e64 v13, 0, 1, vcc_lo
	v_cndmask_b32_e32 v3, v24, v3, vcc_lo
	s_delay_alu instid0(VALU_DEP_2)
	v_lshrrev_b64 v[22:23], v13, v[22:23]
; %bb.338:                              ;   in Loop: Header=BB6_205 Depth=1
	s_and_not1_saveexec_b32 s2, s2
; %bb.339:                              ;   in Loop: Header=BB6_205 Depth=1
	s_delay_alu instid0(VALU_DEP_1)
	v_bfe_u32 v3, v22, 23, 1
; %bb.340:                              ;   in Loop: Header=BB6_205 Depth=1
	s_or_b32 exec_lo, exec_lo, s2
	s_delay_alu instid0(VALU_DEP_2) | instskip(NEXT) | instid1(VALU_DEP_2)
	v_lshrrev_b64 v[22:23], 20, v[22:23]
	v_cmp_gt_i32_e32 vcc_lo, 16, v3
	v_cmp_ne_u32_e64 s2, 0, v3
	s_delay_alu instid0(VALU_DEP_3) | instskip(NEXT) | instid1(VALU_DEP_1)
	v_dual_cndmask_b32 v25, 0, v23 :: v_dual_cndmask_b32 v24, 7, v22
                                        ; implicit-def: $vgpr22_vgpr23
	v_cmp_ne_u64_e32 vcc_lo, 0, v[24:25]
	s_delay_alu instid0(VALU_DEP_3) | instskip(NEXT) | instid1(SALU_CYCLE_1)
	s_or_b32 s2, s2, vcc_lo
	s_and_saveexec_b32 s8, s2
	s_delay_alu instid0(SALU_CYCLE_1)
	s_xor_b32 s2, exec_lo, s8
; %bb.341:                              ;   in Loop: Header=BB6_205 Depth=1
	v_min_i32_e32 v3, 15, v3
	s_delay_alu instid0(VALU_DEP_1) | instskip(NEXT) | instid1(VALU_DEP_1)
	v_lshl_or_b32 v2, v3, 3, v2
	v_and_or_b32 v22, v24, 7, v2
                                        ; implicit-def: $vgpr2
; %bb.342:                              ;   in Loop: Header=BB6_205 Depth=1
	s_and_not1_saveexec_b32 s2, s2
; %bb.343:                              ;   in Loop: Header=BB6_205 Depth=1
	v_dual_mov_b32 v23, v3 :: v_dual_mov_b32 v22, v2
; %bb.344:                              ;   in Loop: Header=BB6_205 Depth=1
	s_or_b32 exec_lo, exec_lo, s2
.LBB6_345:                              ;   in Loop: Header=BB6_205 Depth=1
	s_delay_alu instid0(SALU_CYCLE_1)
	s_or_b32 exec_lo, exec_lo, s7
.LBB6_346:                              ;   in Loop: Header=BB6_205 Depth=1
	s_and_not1_saveexec_b32 s2, s6
	s_delay_alu instid0(SALU_CYCLE_1)
	s_or_b32 exec_lo, exec_lo, s2
                                        ; implicit-def: $vgpr23
.LBB6_347:                              ;   in Loop: Header=BB6_205 Depth=1
	s_and_not1_saveexec_b32 s2, s5
	s_cbranch_execz .LBB6_204
; %bb.348:                              ;   in Loop: Header=BB6_205 Depth=1
	v_cmp_eq_u64_e32 vcc_lo, 0, v[13:14]
	v_or_b32_e32 v2, 0x7f, v23
	s_delay_alu instid0(VALU_DEP_1)
	v_cndmask_b32_e32 v22, v2, v22, vcc_lo
	s_branch .LBB6_204
.LBB6_349:
	s_or_b32 exec_lo, exec_lo, s3
	s_cmp_lt_i32 s21, 1
	s_cbranch_scc1 .LBB6_378
; %bb.350:
	s_clause 0x1
	s_load_b64 s[2:3], s[0:1], 0x18
	s_load_b64 s[18:19], s[0:1], 0x8
	v_mul_lo_u32 v0, v8, s20
	s_delay_alu instid0(VALU_DEP_1)
	v_ashrrev_i32_e32 v1, 31, v0
	s_waitcnt lgkmcnt(0)
	s_add_u32 s0, s2, s38
	s_addc_u32 s1, s3, s37
	v_add_co_u32 v2, vcc_lo, s0, v9
	s_ashr_i32 s2, s17, 31
	s_cmp_lg_u32 s21, 1
	v_add_co_ci_u32_e32 v3, vcc_lo, s1, v10, vcc_lo
	s_cselect_b32 s3, -1, 0
	s_cmp_eq_u32 s20, 1
	v_add_co_u32 v0, vcc_lo, v2, v0
	s_cselect_b32 s0, -1, 0
	v_add_co_ci_u32_e32 v1, vcc_lo, v3, v1, vcc_lo
	s_and_b32 s0, s3, s0
	s_mul_i32 s2, s2, s22
	s_and_b32 vcc_lo, exec_lo, s0
	v_add_co_u32 v8, s0, v0, s33
	s_delay_alu instid0(VALU_DEP_1)
	v_add_co_ci_u32_e64 v9, s0, s36, v1, s0
	s_mul_hi_u32 s3, s17, s22
	s_mul_i32 s0, s17, s22
	s_cbranch_vccnz .LBB6_353
; %bb.351:
	s_add_i32 s1, s3, s2
	s_mov_b32 s16, 0
	s_lshl_b64 s[4:5], s[0:1], 1
	s_mov_b32 s1, -1
	v_add_co_u32 v0, vcc_lo, s4, v6
	v_add_co_ci_u32_e32 v1, vcc_lo, s5, v7, vcc_lo
	s_delay_alu instid0(VALU_DEP_2) | instskip(NEXT) | instid1(VALU_DEP_2)
	v_add_co_u32 v0, vcc_lo, v0, v4
	v_add_co_ci_u32_e32 v1, vcc_lo, v1, v5, vcc_lo
	s_cbranch_execz .LBB6_354
	s_branch .LBB6_357
.LBB6_352:
                                        ; implicit-def: $sgpr30_sgpr31
	s_load_b64 s[28:29], s[0:1], 0x10
	s_branch .LBB6_4
.LBB6_353:
	s_mov_b32 s1, 0
                                        ; implicit-def: $sgpr16
                                        ; implicit-def: $vgpr0_vgpr1
.LBB6_354:
	s_add_i32 s1, s3, s2
	s_and_b32 s16, s21, 0x7ffffffe
	s_lshl_b64 s[0:1], s[0:1], 1
	s_mov_b32 s15, s23
	v_add_co_u32 v0, vcc_lo, s0, v6
	v_add_co_ci_u32_e32 v1, vcc_lo, s1, v7, vcc_lo
	s_mov_b32 s17, 0
	s_delay_alu instid0(VALU_DEP_2) | instskip(NEXT) | instid1(VALU_DEP_2)
	v_add_co_u32 v0, vcc_lo, v0, v4
	v_add_co_ci_u32_e32 v1, vcc_lo, v1, v5, vcc_lo
	v_mov_b32_e32 v5, 0
	s_delay_alu instid0(VALU_DEP_3) | instskip(NEXT) | instid1(VALU_DEP_3)
	v_add_co_u32 v2, vcc_lo, s18, v0
	v_add_co_ci_u32_e32 v3, vcc_lo, s19, v1, vcc_lo
.LBB6_355:                              ; =>This Inner Loop Header: Depth=1
	global_load_b32 v4, v[2:3], off
	v_mov_b32_e32 v7, v5
	v_mov_b32_e32 v11, v5
	s_ashr_i32 s22, s17, 31
	s_waitcnt vmcnt(0)
	v_and_b32_e32 v6, 0xffff0000, v4
	v_lshlrev_b32_e32 v4, 16, v4
	s_delay_alu instid0(VALU_DEP_2) | instskip(NEXT) | instid1(VALU_DEP_2)
	v_div_scale_f32 v10, null, s15, s15, v6
	v_div_scale_f32 v14, null, s23, s23, v4
	v_div_scale_f32 v12, vcc_lo, v6, s15, v6
	s_delay_alu instid0(VALU_DEP_3) | instskip(NEXT) | instid1(VALU_DEP_2)
	v_rcp_f32_e32 v19, v10
	v_rcp_f32_e32 v22, v14
	v_div_scale_f32 v16, s0, v4, s23, v4
	s_waitcnt_depctr 0xfff
	v_fma_f32 v24, -v10, v19, 1.0
	v_mov_b32_e32 v18, v5
	v_fma_f32 v25, -v14, v22, 1.0
	s_delay_alu instid0(VALU_DEP_3) | instskip(SKIP_1) | instid1(VALU_DEP_3)
	v_fmac_f32_e32 v19, v24, v19
	v_mov_b32_e32 v13, v5
	v_fmac_f32_e32 v22, v25, v22
	v_mov_b32_e32 v20, v5
	s_delay_alu instid0(VALU_DEP_4) | instskip(NEXT) | instid1(VALU_DEP_3)
	v_mul_f32_e32 v24, v12, v19
	v_mul_f32_e32 v25, v16, v22
	s_delay_alu instid0(VALU_DEP_2) | instskip(SKIP_1) | instid1(VALU_DEP_3)
	v_fma_f32 v26, -v10, v24, v12
	v_mov_b32_e32 v15, v5
	v_fma_f32 v27, -v14, v25, v16
	s_delay_alu instid0(VALU_DEP_1) | instskip(NEXT) | instid1(VALU_DEP_1)
	v_dual_fmac_f32 v24, v26, v19 :: v_dual_fmac_f32 v25, v27, v22
	v_fma_f32 v10, -v10, v24, v12
	s_delay_alu instid0(VALU_DEP_2) | instskip(NEXT) | instid1(VALU_DEP_2)
	v_fma_f32 v12, -v14, v25, v16
	v_div_fmas_f32 v10, v10, v19, v24
	s_mov_b32 vcc_lo, s0
	s_delay_alu instid0(VALU_DEP_1) | instskip(SKIP_2) | instid1(VALU_DEP_3)
	v_div_fixup_f32 v14, v10, s15, v6
	v_mov_b32_e32 v17, v5
	v_mov_b32_e32 v21, v5
	v_dual_mov_b32 v23, v5 :: v_dual_and_b32 v16, 0x7fffffff, v14
	v_lshrrev_b32_e32 v24, 24, v14
	v_and_b32_e32 v10, 0x7f800000, v14
	v_and_b32_e32 v6, 0x7fffff, v14
	v_cmp_ne_u32_e64 s0, 0, v14
	v_cmp_lt_u64_e64 s4, 0x43e00000, v[16:17]
	v_and_b32_e32 v27, 0x80, v24
	v_div_fmas_f32 v12, v12, v22, v25
	v_bfe_u32 v22, v14, 23, 8
	v_cmp_eq_u32_e32 vcc_lo, 0, v14
	v_cmp_ne_u64_e64 s3, 0x7f800000, v[10:11]
	v_cmp_gt_u64_e64 s5, 0x43e00001, v[16:17]
	v_div_fixup_f32 v19, v12, s23, v4
	v_sub_nc_u32_e32 v11, 0x79, v22
	v_cmp_gt_u32_e64 s8, 0x7a, v22
	v_cmp_eq_u64_e64 s7, 0, v[6:7]
	v_cmp_eq_u32_e64 s6, 0, v22
	v_and_b32_e32 v4, 0x7fffff, v19
	v_bfe_u32 v25, v19, 23, 8
	v_and_b32_e32 v12, 0x7f800000, v19
	v_and_b32_e32 v14, 0x7fffffff, v19
	v_or_b32_e32 v24, 0x7f, v24
	v_cndmask_b32_e64 v11, 0, v11, s8
	v_cmp_eq_u32_e64 s12, 0, v25
	v_cmp_ne_u64_e64 s9, 0x7f800000, v[12:13]
	v_cmp_lt_u64_e64 s10, 0x43e00000, v[14:15]
	v_cmp_gt_u64_e64 s11, 0x43e00001, v[14:15]
	v_or_b32_e32 v13, 0x800000, v4
	v_or_b32_e32 v15, 0x7e, v27
	s_and_b32 s5, s3, s5
	s_and_b32 s3, s3, s4
	;; [unrolled: 1-line block ×3, first 2 shown]
	s_or_b32 s0, s3, s7
	v_cmp_eq_u64_e64 s14, 0, v[4:5]
	v_cndmask_b32_e64 v17, v13, v4, s12
	v_cndmask_b32_e64 v4, v11, 0x78, s6
	;; [unrolled: 1-line block ×3, first 2 shown]
	s_and_b32 s0, s5, vcc_lo
	v_sub_nc_u32_e32 v12, 0x79, v25
	v_cmp_gt_u32_e64 s13, 0x7a, v25
	v_lshrrev_b32_e32 v26, 24, v19
	v_cndmask_b32_e64 v30, v11, 0, s0
	v_add_nc_u32_e32 v10, 0xffffff81, v22
	v_or_b32_e32 v16, 0x800000, v6
	s_and_b32 s4, s9, s11
	v_and_b32_e32 v28, 0x80, v26
	s_and_b32 s9, s9, s10
	v_cndmask_b32_e64 v22, v10, 0xffffff82, s6
	v_cndmask_b32_e64 v10, 0, v12, s13
	v_cmp_eq_u32_e64 s1, 0, v19
	v_cmp_ne_u32_e64 s2, 0, v19
	v_or_b32_e32 v14, 0x7f, v26
	v_cndmask_b32_e64 v19, v16, v6, s6
	v_cndmask_b32_e64 v29, v10, 0x78, s12
	v_or_b32_e32 v6, 0x7e, v28
	s_or_b32 vcc_lo, s9, s14
	v_add_nc_u32_e32 v7, 0xffffff81, v25
	s_and_b32 s1, s4, s1
	v_add_nc_u32_e32 v15, 20, v29
	v_lshrrev_b64 v[10:11], v29, v[17:18]
	v_cndmask_b32_e32 v12, v14, v6, vcc_lo
	v_cndmask_b32_e64 v26, v7, 0xffffff82, s12
	v_lshrrev_b64 v[6:7], v4, v[19:20]
	v_add_nc_u32_e32 v20, 19, v29
	v_lshlrev_b64 v[15:16], v15, -1
	v_lshrrev_b32_e32 v16, 23, v10
	v_cndmask_b32_e64 v18, v12, 0, s1
	v_add_nc_u32_e32 v14, 19, v4
	v_lshlrev_b64 v[24:25], v20, 1
	v_bfe_u32 v20, v10, 20, 1
	v_add3_u32 v16, v29, v26, v16
	v_lshrrev_b32_e32 v31, 23, v6
	v_not_b32_e32 v15, v15
	v_bfe_u32 v32, v6, 20, 1
	v_add3_u32 v26, v10, v20, -1
	v_add_nc_u32_e32 v13, 20, v4
	v_add3_u32 v4, v4, v22, v31
	v_and_b32_e32 v22, v17, v15
	v_add3_u32 v31, v6, v32, -1
	s_and_b32 s3, s4, s2
	v_lshlrev_b64 v[12:13], v13, -1
	v_lshlrev_b64 v[13:14], v14, 1
	v_cmp_ne_u64_e64 s1, v[22:23], v[24:25]
	v_add_nc_u32_e32 v15, 6, v16
	v_add_nc_u32_e32 v16, 7, v16
	v_not_b32_e32 v12, v12
	s_delay_alu instid0(VALU_DEP_3) | instskip(NEXT) | instid1(VALU_DEP_2)
	v_cmp_ne_u32_e64 s2, 0, v15
	v_and_b32_e32 v20, v19, v12
	v_add_nc_u32_e32 v12, 6, v4
	v_add_nc_u32_e32 v4, 7, v4
	s_delay_alu instid0(VALU_DEP_4) | instskip(NEXT) | instid1(VALU_DEP_3)
	s_and_b32 s2, s3, s2
	v_cmp_ne_u64_e32 vcc_lo, v[20:21], v[13:14]
	s_delay_alu instid0(VALU_DEP_3) | instskip(SKIP_1) | instid1(VALU_DEP_1)
	v_cmp_ne_u32_e64 s0, 0, v12
	s_and_b32 vcc_lo, s8, vcc_lo
	s_and_b32 s0, s8, s0
	v_cndmask_b32_e32 v13, v31, v6, vcc_lo
	s_and_b32 vcc_lo, s3, s1
	s_delay_alu instid0(VALU_DEP_1) | instskip(NEXT) | instid1(VALU_DEP_1)
	v_dual_cndmask_b32 v14, v26, v10 :: v_dual_and_b32 v13, 0xfffff, v13
	v_and_b32_e32 v14, 0xfffff, v14
	s_delay_alu instid0(VALU_DEP_2) | instskip(SKIP_1) | instid1(VALU_DEP_3)
	v_add_co_u32 v6, vcc_lo, v13, v6
	v_add_co_ci_u32_e32 v7, vcc_lo, 0, v7, vcc_lo
	v_add_co_u32 v10, vcc_lo, v14, v10
	v_add_co_ci_u32_e32 v11, vcc_lo, 0, v11, vcc_lo
	s_delay_alu instid0(VALU_DEP_3) | instskip(NEXT) | instid1(VALU_DEP_3)
	v_cmp_lt_u64_e32 vcc_lo, 0xffffff, v[6:7]
	v_bfe_u32 v14, v10, 23, 1
	s_delay_alu instid0(VALU_DEP_3) | instskip(SKIP_2) | instid1(VALU_DEP_3)
	v_cmp_lt_u64_e64 s1, 0xffffff, v[10:11]
	v_cndmask_b32_e32 v4, v12, v4, vcc_lo
	v_bfe_u32 v12, v6, 23, 1
	v_cndmask_b32_e64 v13, v15, v16, s1
	s_delay_alu instid0(VALU_DEP_2) | instskip(SKIP_1) | instid1(VALU_DEP_2)
	v_cndmask_b32_e64 v4, v12, v4, s0
	s_and_b32 s0, s0, vcc_lo
	v_cndmask_b32_e64 v13, v14, v13, s2
	v_cndmask_b32_e64 v12, 0, 1, s0
	s_and_b32 s0, s2, s1
	v_cmp_gt_i32_e64 s1, 16, v4
	v_cndmask_b32_e64 v14, 0, 1, s0
	v_cmp_gt_i32_e64 s2, 16, v13
	v_lshrrev_b64 v[6:7], v12, v[6:7]
	v_cmp_eq_u32_e32 vcc_lo, 0, v4
	v_min_i32_e32 v15, 15, v4
	v_lshrrev_b64 v[10:11], v14, v[10:11]
	v_min_i32_e32 v12, 15, v13
	v_cmp_eq_u32_e64 s0, 0, v13
	v_lshrrev_b64 v[6:7], 20, v[6:7]
	v_lshl_or_b32 v14, v15, 3, v27
	v_lshrrev_b64 v[10:11], 20, v[10:11]
	v_lshl_or_b32 v12, v12, 3, v28
	s_delay_alu instid0(VALU_DEP_4) | instskip(SKIP_1) | instid1(VALU_DEP_4)
	v_cndmask_b32_e64 v7, 0, v7, s1
	v_cndmask_b32_e64 v6, 7, v6, s1
	v_cndmask_b32_e64 v11, 0, v11, s2
	v_cndmask_b32_e64 v10, 7, v10, s2
	s_delay_alu instid0(VALU_DEP_3) | instskip(SKIP_1) | instid1(VALU_DEP_3)
	v_cmp_eq_u64_e64 s1, 0, v[6:7]
	v_and_or_b32 v4, v6, 7, v14
	v_cmp_eq_u64_e64 s2, 0, v[10:11]
	v_and_or_b32 v6, v10, 7, v12
	s_delay_alu instid0(VALU_DEP_4) | instskip(NEXT) | instid1(SALU_CYCLE_1)
	s_and_b32 s1, vcc_lo, s1
	s_and_b32 vcc_lo, s8, s1
	s_delay_alu instid0(VALU_DEP_2)
	s_and_b32 s0, s0, s2
	v_cndmask_b32_e32 v7, v30, v27, vcc_lo
	s_and_b32 vcc_lo, s3, s0
	s_xor_b32 s2, s1, -1
	v_cndmask_b32_e32 v10, v18, v28, vcc_lo
	s_xor_b32 s0, s0, -1
	s_and_b32 vcc_lo, s8, s2
	s_and_b32 s0, s3, s0
	v_cndmask_b32_e32 v4, v7, v4, vcc_lo
	v_cndmask_b32_e64 v7, v10, v6, s0
	v_add_co_u32 v6, vcc_lo, v8, s17
	v_add_co_u32 v2, s0, v2, 4
	s_delay_alu instid0(VALU_DEP_4) | instskip(NEXT) | instid1(VALU_DEP_4)
	v_lshlrev_b16 v4, 8, v4
	v_and_b32_e32 v10, 0xff, v7
	v_add_co_ci_u32_e32 v7, vcc_lo, s22, v9, vcc_lo
	v_add_co_ci_u32_e64 v3, vcc_lo, 0, v3, s0
	s_delay_alu instid0(VALU_DEP_3) | instskip(SKIP_1) | instid1(SALU_CYCLE_1)
	v_or_b32_e32 v4, v10, v4
	s_add_i32 s17, s17, 2
	s_cmp_lg_u32 s16, s17
	global_store_b16 v[6:7], v4, off
	s_cbranch_scc1 .LBB6_355
; %bb.356:
	s_cmp_lg_u32 s16, s21
	s_cselect_b32 s1, -1, 0
.LBB6_357:
	s_delay_alu instid0(SALU_CYCLE_1)
	s_and_b32 vcc_lo, exec_lo, s1
	s_cbranch_vccz .LBB6_378
; %bb.358:
	s_mov_b32 s17, 0
	s_sub_i32 s1, s21, s16
	s_lshl_b64 s[2:3], s[16:17], 1
	v_mov_b32_e32 v3, 0
	s_add_u32 s0, s18, s2
	s_addc_u32 s2, s19, s3
	v_add_co_u32 v0, vcc_lo, s0, v0
	v_add_co_ci_u32_e32 v1, vcc_lo, s2, v1, vcc_lo
	s_mul_i32 s2, s16, s20
	s_branch .LBB6_360
.LBB6_359:                              ;   in Loop: Header=BB6_360 Depth=1
	s_or_b32 exec_lo, exec_lo, s0
	s_ashr_i32 s0, s2, 31
	v_add_co_u32 v6, vcc_lo, v8, s2
	v_add_co_ci_u32_e32 v7, vcc_lo, s0, v9, vcc_lo
	v_add_co_u32 v0, vcc_lo, v0, 2
	v_add_co_ci_u32_e32 v1, vcc_lo, 0, v1, vcc_lo
	s_add_i32 s1, s1, -1
	s_add_i32 s2, s2, s20
	s_cmp_lg_u32 s1, 0
	global_store_b8 v[6:7], v5, off
	s_cbranch_scc0 .LBB6_378
.LBB6_360:                              ; =>This Inner Loop Header: Depth=1
	global_load_u16 v2, v[0:1], off
	s_mov_b32 s0, exec_lo
	v_mov_b32_e32 v12, v3
	s_waitcnt vmcnt(0)
	v_lshlrev_b32_e32 v2, 16, v2
	s_delay_alu instid0(VALU_DEP_1) | instskip(NEXT) | instid1(VALU_DEP_1)
	v_div_scale_f32 v4, null, s23, s23, v2
	v_rcp_f32_e32 v5, v4
	s_waitcnt_depctr 0xfff
	v_fma_f32 v6, -v4, v5, 1.0
	s_delay_alu instid0(VALU_DEP_1) | instskip(SKIP_1) | instid1(VALU_DEP_1)
	v_fmac_f32_e32 v5, v6, v5
	v_div_scale_f32 v6, vcc_lo, v2, s23, v2
	v_mul_f32_e32 v7, v6, v5
	s_delay_alu instid0(VALU_DEP_1) | instskip(NEXT) | instid1(VALU_DEP_1)
	v_fma_f32 v10, -v4, v7, v6
	v_fmac_f32_e32 v7, v10, v5
	s_delay_alu instid0(VALU_DEP_1) | instskip(NEXT) | instid1(VALU_DEP_1)
	v_fma_f32 v4, -v4, v7, v6
	v_div_fmas_f32 v4, v4, v5, v7
	s_delay_alu instid0(VALU_DEP_1) | instskip(NEXT) | instid1(VALU_DEP_1)
	v_div_fixup_f32 v4, v4, s23, v2
	v_lshrrev_b32_e32 v6, 24, v4
	v_and_b32_e32 v11, 0x7f800000, v4
	v_and_b32_e32 v2, 0x7fffff, v4
	s_delay_alu instid0(VALU_DEP_3) | instskip(NEXT) | instid1(VALU_DEP_1)
	v_and_b32_e32 v10, 0x80, v6
	v_or_b32_e32 v5, 0x7e, v10
	s_delay_alu instid0(VALU_DEP_4)
	v_cmpx_ne_u64_e32 0x7f800000, v[11:12]
	s_xor_b32 s3, exec_lo, s0
	s_cbranch_execz .LBB6_376
; %bb.361:                              ;   in Loop: Header=BB6_360 Depth=1
	v_dual_mov_b32 v7, v3 :: v_dual_and_b32 v6, 0x7fffffff, v4
	s_mov_b32 s0, exec_lo
	s_delay_alu instid0(VALU_DEP_1)
	v_cmpx_gt_u64_e32 0x43e00001, v[6:7]
	s_xor_b32 s4, exec_lo, s0
	s_cbranch_execz .LBB6_375
; %bb.362:                              ;   in Loop: Header=BB6_360 Depth=1
	v_mov_b32_e32 v5, 0
	s_mov_b32 s5, exec_lo
	v_cmpx_ne_u32_e32 0, v4
	s_cbranch_execz .LBB6_374
; %bb.363:                              ;   in Loop: Header=BB6_360 Depth=1
	v_bfe_u32 v11, v4, 23, 8
	v_or_b32_e32 v6, 0x800000, v2
	s_delay_alu instid0(VALU_DEP_2) | instskip(SKIP_1) | instid1(VALU_DEP_2)
	v_sub_nc_u32_e32 v4, 0x79, v11
	v_cmp_gt_u32_e32 vcc_lo, 0x7a, v11
	v_cndmask_b32_e32 v4, 0, v4, vcc_lo
	v_cmp_eq_u32_e32 vcc_lo, 0, v11
	s_delay_alu instid0(VALU_DEP_2) | instskip(SKIP_1) | instid1(VALU_DEP_2)
	v_cndmask_b32_e64 v12, v4, 0x78, vcc_lo
	v_cndmask_b32_e32 v2, v6, v2, vcc_lo
	v_add_nc_u32_e32 v4, 20, v12
	v_add_nc_u32_e32 v6, 19, v12
	s_delay_alu instid0(VALU_DEP_2) | instskip(NEXT) | instid1(VALU_DEP_2)
	v_lshlrev_b64 v[4:5], v4, -1
	v_lshlrev_b64 v[6:7], v6, 1
	s_delay_alu instid0(VALU_DEP_2) | instskip(NEXT) | instid1(VALU_DEP_3)
	v_not_b32_e32 v5, v5
	v_not_b32_e32 v4, v4
	s_delay_alu instid0(VALU_DEP_2) | instskip(NEXT) | instid1(VALU_DEP_2)
	v_and_b32_e32 v14, 0, v5
	v_and_b32_e32 v13, v2, v4
	v_lshrrev_b64 v[4:5], v12, v[2:3]
	s_delay_alu instid0(VALU_DEP_2) | instskip(NEXT) | instid1(VALU_DEP_2)
	v_cmp_eq_u64_e64 s0, v[13:14], v[6:7]
	v_dual_mov_b32 v7, v5 :: v_dual_mov_b32 v6, v4
	s_delay_alu instid0(VALU_DEP_2)
	s_and_saveexec_b32 s6, s0
; %bb.364:                              ;   in Loop: Header=BB6_360 Depth=1
	v_bfe_u32 v2, v4, 20, 1
	s_delay_alu instid0(VALU_DEP_1) | instskip(NEXT) | instid1(VALU_DEP_1)
	v_add_co_u32 v2, s0, v4, v2
	v_add_co_u32 v6, s0, v2, -1
; %bb.365:                              ;   in Loop: Header=BB6_360 Depth=1
	s_or_b32 exec_lo, exec_lo, s6
	v_add_nc_u32_e32 v2, 0xffffff81, v11
	v_lshrrev_b32_e32 v7, 23, v4
	s_mov_b32 s0, exec_lo
	s_delay_alu instid0(VALU_DEP_2) | instskip(NEXT) | instid1(VALU_DEP_1)
	v_cndmask_b32_e64 v2, v2, 0xffffff82, vcc_lo
	v_add3_u32 v7, v12, v2, v7
	v_and_b32_e32 v2, 0xfffff, v6
	s_delay_alu instid0(VALU_DEP_2) | instskip(NEXT) | instid1(VALU_DEP_2)
	v_add_nc_u32_e32 v6, 6, v7
	v_add_co_u32 v4, vcc_lo, v2, v4
	v_add_co_ci_u32_e32 v5, vcc_lo, 0, v5, vcc_lo
                                        ; implicit-def: $vgpr2
	s_delay_alu instid0(VALU_DEP_3)
	v_cmpx_ne_u32_e32 0, v6
	s_xor_b32 s0, exec_lo, s0
; %bb.366:                              ;   in Loop: Header=BB6_360 Depth=1
	s_delay_alu instid0(VALU_DEP_2) | instskip(SKIP_1) | instid1(VALU_DEP_1)
	v_cmp_lt_u64_e32 vcc_lo, 0xffffff, v[4:5]
	v_add_nc_u32_e32 v2, 7, v7
	v_cndmask_b32_e32 v2, v6, v2, vcc_lo
	v_cndmask_b32_e64 v6, 0, 1, vcc_lo
	s_delay_alu instid0(VALU_DEP_1)
	v_lshrrev_b64 v[4:5], v6, v[4:5]
; %bb.367:                              ;   in Loop: Header=BB6_360 Depth=1
	s_and_not1_saveexec_b32 s0, s0
; %bb.368:                              ;   in Loop: Header=BB6_360 Depth=1
	s_delay_alu instid0(VALU_DEP_1)
	v_bfe_u32 v2, v4, 23, 1
; %bb.369:                              ;   in Loop: Header=BB6_360 Depth=1
	s_or_b32 exec_lo, exec_lo, s0
	s_delay_alu instid0(VALU_DEP_2) | instskip(NEXT) | instid1(VALU_DEP_2)
	v_lshrrev_b64 v[4:5], 20, v[4:5]
	v_cmp_gt_i32_e32 vcc_lo, 16, v2
	v_cmp_ne_u32_e64 s0, 0, v2
	s_delay_alu instid0(VALU_DEP_3) | instskip(NEXT) | instid1(VALU_DEP_1)
	v_dual_cndmask_b32 v5, 0, v5 :: v_dual_cndmask_b32 v4, 7, v4
	v_cmp_ne_u64_e32 vcc_lo, 0, v[4:5]
                                        ; implicit-def: $vgpr5
	s_delay_alu instid0(VALU_DEP_3) | instskip(NEXT) | instid1(SALU_CYCLE_1)
	s_or_b32 s0, s0, vcc_lo
	s_and_saveexec_b32 s6, s0
	s_delay_alu instid0(SALU_CYCLE_1)
	s_xor_b32 s0, exec_lo, s6
; %bb.370:                              ;   in Loop: Header=BB6_360 Depth=1
	v_min_i32_e32 v2, 15, v2
	s_delay_alu instid0(VALU_DEP_1) | instskip(NEXT) | instid1(VALU_DEP_1)
	v_lshl_or_b32 v2, v2, 3, v10
                                        ; implicit-def: $vgpr10
	v_and_or_b32 v5, v4, 7, v2
; %bb.371:                              ;   in Loop: Header=BB6_360 Depth=1
	s_and_not1_saveexec_b32 s0, s0
; %bb.372:                              ;   in Loop: Header=BB6_360 Depth=1
	v_mov_b32_e32 v5, v10
; %bb.373:                              ;   in Loop: Header=BB6_360 Depth=1
	s_or_b32 exec_lo, exec_lo, s0
.LBB6_374:                              ;   in Loop: Header=BB6_360 Depth=1
	s_delay_alu instid0(SALU_CYCLE_1)
	s_or_b32 exec_lo, exec_lo, s5
.LBB6_375:                              ;   in Loop: Header=BB6_360 Depth=1
	s_and_not1_saveexec_b32 s0, s4
	s_delay_alu instid0(SALU_CYCLE_1)
	s_or_b32 exec_lo, exec_lo, s0
                                        ; implicit-def: $vgpr6
.LBB6_376:                              ;   in Loop: Header=BB6_360 Depth=1
	s_and_not1_saveexec_b32 s0, s3
	s_cbranch_execz .LBB6_359
; %bb.377:                              ;   in Loop: Header=BB6_360 Depth=1
	v_cmp_eq_u64_e32 vcc_lo, 0, v[2:3]
	v_or_b32_e32 v4, 0x7f, v6
	s_delay_alu instid0(VALU_DEP_1)
	v_cndmask_b32_e32 v5, v4, v5, vcc_lo
	s_branch .LBB6_359
.LBB6_378:
	s_nop 0
	s_sendmsg sendmsg(MSG_DEALLOC_VGPRS)
	s_endpgm
	.section	.rodata,"a",@progbits
	.p2align	6, 0x0
	.amdhsa_kernel _ZN4vllm24reshape_and_cache_kernelI14__hip_bfloat16hLNS_18Fp8KVCacheDataTypeE1EEEvPKT_S5_PT0_S7_PKliiiiiiPKfSB_
		.amdhsa_group_segment_fixed_size 0
		.amdhsa_private_segment_fixed_size 0
		.amdhsa_kernarg_size 80
		.amdhsa_user_sgpr_count 15
		.amdhsa_user_sgpr_dispatch_ptr 0
		.amdhsa_user_sgpr_queue_ptr 0
		.amdhsa_user_sgpr_kernarg_segment_ptr 1
		.amdhsa_user_sgpr_dispatch_id 0
		.amdhsa_user_sgpr_private_segment_size 0
		.amdhsa_wavefront_size32 1
		.amdhsa_uses_dynamic_stack 0
		.amdhsa_enable_private_segment 0
		.amdhsa_system_sgpr_workgroup_id_x 1
		.amdhsa_system_sgpr_workgroup_id_y 0
		.amdhsa_system_sgpr_workgroup_id_z 0
		.amdhsa_system_sgpr_workgroup_info 0
		.amdhsa_system_vgpr_workitem_id 0
		.amdhsa_next_free_vgpr 53
		.amdhsa_next_free_sgpr 48
		.amdhsa_reserve_vcc 1
		.amdhsa_float_round_mode_32 0
		.amdhsa_float_round_mode_16_64 0
		.amdhsa_float_denorm_mode_32 3
		.amdhsa_float_denorm_mode_16_64 3
		.amdhsa_dx10_clamp 1
		.amdhsa_ieee_mode 1
		.amdhsa_fp16_overflow 0
		.amdhsa_workgroup_processor_mode 1
		.amdhsa_memory_ordered 1
		.amdhsa_forward_progress 0
		.amdhsa_shared_vgpr_count 0
		.amdhsa_exception_fp_ieee_invalid_op 0
		.amdhsa_exception_fp_denorm_src 0
		.amdhsa_exception_fp_ieee_div_zero 0
		.amdhsa_exception_fp_ieee_overflow 0
		.amdhsa_exception_fp_ieee_underflow 0
		.amdhsa_exception_fp_ieee_inexact 0
		.amdhsa_exception_int_div_zero 0
	.end_amdhsa_kernel
	.section	.text._ZN4vllm24reshape_and_cache_kernelI14__hip_bfloat16hLNS_18Fp8KVCacheDataTypeE1EEEvPKT_S5_PT0_S7_PKliiiiiiPKfSB_,"axG",@progbits,_ZN4vllm24reshape_and_cache_kernelI14__hip_bfloat16hLNS_18Fp8KVCacheDataTypeE1EEEvPKT_S5_PT0_S7_PKliiiiiiPKfSB_,comdat
.Lfunc_end6:
	.size	_ZN4vllm24reshape_and_cache_kernelI14__hip_bfloat16hLNS_18Fp8KVCacheDataTypeE1EEEvPKT_S5_PT0_S7_PKliiiiiiPKfSB_, .Lfunc_end6-_ZN4vllm24reshape_and_cache_kernelI14__hip_bfloat16hLNS_18Fp8KVCacheDataTypeE1EEEvPKT_S5_PT0_S7_PKliiiiiiPKfSB_
                                        ; -- End function
	.section	.AMDGPU.csdata,"",@progbits
; Kernel info:
; codeLenInByte = 19496
; NumSgprs: 50
; NumVgprs: 53
; ScratchSize: 0
; MemoryBound: 0
; FloatMode: 240
; IeeeMode: 1
; LDSByteSize: 0 bytes/workgroup (compile time only)
; SGPRBlocks: 6
; VGPRBlocks: 6
; NumSGPRsForWavesPerEU: 50
; NumVGPRsForWavesPerEU: 53
; Occupancy: 16
; WaveLimiterHint : 0
; COMPUTE_PGM_RSRC2:SCRATCH_EN: 0
; COMPUTE_PGM_RSRC2:USER_SGPR: 15
; COMPUTE_PGM_RSRC2:TRAP_HANDLER: 0
; COMPUTE_PGM_RSRC2:TGID_X_EN: 1
; COMPUTE_PGM_RSRC2:TGID_Y_EN: 0
; COMPUTE_PGM_RSRC2:TGID_Z_EN: 0
; COMPUTE_PGM_RSRC2:TIDIG_COMP_CNT: 0
	.section	.text._ZN4vllm30reshape_and_cache_flash_kernelIffLNS_18Fp8KVCacheDataTypeE0EEEvPKT_S4_PT0_S6_PKlllllliiiPKfSA_i,"axG",@progbits,_ZN4vllm30reshape_and_cache_flash_kernelIffLNS_18Fp8KVCacheDataTypeE0EEEvPKT_S4_PT0_S6_PKlllllliiiPKfSA_i,comdat
	.protected	_ZN4vllm30reshape_and_cache_flash_kernelIffLNS_18Fp8KVCacheDataTypeE0EEEvPKT_S4_PT0_S6_PKlllllliiiPKfSA_i ; -- Begin function _ZN4vllm30reshape_and_cache_flash_kernelIffLNS_18Fp8KVCacheDataTypeE0EEEvPKT_S4_PT0_S6_PKlllllliiiPKfSA_i
	.globl	_ZN4vllm30reshape_and_cache_flash_kernelIffLNS_18Fp8KVCacheDataTypeE0EEEvPKT_S4_PT0_S6_PKlllllliiiPKfSA_i
	.p2align	8
	.type	_ZN4vllm30reshape_and_cache_flash_kernelIffLNS_18Fp8KVCacheDataTypeE0EEEvPKT_S4_PT0_S6_PKlllllliiiPKfSA_i,@function
_ZN4vllm30reshape_and_cache_flash_kernelIffLNS_18Fp8KVCacheDataTypeE0EEEvPKT_S4_PT0_S6_PKlllllliiiPKfSA_i: ; @_ZN4vllm30reshape_and_cache_flash_kernelIffLNS_18Fp8KVCacheDataTypeE0EEEvPKT_S4_PT0_S6_PKlllllliiiPKfSA_i
; %bb.0:
	s_load_b64 s[4:5], s[0:1], 0x20
	s_mov_b32 s2, s15
	s_mov_b32 s3, 0
	s_delay_alu instid0(SALU_CYCLE_1)
	s_lshl_b64 s[6:7], s[2:3], 3
	s_waitcnt lgkmcnt(0)
	s_add_u32 s4, s4, s6
	s_addc_u32 s5, s5, s7
	s_load_b64 s[24:25], s[4:5], 0x0
	s_waitcnt lgkmcnt(0)
	v_cmp_lt_i64_e64 s4, s[24:25], 0
	s_delay_alu instid0(VALU_DEP_1)
	s_and_b32 vcc_lo, exec_lo, s4
	s_cbranch_vccnz .LBB7_71
; %bb.1:
	s_clause 0x1
	s_load_b128 s[20:23], s[0:1], 0x50
	s_load_b256 s[4:11], s[0:1], 0x0
	s_waitcnt lgkmcnt(0)
	s_ashr_i32 s23, s22, 31
	s_delay_alu instid0(SALU_CYCLE_1) | instskip(SKIP_1) | instid1(SALU_CYCLE_1)
	s_or_b64 s[12:13], s[24:25], s[22:23]
	s_mov_b32 s12, s3
	s_cmp_lg_u64 s[12:13], 0
	s_cbranch_scc0 .LBB7_72
; %bb.2:
	s_add_u32 s14, s22, s23
	s_mov_b32 s12, s23
	s_mov_b32 s13, s23
	s_addc_u32 s15, s23, s23
	s_delay_alu instid0(SALU_CYCLE_1) | instskip(NEXT) | instid1(SALU_CYCLE_1)
	s_xor_b64 s[14:15], s[14:15], s[12:13]
	v_cvt_f32_u32_e32 v1, s14
	v_cvt_f32_u32_e32 v2, s15
	s_sub_u32 s17, 0, s14
	s_subb_u32 s18, 0, s15
	s_delay_alu instid0(VALU_DEP_1) | instskip(NEXT) | instid1(VALU_DEP_1)
	v_fmamk_f32 v1, v2, 0x4f800000, v1
	v_rcp_f32_e32 v1, v1
	s_waitcnt_depctr 0xfff
	v_mul_f32_e32 v1, 0x5f7ffffc, v1
	s_delay_alu instid0(VALU_DEP_1) | instskip(NEXT) | instid1(VALU_DEP_1)
	v_mul_f32_e32 v2, 0x2f800000, v1
	v_trunc_f32_e32 v2, v2
	s_delay_alu instid0(VALU_DEP_1) | instskip(SKIP_1) | instid1(VALU_DEP_2)
	v_fmamk_f32 v1, v2, 0xcf800000, v1
	v_cvt_u32_f32_e32 v2, v2
	v_cvt_u32_f32_e32 v1, v1
	s_delay_alu instid0(VALU_DEP_2) | instskip(NEXT) | instid1(VALU_DEP_2)
	v_readfirstlane_b32 s3, v2
	v_readfirstlane_b32 s16, v1
	s_delay_alu instid0(VALU_DEP_2) | instskip(NEXT) | instid1(VALU_DEP_1)
	s_mul_i32 s19, s17, s3
	s_mul_hi_u32 s27, s17, s16
	s_mul_i32 s26, s18, s16
	s_add_i32 s19, s27, s19
	s_mul_i32 s28, s17, s16
	s_add_i32 s19, s19, s26
	s_mul_hi_u32 s27, s16, s28
	s_mul_hi_u32 s29, s3, s28
	s_mul_i32 s26, s3, s28
	s_mul_hi_u32 s28, s16, s19
	s_mul_i32 s16, s16, s19
	s_mul_hi_u32 s30, s3, s19
	s_add_u32 s16, s27, s16
	s_addc_u32 s27, 0, s28
	s_add_u32 s16, s16, s26
	s_mul_i32 s19, s3, s19
	s_addc_u32 s16, s27, s29
	s_addc_u32 s26, s30, 0
	s_add_u32 s16, s16, s19
	s_addc_u32 s19, 0, s26
	v_add_co_u32 v1, s16, v1, s16
	s_delay_alu instid0(VALU_DEP_1) | instskip(SKIP_1) | instid1(VALU_DEP_1)
	s_cmp_lg_u32 s16, 0
	s_addc_u32 s3, s3, s19
	v_readfirstlane_b32 s16, v1
	s_mul_i32 s19, s17, s3
	s_delay_alu instid0(VALU_DEP_1)
	s_mul_hi_u32 s26, s17, s16
	s_mul_i32 s18, s18, s16
	s_add_i32 s19, s26, s19
	s_mul_i32 s17, s17, s16
	s_add_i32 s19, s19, s18
	s_mul_hi_u32 s26, s3, s17
	s_mul_i32 s27, s3, s17
	s_mul_hi_u32 s17, s16, s17
	s_mul_hi_u32 s28, s16, s19
	s_mul_i32 s16, s16, s19
	s_mul_hi_u32 s18, s3, s19
	s_add_u32 s16, s17, s16
	s_addc_u32 s17, 0, s28
	s_add_u32 s16, s16, s27
	s_mul_i32 s19, s3, s19
	s_addc_u32 s16, s17, s26
	s_addc_u32 s17, s18, 0
	s_add_u32 s16, s16, s19
	s_addc_u32 s17, 0, s17
	v_add_co_u32 v1, s16, v1, s16
	s_delay_alu instid0(VALU_DEP_1) | instskip(SKIP_2) | instid1(VALU_DEP_1)
	s_cmp_lg_u32 s16, 0
	s_addc_u32 s3, s3, s17
	s_ashr_i32 s16, s25, 31
	v_readfirstlane_b32 s26, v1
	s_add_u32 s18, s24, s16
	s_mov_b32 s17, s16
	s_addc_u32 s19, s25, s16
	s_delay_alu instid0(SALU_CYCLE_1) | instskip(NEXT) | instid1(SALU_CYCLE_1)
	s_xor_b64 s[18:19], s[18:19], s[16:17]
	s_mul_i32 s28, s18, s3
	s_mul_hi_u32 s29, s18, s26
	s_mul_hi_u32 s27, s18, s3
	;; [unrolled: 1-line block ×3, first 2 shown]
	s_mul_i32 s26, s19, s26
	s_add_u32 s28, s29, s28
	s_addc_u32 s27, 0, s27
	s_mul_hi_u32 s30, s19, s3
	s_add_u32 s26, s28, s26
	s_mul_i32 s3, s19, s3
	s_addc_u32 s26, s27, s31
	s_addc_u32 s27, s30, 0
	s_add_u32 s3, s26, s3
	s_addc_u32 s26, 0, s27
	s_mul_i32 s30, s14, s3
	s_mul_hi_u32 s27, s14, s3
	s_mul_i32 s29, s14, s26
	v_sub_co_u32 v1, s18, s18, s30
	s_mul_i32 s28, s15, s3
	s_add_i32 s27, s27, s29
	s_delay_alu instid0(SALU_CYCLE_1) | instskip(NEXT) | instid1(VALU_DEP_1)
	s_add_i32 s27, s27, s28
	v_sub_co_u32 v2, s29, v1, s14
	s_sub_i32 s28, s19, s27
	s_cmp_lg_u32 s18, 0
	s_subb_u32 s28, s28, s15
	s_cmp_lg_u32 s29, 0
	v_readfirstlane_b32 s29, v2
	s_subb_u32 s28, s28, 0
	s_delay_alu instid0(SALU_CYCLE_1) | instskip(SKIP_1) | instid1(VALU_DEP_1)
	s_cmp_ge_u32 s28, s15
	s_cselect_b32 s30, -1, 0
	s_cmp_ge_u32 s29, s14
	s_cselect_b32 s29, -1, 0
	s_cmp_eq_u32 s28, s15
	s_cselect_b32 s28, s29, s30
	s_add_u32 s29, s3, 1
	s_addc_u32 s30, s26, 0
	s_add_u32 s31, s3, 2
	s_addc_u32 s33, s26, 0
	s_cmp_lg_u32 s28, 0
	s_cselect_b32 s28, s31, s29
	s_cselect_b32 s29, s33, s30
	s_cmp_lg_u32 s18, 0
	v_readfirstlane_b32 s18, v1
	s_subb_u32 s19, s19, s27
	s_delay_alu instid0(SALU_CYCLE_1) | instskip(SKIP_1) | instid1(VALU_DEP_1)
	s_cmp_ge_u32 s19, s15
	s_cselect_b32 s27, -1, 0
	s_cmp_ge_u32 s18, s14
	s_cselect_b32 s14, -1, 0
	s_cmp_eq_u32 s19, s15
	s_cselect_b32 s14, s14, s27
	s_delay_alu instid0(SALU_CYCLE_1) | instskip(SKIP_3) | instid1(SALU_CYCLE_1)
	s_cmp_lg_u32 s14, 0
	s_cselect_b32 s15, s29, s26
	s_cselect_b32 s14, s28, s3
	s_xor_b64 s[12:13], s[16:17], s[12:13]
	s_xor_b64 s[14:15], s[14:15], s[12:13]
	s_delay_alu instid0(SALU_CYCLE_1)
	s_sub_u32 s26, s14, s12
	s_subb_u32 s27, s15, s13
	s_cbranch_execnz .LBB7_4
.LBB7_3:
	v_cvt_f32_u32_e32 v1, s22
	s_sub_i32 s12, 0, s22
	s_mov_b32 s27, 0
	s_delay_alu instid0(VALU_DEP_1) | instskip(SKIP_2) | instid1(VALU_DEP_1)
	v_rcp_iflag_f32_e32 v1, v1
	s_waitcnt_depctr 0xfff
	v_mul_f32_e32 v1, 0x4f7ffffe, v1
	v_cvt_u32_f32_e32 v1, v1
	s_delay_alu instid0(VALU_DEP_1) | instskip(NEXT) | instid1(VALU_DEP_1)
	v_readfirstlane_b32 s3, v1
	s_mul_i32 s12, s12, s3
	s_delay_alu instid0(SALU_CYCLE_1) | instskip(NEXT) | instid1(SALU_CYCLE_1)
	s_mul_hi_u32 s12, s3, s12
	s_add_i32 s3, s3, s12
	s_delay_alu instid0(SALU_CYCLE_1) | instskip(NEXT) | instid1(SALU_CYCLE_1)
	s_mul_hi_u32 s3, s24, s3
	s_mul_i32 s12, s3, s22
	s_add_i32 s13, s3, 1
	s_sub_i32 s12, s24, s12
	s_delay_alu instid0(SALU_CYCLE_1)
	s_sub_i32 s14, s12, s22
	s_cmp_ge_u32 s12, s22
	s_cselect_b32 s3, s13, s3
	s_cselect_b32 s12, s14, s12
	s_add_i32 s13, s3, 1
	s_cmp_ge_u32 s12, s22
	s_cselect_b32 s26, s13, s3
.LBB7_4:
	s_clause 0x1
	s_load_b256 s[12:19], s[0:1], 0x28
	s_load_b64 s[28:29], s[0:1], 0x48
	s_mul_i32 s3, s26, s23
	s_mul_hi_u32 s23, s26, s22
	s_mul_i32 s30, s27, s22
	s_add_i32 s3, s23, s3
	s_mul_i32 s22, s26, s22
	s_add_i32 s3, s3, s30
	s_sub_u32 s22, s24, s22
	s_clause 0x1
	s_load_b32 s23, s[0:1], 0x70
	s_load_b32 s34, s[0:1], 0x84
	s_subb_u32 s31, s25, s3
	s_waitcnt lgkmcnt(0)
	s_mul_i32 s1, s2, s19
	s_mul_hi_u32 s3, s2, s18
	s_mul_i32 s0, s2, s18
	s_add_i32 s1, s3, s1
	s_mul_i32 s24, s2, s29
	s_lshl_b64 s[18:19], s[0:1], 2
	s_mul_hi_u32 s25, s2, s28
	s_add_u32 s29, s4, s18
	s_mul_i32 s2, s2, s28
	s_addc_u32 s30, s5, s19
	s_add_i32 s3, s25, s24
	s_mul_i32 s13, s26, s13
	s_lshl_b64 s[2:3], s[2:3], 2
	s_mul_hi_u32 s1, s26, s12
	s_add_u32 s24, s6, s2
	s_mul_i32 s27, s27, s12
	s_addc_u32 s25, s7, s3
	s_add_i32 s1, s1, s13
	s_mul_i32 s0, s26, s12
	s_add_i32 s1, s1, s27
	s_mul_i32 s15, s22, s15
	s_lshl_b64 s[12:13], s[0:1], 2
	s_mul_hi_u32 s26, s22, s14
	s_add_u32 s27, s8, s12
	s_mul_i32 s31, s31, s14
	s_addc_u32 s28, s9, s13
	s_add_i32 s1, s26, s15
	s_mul_i32 s0, s22, s14
	s_add_i32 s1, s1, s31
	s_delay_alu instid0(SALU_CYCLE_1)
	s_lshl_b64 s[14:15], s[0:1], 2
	s_mov_b32 s0, s21
	s_add_u32 s31, s27, s14
	s_addc_u32 s33, s28, s15
	s_add_u32 s1, s10, s12
	s_addc_u32 s22, s11, s13
	;; [unrolled: 2-line block ×3, first 2 shown]
	s_ashr_i32 s1, s21, 31
	s_delay_alu instid0(SALU_CYCLE_1)
	s_cmp_lg_u64 s[0:1], s[16:17]
	s_cselect_b32 s0, -1, 0
	s_cmp_lg_u32 s23, 0
	s_cselect_b32 s1, -1, 0
	s_and_b32 s28, s34, 0xffff
	s_or_b32 s0, s0, s1
	s_delay_alu instid0(SALU_CYCLE_1)
	s_and_b32 vcc_lo, exec_lo, s0
	s_mov_b32 s0, -1
	s_cbranch_vccz .LBB7_39
; %bb.5:
	v_lshrrev_b32_e32 v24, 5, v0
	s_mov_b32 s34, exec_lo
	s_delay_alu instid0(VALU_DEP_1)
	v_cmpx_gt_i32_e64 s20, v24
	s_cbranch_execz .LBB7_38
; %bb.6:
	v_mad_u64_u32 v[4:5], null, s16, v24, 0
	s_and_b32 s0, s21, 3
	s_lshr_b32 s35, s28, 5
	s_cmp_eq_u32 s0, 0
	v_and_b32_e32 v25, 31, v0
	s_mul_i32 s1, s17, s35
	s_mul_hi_u32 s22, s16, s35
	s_delay_alu instid0(VALU_DEP_2)
	v_mov_b32_e32 v1, v5
	s_cselect_b32 s43, -1, 0
	s_ashr_i32 s36, s21, 2
	s_add_u32 s38, s14, s12
	s_mul_i32 s0, s16, s35
	v_mad_u64_u32 v[5:6], null, s17, v24, v[1:2]
	v_mov_b32_e32 v2, 0
	s_addc_u32 s39, s15, s13
	s_add_i32 s1, s22, s1
	v_lshlrev_b32_e32 v26, 4, v25
	s_lshl_b64 s[22:23], s[0:1], 2
	s_add_u32 s37, s4, s18
	s_delay_alu instid0(VALU_DEP_3)
	v_lshlrev_b64 v[4:5], 2, v[4:5]
	v_mul_lo_u32 v3, s21, v24
	v_cmp_gt_i32_e32 vcc_lo, s36, v25
	v_lshlrev_b32_e32 v31, 2, v25
	s_mov_b32 s41, 0
	s_mul_i32 s42, s21, s35
	v_add_co_u32 v1, s0, s38, v4
	s_delay_alu instid0(VALU_DEP_1) | instskip(SKIP_1) | instid1(VALU_DEP_2)
	v_add_co_ci_u32_e64 v4, s0, s39, v5, s0
	s_addc_u32 s38, s5, s19
	v_add_co_u32 v9, s0, v1, v26
	s_delay_alu instid0(VALU_DEP_1) | instskip(SKIP_1) | instid1(VALU_DEP_1)
	v_add_co_ci_u32_e64 v10, s0, 0, v4, s0
	v_add_co_u32 v27, s0, s37, v26
	v_add_co_ci_u32_e64 v28, null, s38, 0, s0
	s_delay_alu instid0(VALU_DEP_4) | instskip(NEXT) | instid1(VALU_DEP_1)
	v_add_co_u32 v5, s0, s8, v9
	v_add_co_ci_u32_e64 v6, s0, s9, v10, s0
	v_add_co_u32 v7, s0, s8, v1
	s_delay_alu instid0(VALU_DEP_1)
	v_add_co_ci_u32_e64 v8, s0, s9, v4, s0
	v_add_co_u32 v9, s0, s10, v9
	s_add_u32 s39, s6, s2
	v_add_co_ci_u32_e64 v10, s0, s11, v10, s0
	s_addc_u32 s40, s7, s3
	v_add_co_u32 v29, s0, s39, v26
	s_delay_alu instid0(VALU_DEP_1) | instskip(SKIP_1) | instid1(VALU_DEP_1)
	v_add_co_ci_u32_e64 v30, null, s40, 0, s0
	v_add_co_u32 v11, s0, s10, v1
	v_add_co_ci_u32_e64 v12, s0, s11, v4, s0
	s_xor_b32 s43, s43, -1
	s_branch .LBB7_9
.LBB7_7:                                ;   in Loop: Header=BB7_9 Depth=1
	s_or_b32 exec_lo, exec_lo, s45
.LBB7_8:                                ;   in Loop: Header=BB7_9 Depth=1
	s_delay_alu instid0(SALU_CYCLE_1) | instskip(SKIP_1) | instid1(VALU_DEP_1)
	s_or_b32 exec_lo, exec_lo, s44
	v_add_co_u32 v5, s0, v5, s22
	v_add_co_ci_u32_e64 v6, s0, s23, v6, s0
	v_add_co_u32 v7, s0, v7, s22
	v_add_nc_u32_e32 v24, s35, v24
	v_add_co_ci_u32_e64 v8, s0, s23, v8, s0
	v_add_co_u32 v9, s0, v9, s22
	s_delay_alu instid0(VALU_DEP_1) | instskip(NEXT) | instid1(VALU_DEP_4)
	v_add_co_ci_u32_e64 v10, s0, s23, v10, s0
	v_cmp_le_i32_e64 s0, s20, v24
	v_add_co_u32 v11, s1, v11, s22
	v_add_nc_u32_e32 v3, s42, v3
	v_add_co_ci_u32_e64 v12, s1, s23, v12, s1
	s_delay_alu instid0(VALU_DEP_4) | instskip(NEXT) | instid1(SALU_CYCLE_1)
	s_or_b32 s41, s0, s41
	s_and_not1_b32 exec_lo, exec_lo, s41
	s_cbranch_execz .LBB7_38
.LBB7_9:                                ; =>This Loop Header: Depth=1
                                        ;     Child Loop BB7_14 Depth 2
                                        ;     Child Loop BB7_17 Depth 2
	;; [unrolled: 1-line block ×6, first 2 shown]
	v_mul_lo_u32 v13, v24, s21
	v_mad_u64_u32 v[15:16], null, v24, s16, 0
	v_ashrrev_i32_e32 v4, 31, v3
	s_delay_alu instid0(VALU_DEP_3) | instskip(NEXT) | instid1(VALU_DEP_3)
	v_ashrrev_i32_e32 v14, 31, v13
	v_mov_b32_e32 v1, v16
	s_delay_alu instid0(VALU_DEP_2) | instskip(NEXT) | instid1(VALU_DEP_2)
	v_lshlrev_b64 v[17:18], 2, v[13:14]
	v_mad_u64_u32 v[22:23], null, v24, s17, v[1:2]
	v_lshlrev_b64 v[13:14], 2, v[3:4]
	s_delay_alu instid0(VALU_DEP_3) | instskip(NEXT) | instid1(VALU_DEP_1)
	v_add_co_u32 v20, s0, s29, v17
	v_add_co_ci_u32_e64 v21, s0, s30, v18, s0
	s_delay_alu instid0(VALU_DEP_2) | instskip(NEXT) | instid1(VALU_DEP_1)
	v_dual_mov_b32 v16, v22 :: v_dual_and_b32 v1, 15, v20
	v_cmp_ne_u64_e64 s0, 0, v[1:2]
	s_delay_alu instid0(VALU_DEP_1) | instskip(NEXT) | instid1(SALU_CYCLE_1)
	s_or_b32 s0, s43, s0
	s_and_saveexec_b32 s1, s0
	s_delay_alu instid0(SALU_CYCLE_1)
	s_xor_b32 s44, exec_lo, s1
	s_cbranch_execz .LBB7_19
; %bb.10:                               ;   in Loop: Header=BB7_9 Depth=1
	v_sub_nc_u32_e32 v1, 0, v20
	s_mov_b32 s1, exec_lo
	s_delay_alu instid0(VALU_DEP_1) | instskip(NEXT) | instid1(VALU_DEP_1)
	v_bfe_u32 v1, v1, 2, 2
	v_min_i32_e32 v19, s21, v1
	s_delay_alu instid0(VALU_DEP_1)
	v_cmpx_gt_i32_e64 v19, v25
	s_cbranch_execz .LBB7_12
; %bb.11:                               ;   in Loop: Header=BB7_9 Depth=1
	v_add_co_u32 v20, s0, v20, v31
	s_delay_alu instid0(VALU_DEP_1) | instskip(SKIP_2) | instid1(VALU_DEP_1)
	v_add_co_ci_u32_e64 v21, s0, 0, v21, s0
	global_load_b32 v1, v[20:21], off
	v_lshlrev_b64 v[20:21], 2, v[15:16]
	v_add_co_u32 v4, s0, s31, v20
	s_delay_alu instid0(VALU_DEP_1) | instskip(NEXT) | instid1(VALU_DEP_2)
	v_add_co_ci_u32_e64 v21, s0, s33, v21, s0
	v_add_co_u32 v20, s0, v4, v31
	s_delay_alu instid0(VALU_DEP_1)
	v_add_co_ci_u32_e64 v21, s0, 0, v21, s0
	s_waitcnt vmcnt(0)
	global_store_b32 v[20:21], v1, off
.LBB7_12:                               ;   in Loop: Header=BB7_9 Depth=1
	s_or_b32 exec_lo, exec_lo, s1
	v_sub_nc_u32_e32 v1, s21, v19
	v_ashrrev_i32_e32 v20, 31, v19
	s_mov_b32 s45, exec_lo
	s_delay_alu instid0(VALU_DEP_2) | instskip(NEXT) | instid1(VALU_DEP_2)
	v_ashrrev_i32_e32 v4, 31, v1
	v_lshlrev_b64 v[19:20], 2, v[19:20]
	s_delay_alu instid0(VALU_DEP_2) | instskip(NEXT) | instid1(VALU_DEP_1)
	v_lshrrev_b32_e32 v4, 30, v4
	v_add_nc_u32_e32 v4, v1, v4
	s_delay_alu instid0(VALU_DEP_1) | instskip(NEXT) | instid1(VALU_DEP_1)
	v_ashrrev_i32_e32 v4, 2, v4
	v_cmpx_gt_i32_e64 v4, v25
	s_cbranch_execz .LBB7_15
; %bb.13:                               ;   in Loop: Header=BB7_9 Depth=1
	v_add_co_u32 v23, s0, v27, v13
	s_delay_alu instid0(VALU_DEP_1)
	v_add_co_ci_u32_e64 v32, s0, v28, v14, s0
	v_dual_mov_b32 v22, v6 :: v_dual_mov_b32 v21, v5
	v_mov_b32_e32 v33, v25
	s_mov_b32 s46, 0
	.p2align	6
.LBB7_14:                               ;   Parent Loop BB7_9 Depth=1
                                        ; =>  This Inner Loop Header: Depth=2
	v_add_co_u32 v34, s0, v23, v19
	s_delay_alu instid0(VALU_DEP_1)
	v_add_co_ci_u32_e64 v35, s0, v32, v20, s0
	v_add_co_u32 v38, s0, v21, v19
	v_add_nc_u32_e32 v33, 32, v33
	global_load_b128 v[34:37], v[34:35], off
	v_add_co_ci_u32_e64 v39, s0, v22, v20, s0
	v_add_co_u32 v21, s0, 0x200, v21
	s_delay_alu instid0(VALU_DEP_1) | instskip(SKIP_2) | instid1(VALU_DEP_1)
	v_add_co_ci_u32_e64 v22, s0, 0, v22, s0
	v_cmp_ge_i32_e64 s0, v33, v4
	v_add_co_u32 v23, s1, 0x200, v23
	v_add_co_ci_u32_e64 v32, s1, 0, v32, s1
	s_delay_alu instid0(VALU_DEP_3)
	s_or_b32 s46, s0, s46
	s_waitcnt vmcnt(0)
	global_store_b128 v[38:39], v[34:37], off
	s_and_not1_b32 exec_lo, exec_lo, s46
	s_cbranch_execnz .LBB7_14
.LBB7_15:                               ;   in Loop: Header=BB7_9 Depth=1
	s_or_b32 exec_lo, exec_lo, s45
	v_lshl_add_u32 v21, v4, 2, v25
	s_mov_b32 s45, exec_lo
	s_delay_alu instid0(VALU_DEP_1)
	v_cmpx_lt_i32_e64 v21, v1
	s_cbranch_execz .LBB7_18
; %bb.16:                               ;   in Loop: Header=BB7_9 Depth=1
	v_ashrrev_i32_e32 v22, 31, v21
	s_mov_b32 s46, 0
	s_delay_alu instid0(VALU_DEP_1) | instskip(NEXT) | instid1(VALU_DEP_1)
	v_lshlrev_b64 v[22:23], 2, v[21:22]
	v_add_co_u32 v4, s0, v19, v22
	s_delay_alu instid0(VALU_DEP_1) | instskip(NEXT) | instid1(VALU_DEP_2)
	v_add_co_ci_u32_e64 v23, s0, v20, v23, s0
	v_add_co_u32 v19, s0, v4, v13
	s_delay_alu instid0(VALU_DEP_1) | instskip(NEXT) | instid1(VALU_DEP_2)
	v_add_co_ci_u32_e64 v20, s0, v23, v14, s0
	v_add_co_u32 v19, s0, s37, v19
	s_delay_alu instid0(VALU_DEP_1) | instskip(SKIP_1) | instid1(VALU_DEP_1)
	v_add_co_ci_u32_e64 v20, s0, s38, v20, s0
	v_add_co_u32 v22, s0, v7, v4
	v_add_co_ci_u32_e64 v23, s0, v8, v23, s0
	.p2align	6
.LBB7_17:                               ;   Parent Loop BB7_9 Depth=1
                                        ; =>  This Inner Loop Header: Depth=2
	global_load_b32 v4, v[19:20], off
	v_add_nc_u32_e32 v21, 32, v21
	v_add_co_u32 v19, s0, 0x80, v19
	s_delay_alu instid0(VALU_DEP_1) | instskip(NEXT) | instid1(VALU_DEP_3)
	v_add_co_ci_u32_e64 v20, s0, 0, v20, s0
	v_cmp_ge_i32_e64 s0, v21, v1
	s_delay_alu instid0(VALU_DEP_1) | instskip(SKIP_3) | instid1(VALU_DEP_1)
	s_or_b32 s46, s0, s46
	s_waitcnt vmcnt(0)
	global_store_b32 v[22:23], v4, off
	v_add_co_u32 v22, s1, 0x80, v22
	v_add_co_ci_u32_e64 v23, s1, 0, v23, s1
	s_and_not1_b32 exec_lo, exec_lo, s46
	s_cbranch_execnz .LBB7_17
.LBB7_18:                               ;   in Loop: Header=BB7_9 Depth=1
	s_or_b32 exec_lo, exec_lo, s45
.LBB7_19:                               ;   in Loop: Header=BB7_9 Depth=1
	s_and_not1_saveexec_b32 s44, s44
	s_cbranch_execz .LBB7_24
; %bb.20:                               ;   in Loop: Header=BB7_9 Depth=1
	s_and_saveexec_b32 s45, vcc_lo
	s_cbranch_execz .LBB7_23
; %bb.21:                               ;   in Loop: Header=BB7_9 Depth=1
	v_add_co_u32 v1, s0, s37, v13
	s_delay_alu instid0(VALU_DEP_1)
	v_add_co_ci_u32_e64 v4, s0, s38, v14, s0
	v_dual_mov_b32 v20, v8 :: v_dual_mov_b32 v19, v7
	v_mov_b32_e32 v21, v25
	s_mov_b32 s46, 0
	.p2align	6
.LBB7_22:                               ;   Parent Loop BB7_9 Depth=1
                                        ; =>  This Inner Loop Header: Depth=2
	v_add_co_u32 v22, s0, v1, v26
	s_delay_alu instid0(VALU_DEP_1) | instskip(NEXT) | instid1(VALU_DEP_3)
	v_add_co_ci_u32_e64 v23, s0, 0, v4, s0
	v_add_nc_u32_e32 v21, 32, v21
	v_add_co_u32 v1, s1, 0x200, v1
	global_load_b128 v[32:35], v[22:23], off
	v_add_co_u32 v22, s0, v19, v26
	s_delay_alu instid0(VALU_DEP_1) | instskip(SKIP_1) | instid1(VALU_DEP_1)
	v_add_co_ci_u32_e64 v23, s0, 0, v20, s0
	v_add_co_u32 v19, s0, 0x200, v19
	v_add_co_ci_u32_e64 v20, s0, 0, v20, s0
	v_cmp_le_i32_e64 s0, s36, v21
	v_add_co_ci_u32_e64 v4, s1, 0, v4, s1
	s_delay_alu instid0(VALU_DEP_2)
	s_or_b32 s46, s0, s46
	s_waitcnt vmcnt(0)
	global_store_b128 v[22:23], v[32:35], off
	s_and_not1_b32 exec_lo, exec_lo, s46
	s_cbranch_execnz .LBB7_22
.LBB7_23:                               ;   in Loop: Header=BB7_9 Depth=1
	s_or_b32 exec_lo, exec_lo, s45
.LBB7_24:                               ;   in Loop: Header=BB7_9 Depth=1
	s_delay_alu instid0(SALU_CYCLE_1) | instskip(SKIP_1) | instid1(VALU_DEP_1)
	s_or_b32 exec_lo, exec_lo, s44
	v_add_co_u32 v4, s0, s24, v17
	v_add_co_ci_u32_e64 v18, s0, s25, v18, s0
	s_delay_alu instid0(VALU_DEP_2) | instskip(NEXT) | instid1(VALU_DEP_1)
	v_and_b32_e32 v1, 15, v4
	v_cmp_ne_u64_e64 s0, 0, v[1:2]
	s_delay_alu instid0(VALU_DEP_1) | instskip(NEXT) | instid1(SALU_CYCLE_1)
	s_or_b32 s0, s43, s0
	s_and_saveexec_b32 s1, s0
	s_delay_alu instid0(SALU_CYCLE_1)
	s_xor_b32 s44, exec_lo, s1
	s_cbranch_execz .LBB7_34
; %bb.25:                               ;   in Loop: Header=BB7_9 Depth=1
	v_sub_nc_u32_e32 v1, 0, v4
	s_mov_b32 s1, exec_lo
	s_delay_alu instid0(VALU_DEP_1) | instskip(NEXT) | instid1(VALU_DEP_1)
	v_bfe_u32 v1, v1, 2, 2
	v_min_i32_e32 v17, s21, v1
	s_delay_alu instid0(VALU_DEP_1)
	v_cmpx_gt_i32_e64 v17, v25
	s_cbranch_execz .LBB7_27
; %bb.26:                               ;   in Loop: Header=BB7_9 Depth=1
	v_add_co_u32 v19, s0, v4, v31
	s_delay_alu instid0(VALU_DEP_1) | instskip(SKIP_3) | instid1(VALU_DEP_1)
	v_add_co_ci_u32_e64 v20, s0, 0, v18, s0
	v_lshlrev_b64 v[15:16], 2, v[15:16]
	global_load_b32 v1, v[19:20], off
	v_add_co_u32 v4, s0, s26, v15
	v_add_co_ci_u32_e64 v16, s0, s27, v16, s0
	s_delay_alu instid0(VALU_DEP_2) | instskip(NEXT) | instid1(VALU_DEP_1)
	v_add_co_u32 v15, s0, v4, v31
	v_add_co_ci_u32_e64 v16, s0, 0, v16, s0
	s_waitcnt vmcnt(0)
	global_store_b32 v[15:16], v1, off
.LBB7_27:                               ;   in Loop: Header=BB7_9 Depth=1
	s_or_b32 exec_lo, exec_lo, s1
	v_sub_nc_u32_e32 v1, s21, v17
	v_ashrrev_i32_e32 v18, 31, v17
	s_mov_b32 s45, exec_lo
	s_delay_alu instid0(VALU_DEP_2) | instskip(NEXT) | instid1(VALU_DEP_2)
	v_ashrrev_i32_e32 v4, 31, v1
	v_lshlrev_b64 v[15:16], 2, v[17:18]
	s_delay_alu instid0(VALU_DEP_2) | instskip(NEXT) | instid1(VALU_DEP_1)
	v_lshrrev_b32_e32 v4, 30, v4
	v_add_nc_u32_e32 v4, v1, v4
	s_delay_alu instid0(VALU_DEP_1) | instskip(NEXT) | instid1(VALU_DEP_1)
	v_ashrrev_i32_e32 v4, 2, v4
	v_cmpx_gt_i32_e64 v4, v25
	s_cbranch_execz .LBB7_30
; %bb.28:                               ;   in Loop: Header=BB7_9 Depth=1
	v_add_co_u32 v19, s0, v29, v13
	s_delay_alu instid0(VALU_DEP_1)
	v_add_co_ci_u32_e64 v20, s0, v30, v14, s0
	v_dual_mov_b32 v18, v10 :: v_dual_mov_b32 v17, v9
	v_mov_b32_e32 v21, v25
	s_mov_b32 s46, 0
	.p2align	6
.LBB7_29:                               ;   Parent Loop BB7_9 Depth=1
                                        ; =>  This Inner Loop Header: Depth=2
	v_add_co_u32 v22, s0, v19, v15
	s_delay_alu instid0(VALU_DEP_1) | instskip(NEXT) | instid1(VALU_DEP_3)
	v_add_co_ci_u32_e64 v23, s0, v20, v16, s0
	v_add_nc_u32_e32 v21, 32, v21
	v_add_co_u32 v19, s1, 0x200, v19
	global_load_b128 v[32:35], v[22:23], off
	v_add_co_u32 v22, s0, v17, v15
	s_delay_alu instid0(VALU_DEP_1) | instskip(SKIP_1) | instid1(VALU_DEP_1)
	v_add_co_ci_u32_e64 v23, s0, v18, v16, s0
	v_add_co_u32 v17, s0, 0x200, v17
	v_add_co_ci_u32_e64 v18, s0, 0, v18, s0
	v_cmp_ge_i32_e64 s0, v21, v4
	v_add_co_ci_u32_e64 v20, s1, 0, v20, s1
	s_delay_alu instid0(VALU_DEP_2)
	s_or_b32 s46, s0, s46
	s_waitcnt vmcnt(0)
	global_store_b128 v[22:23], v[32:35], off
	s_and_not1_b32 exec_lo, exec_lo, s46
	s_cbranch_execnz .LBB7_29
.LBB7_30:                               ;   in Loop: Header=BB7_9 Depth=1
	s_or_b32 exec_lo, exec_lo, s45
	v_lshl_add_u32 v17, v4, 2, v25
	s_mov_b32 s45, exec_lo
	s_delay_alu instid0(VALU_DEP_1)
	v_cmpx_lt_i32_e64 v17, v1
	s_cbranch_execz .LBB7_33
; %bb.31:                               ;   in Loop: Header=BB7_9 Depth=1
	v_ashrrev_i32_e32 v18, 31, v17
	s_mov_b32 s46, 0
	s_delay_alu instid0(VALU_DEP_1) | instskip(NEXT) | instid1(VALU_DEP_1)
	v_lshlrev_b64 v[18:19], 2, v[17:18]
	v_add_co_u32 v4, s0, v15, v18
	s_delay_alu instid0(VALU_DEP_1) | instskip(NEXT) | instid1(VALU_DEP_2)
	v_add_co_ci_u32_e64 v16, s0, v16, v19, s0
	v_add_co_u32 v13, s0, v4, v13
	s_delay_alu instid0(VALU_DEP_1) | instskip(NEXT) | instid1(VALU_DEP_2)
	v_add_co_ci_u32_e64 v14, s0, v16, v14, s0
	v_add_co_u32 v13, s0, s39, v13
	s_delay_alu instid0(VALU_DEP_1) | instskip(SKIP_1) | instid1(VALU_DEP_1)
	v_add_co_ci_u32_e64 v14, s0, s40, v14, s0
	v_add_co_u32 v15, s0, v11, v4
	v_add_co_ci_u32_e64 v16, s0, v12, v16, s0
	.p2align	6
.LBB7_32:                               ;   Parent Loop BB7_9 Depth=1
                                        ; =>  This Inner Loop Header: Depth=2
	global_load_b32 v4, v[13:14], off
	v_add_nc_u32_e32 v17, 32, v17
	v_add_co_u32 v13, s0, 0x80, v13
	s_delay_alu instid0(VALU_DEP_1) | instskip(NEXT) | instid1(VALU_DEP_3)
	v_add_co_ci_u32_e64 v14, s0, 0, v14, s0
	v_cmp_ge_i32_e64 s0, v17, v1
	s_delay_alu instid0(VALU_DEP_1) | instskip(SKIP_3) | instid1(VALU_DEP_1)
	s_or_b32 s46, s0, s46
	s_waitcnt vmcnt(0)
	global_store_b32 v[15:16], v4, off
	v_add_co_u32 v15, s1, 0x80, v15
	v_add_co_ci_u32_e64 v16, s1, 0, v16, s1
	s_and_not1_b32 exec_lo, exec_lo, s46
	s_cbranch_execnz .LBB7_32
.LBB7_33:                               ;   in Loop: Header=BB7_9 Depth=1
	s_or_b32 exec_lo, exec_lo, s45
                                        ; implicit-def: $vgpr13_vgpr14
.LBB7_34:                               ;   in Loop: Header=BB7_9 Depth=1
	s_and_not1_saveexec_b32 s44, s44
	s_cbranch_execz .LBB7_8
; %bb.35:                               ;   in Loop: Header=BB7_9 Depth=1
	s_and_saveexec_b32 s45, vcc_lo
	s_cbranch_execz .LBB7_7
; %bb.36:                               ;   in Loop: Header=BB7_9 Depth=1
	v_add_co_u32 v1, s0, s39, v13
	s_delay_alu instid0(VALU_DEP_1)
	v_add_co_ci_u32_e64 v4, s0, s40, v14, s0
	v_dual_mov_b32 v14, v12 :: v_dual_mov_b32 v13, v11
	v_mov_b32_e32 v15, v25
	s_mov_b32 s46, 0
	.p2align	6
.LBB7_37:                               ;   Parent Loop BB7_9 Depth=1
                                        ; =>  This Inner Loop Header: Depth=2
	v_add_co_u32 v16, s0, v1, v26
	s_delay_alu instid0(VALU_DEP_1)
	v_add_co_ci_u32_e64 v17, s0, 0, v4, s0
	v_add_co_u32 v20, s0, v13, v26
	v_add_nc_u32_e32 v15, 32, v15
	global_load_b128 v[16:19], v[16:17], off
	v_add_co_ci_u32_e64 v21, s0, 0, v14, s0
	v_add_co_u32 v13, s0, 0x200, v13
	s_delay_alu instid0(VALU_DEP_1) | instskip(SKIP_2) | instid1(VALU_DEP_1)
	v_add_co_ci_u32_e64 v14, s0, 0, v14, s0
	v_cmp_le_i32_e64 s0, s36, v15
	v_add_co_u32 v1, s1, 0x200, v1
	v_add_co_ci_u32_e64 v4, s1, 0, v4, s1
	s_delay_alu instid0(VALU_DEP_3)
	s_or_b32 s46, s0, s46
	s_waitcnt vmcnt(0)
	global_store_b128 v[20:21], v[16:19], off
	s_and_not1_b32 exec_lo, exec_lo, s46
	s_cbranch_execnz .LBB7_37
	s_branch .LBB7_7
.LBB7_38:
	s_or_b32 exec_lo, exec_lo, s34
	s_mov_b32 s0, 0
.LBB7_39:
	s_delay_alu instid0(SALU_CYCLE_1)
	s_and_not1_b32 vcc_lo, exec_lo, s0
	s_cbranch_vccnz .LBB7_71
; %bb.40:
	s_and_b32 s0, s29, 15
	s_mov_b32 s1, 0
	s_delay_alu instid0(SALU_CYCLE_1) | instskip(SKIP_3) | instid1(SALU_CYCLE_1)
	s_cmp_lg_u64 s[0:1], 0
	s_mul_i32 s1, s21, s20
	s_cselect_b32 s0, -1, 0
	s_and_b32 s16, s1, 3
	s_cmp_eq_u32 s16, 0
	s_cselect_b32 s22, -1, 0
	s_cmp_lg_u32 s16, 0
	s_cselect_b32 s16, -1, 0
	s_delay_alu instid0(SALU_CYCLE_1) | instskip(NEXT) | instid1(SALU_CYCLE_1)
	s_or_b32 s0, s0, s16
	s_and_b32 vcc_lo, exec_lo, s0
	s_mov_b32 s0, -1
	s_cbranch_vccz .LBB7_51
; %bb.41:
	s_sub_i32 s0, 0, s29
	s_mov_b32 s17, exec_lo
	s_bfe_u32 s0, s0, 0x20002
	s_delay_alu instid0(SALU_CYCLE_1) | instskip(NEXT) | instid1(SALU_CYCLE_1)
	s_min_i32 s16, s0, s1
	v_cmpx_gt_i32_e64 s16, v0
	s_cbranch_execz .LBB7_44
; %bb.42:
	v_dual_mov_b32 v2, 0 :: v_dual_lshlrev_b32 v1, 2, v0
	v_mov_b32_e32 v3, v0
	s_mov_b32 s20, 0
	s_lshl_b32 s21, s28, 2
	.p2align	6
.LBB7_43:                               ; =>This Inner Loop Header: Depth=1
	s_delay_alu instid0(VALU_DEP_2)
	v_add_co_u32 v4, vcc_lo, s29, v1
	v_add_co_ci_u32_e32 v5, vcc_lo, s30, v2, vcc_lo
	v_add_nc_u32_e32 v3, s28, v3
	global_load_b32 v6, v[4:5], off
	v_add_co_u32 v4, vcc_lo, s31, v1
	v_add_co_ci_u32_e32 v5, vcc_lo, s33, v2, vcc_lo
	v_cmp_le_i32_e32 vcc_lo, s16, v3
	v_add_co_u32 v1, s0, v1, s21
	s_delay_alu instid0(VALU_DEP_1)
	v_add_co_ci_u32_e64 v2, s0, 0, v2, s0
	s_or_b32 s20, vcc_lo, s20
	s_waitcnt vmcnt(0)
	global_store_b32 v[4:5], v6, off
	s_and_not1_b32 exec_lo, exec_lo, s20
	s_cbranch_execnz .LBB7_43
.LBB7_44:
	s_or_b32 exec_lo, exec_lo, s17
	s_sub_i32 s23, s1, s16
	s_ashr_i32 s17, s16, 31
	s_ashr_i32 s0, s23, 31
	s_mov_b32 s35, exec_lo
	s_lshr_b32 s0, s0, 30
	s_delay_alu instid0(SALU_CYCLE_1) | instskip(NEXT) | instid1(SALU_CYCLE_1)
	s_add_i32 s0, s23, s0
	s_ashr_i32 s34, s0, 2
	s_delay_alu instid0(SALU_CYCLE_1)
	v_cmpx_gt_i32_e64 s34, v0
	s_cbranch_execz .LBB7_47
; %bb.45:
	s_lshl_b64 s[20:21], s[16:17], 2
	v_lshlrev_b32_e32 v3, 4, v0
	s_add_u32 s0, s12, s14
	s_addc_u32 s36, s13, s15
	s_add_u32 s0, s8, s0
	s_addc_u32 s8, s9, s36
	v_add_co_u32 v1, s0, s0, v3
	s_delay_alu instid0(VALU_DEP_1) | instskip(SKIP_4) | instid1(VALU_DEP_1)
	v_add_co_ci_u32_e64 v2, null, s8, 0, s0
	s_lshl_b32 s8, s28, 4
	s_add_u32 s0, s4, s18
	s_addc_u32 s4, s5, s19
	v_add_co_u32 v3, s0, s0, v3
	v_add_co_ci_u32_e64 v4, null, s4, 0, s0
	v_mov_b32_e32 v5, v0
	s_mov_b32 s4, 0
	.p2align	6
.LBB7_46:                               ; =>This Inner Loop Header: Depth=1
	s_delay_alu instid0(VALU_DEP_3) | instskip(NEXT) | instid1(VALU_DEP_3)
	v_add_co_u32 v6, vcc_lo, v3, s20
	v_add_co_ci_u32_e32 v7, vcc_lo, s21, v4, vcc_lo
	v_add_co_u32 v10, vcc_lo, v1, s20
	v_add_nc_u32_e32 v5, s28, v5
	global_load_b128 v[6:9], v[6:7], off
	v_add_co_ci_u32_e32 v11, vcc_lo, s21, v2, vcc_lo
	v_add_co_u32 v1, vcc_lo, v1, s8
	v_add_co_ci_u32_e32 v2, vcc_lo, 0, v2, vcc_lo
	v_cmp_le_i32_e32 vcc_lo, s34, v5
	v_add_co_u32 v3, s0, v3, s8
	s_delay_alu instid0(VALU_DEP_1)
	v_add_co_ci_u32_e64 v4, s0, 0, v4, s0
	s_or_b32 s4, vcc_lo, s4
	s_waitcnt vmcnt(0)
	global_store_b128 v[10:11], v[6:9], off
	s_and_not1_b32 exec_lo, exec_lo, s4
	s_cbranch_execnz .LBB7_46
.LBB7_47:
	s_or_b32 exec_lo, exec_lo, s35
	v_lshl_add_u32 v1, s34, 2, v0
	s_mov_b32 s4, exec_lo
	s_delay_alu instid0(VALU_DEP_1)
	v_cmpx_gt_i32_e64 s23, v1
	s_cbranch_execz .LBB7_50
; %bb.48:
	v_ashrrev_i32_e32 v2, 31, v1
	s_lshl_b64 s[8:9], s[16:17], 2
	s_lshl_b32 s5, s28, 2
	s_delay_alu instid0(VALU_DEP_1) | instskip(NEXT) | instid1(VALU_DEP_1)
	v_lshlrev_b64 v[2:3], 2, v[1:2]
	v_add_co_u32 v2, vcc_lo, s8, v2
	s_delay_alu instid0(VALU_DEP_2)
	v_add_co_ci_u32_e32 v3, vcc_lo, s9, v3, vcc_lo
	s_mov_b32 s8, 0
	.p2align	6
.LBB7_49:                               ; =>This Inner Loop Header: Depth=1
	s_delay_alu instid0(VALU_DEP_2) | instskip(NEXT) | instid1(VALU_DEP_2)
	v_add_co_u32 v4, vcc_lo, s29, v2
	v_add_co_ci_u32_e32 v5, vcc_lo, s30, v3, vcc_lo
	v_add_nc_u32_e32 v1, s28, v1
	global_load_b32 v6, v[4:5], off
	v_add_co_u32 v4, vcc_lo, s31, v2
	v_add_co_ci_u32_e32 v5, vcc_lo, s33, v3, vcc_lo
	v_cmp_le_i32_e32 vcc_lo, s23, v1
	v_add_co_u32 v2, s0, v2, s5
	s_delay_alu instid0(VALU_DEP_1)
	v_add_co_ci_u32_e64 v3, s0, 0, v3, s0
	s_or_b32 s8, vcc_lo, s8
	s_waitcnt vmcnt(0)
	global_store_b32 v[4:5], v6, off
	s_and_not1_b32 exec_lo, exec_lo, s8
	s_cbranch_execnz .LBB7_49
.LBB7_50:
	s_or_b32 exec_lo, exec_lo, s4
	s_mov_b32 s0, 0
.LBB7_51:
	s_delay_alu instid0(SALU_CYCLE_1)
	s_and_b32 vcc_lo, exec_lo, s0
	s_cbranch_vccz .LBB7_56
; %bb.52:
	s_ashr_i32 s0, s1, 2
	s_mov_b32 s4, exec_lo
	v_cmpx_gt_i32_e64 s0, v0
	s_cbranch_execz .LBB7_55
; %bb.53:
	v_dual_mov_b32 v2, v0 :: v_dual_lshlrev_b32 v1, 4, v0
	s_mov_b32 s5, 0
	s_lshl_b32 s8, s28, 4
	.p2align	6
.LBB7_54:                               ; =>This Inner Loop Header: Depth=1
	s_delay_alu instid0(VALU_DEP_1) | instskip(NEXT) | instid1(VALU_DEP_1)
	v_add_co_u32 v3, s9, s29, v1
	v_add_co_ci_u32_e64 v4, null, s30, 0, s9
	v_add_nc_u32_e32 v2, s28, v2
	v_add_co_u32 v7, s9, s31, v1
	global_load_b128 v[3:6], v[3:4], off
	s_add_u32 s31, s31, s8
	v_cmp_le_i32_e32 vcc_lo, s0, v2
	v_add_co_ci_u32_e64 v8, null, s33, 0, s9
	s_addc_u32 s33, s33, 0
	s_add_u32 s29, s29, s8
	s_addc_u32 s30, s30, 0
	s_or_b32 s5, vcc_lo, s5
	s_waitcnt vmcnt(0)
	global_store_b128 v[7:8], v[3:6], off
	s_and_not1_b32 exec_lo, exec_lo, s5
	s_cbranch_execnz .LBB7_54
.LBB7_55:
	s_or_b32 exec_lo, exec_lo, s4
.LBB7_56:
	s_and_b32 s4, s24, 15
	s_mov_b32 s5, 0
	s_delay_alu instid0(SALU_CYCLE_1) | instskip(SKIP_2) | instid1(SALU_CYCLE_1)
	s_cmp_lg_u64 s[4:5], 0
	s_cselect_b32 s0, -1, 0
	s_xor_b32 s4, s22, -1
	s_or_b32 s0, s4, s0
	s_delay_alu instid0(SALU_CYCLE_1)
	s_and_b32 vcc_lo, exec_lo, s0
	s_mov_b32 s0, -1
	s_cbranch_vccz .LBB7_67
; %bb.57:
	s_sub_i32 s0, 0, s24
	s_mov_b32 s5, exec_lo
	s_bfe_u32 s0, s0, 0x20002
	s_delay_alu instid0(SALU_CYCLE_1) | instskip(NEXT) | instid1(SALU_CYCLE_1)
	s_min_i32 s4, s0, s1
	v_cmpx_gt_i32_e64 s4, v0
	s_cbranch_execz .LBB7_60
; %bb.58:
	v_dual_mov_b32 v2, 0 :: v_dual_lshlrev_b32 v1, 2, v0
	v_mov_b32_e32 v3, v0
	s_mov_b32 s8, 0
	s_lshl_b32 s9, s28, 2
	.p2align	6
.LBB7_59:                               ; =>This Inner Loop Header: Depth=1
	s_delay_alu instid0(VALU_DEP_2)
	v_add_co_u32 v4, vcc_lo, s24, v1
	v_add_co_ci_u32_e32 v5, vcc_lo, s25, v2, vcc_lo
	v_add_nc_u32_e32 v3, s28, v3
	global_load_b32 v6, v[4:5], off
	v_add_co_u32 v4, vcc_lo, s26, v1
	v_add_co_ci_u32_e32 v5, vcc_lo, s27, v2, vcc_lo
	v_cmp_le_i32_e32 vcc_lo, s4, v3
	v_add_co_u32 v1, s0, v1, s9
	s_delay_alu instid0(VALU_DEP_1)
	v_add_co_ci_u32_e64 v2, s0, 0, v2, s0
	s_or_b32 s8, vcc_lo, s8
	s_waitcnt vmcnt(0)
	global_store_b32 v[4:5], v6, off
	s_and_not1_b32 exec_lo, exec_lo, s8
	s_cbranch_execnz .LBB7_59
.LBB7_60:
	s_or_b32 exec_lo, exec_lo, s5
	s_sub_i32 s16, s1, s4
	s_ashr_i32 s5, s4, 31
	s_ashr_i32 s0, s16, 31
	s_mov_b32 s18, exec_lo
	s_lshr_b32 s0, s0, 30
	s_delay_alu instid0(SALU_CYCLE_1) | instskip(NEXT) | instid1(SALU_CYCLE_1)
	s_add_i32 s0, s16, s0
	s_ashr_i32 s17, s0, 2
	s_delay_alu instid0(SALU_CYCLE_1)
	v_cmpx_gt_i32_e64 s17, v0
	s_cbranch_execz .LBB7_63
; %bb.61:
	s_lshl_b64 s[8:9], s[4:5], 2
	v_lshlrev_b32_e32 v3, 4, v0
	s_add_u32 s0, s12, s14
	s_addc_u32 s12, s13, s15
	s_add_u32 s0, s10, s0
	s_addc_u32 s10, s11, s12
	v_add_co_u32 v1, s0, s0, v3
	s_delay_alu instid0(VALU_DEP_1) | instskip(SKIP_4) | instid1(VALU_DEP_1)
	v_add_co_ci_u32_e64 v2, null, s10, 0, s0
	s_lshl_b32 s10, s28, 4
	s_add_u32 s0, s6, s2
	s_addc_u32 s2, s7, s3
	v_add_co_u32 v3, s0, s0, v3
	v_add_co_ci_u32_e64 v4, null, s2, 0, s0
	v_mov_b32_e32 v5, v0
	s_mov_b32 s2, 0
	.p2align	6
.LBB7_62:                               ; =>This Inner Loop Header: Depth=1
	s_delay_alu instid0(VALU_DEP_3) | instskip(NEXT) | instid1(VALU_DEP_3)
	v_add_co_u32 v6, vcc_lo, v3, s8
	v_add_co_ci_u32_e32 v7, vcc_lo, s9, v4, vcc_lo
	v_add_co_u32 v10, vcc_lo, v1, s8
	v_add_nc_u32_e32 v5, s28, v5
	global_load_b128 v[6:9], v[6:7], off
	v_add_co_ci_u32_e32 v11, vcc_lo, s9, v2, vcc_lo
	v_add_co_u32 v1, vcc_lo, v1, s10
	v_add_co_ci_u32_e32 v2, vcc_lo, 0, v2, vcc_lo
	v_cmp_le_i32_e32 vcc_lo, s17, v5
	v_add_co_u32 v3, s0, v3, s10
	s_delay_alu instid0(VALU_DEP_1)
	v_add_co_ci_u32_e64 v4, s0, 0, v4, s0
	s_or_b32 s2, vcc_lo, s2
	s_waitcnt vmcnt(0)
	global_store_b128 v[10:11], v[6:9], off
	s_and_not1_b32 exec_lo, exec_lo, s2
	s_cbranch_execnz .LBB7_62
.LBB7_63:
	s_or_b32 exec_lo, exec_lo, s18
	v_lshl_add_u32 v1, s17, 2, v0
	s_mov_b32 s2, exec_lo
	s_delay_alu instid0(VALU_DEP_1)
	v_cmpx_gt_i32_e64 s16, v1
	s_cbranch_execz .LBB7_66
; %bb.64:
	v_ashrrev_i32_e32 v2, 31, v1
	s_lshl_b64 s[4:5], s[4:5], 2
	s_lshl_b32 s3, s28, 2
	s_delay_alu instid0(VALU_DEP_1) | instskip(NEXT) | instid1(VALU_DEP_1)
	v_lshlrev_b64 v[2:3], 2, v[1:2]
	v_add_co_u32 v2, vcc_lo, s4, v2
	s_delay_alu instid0(VALU_DEP_2)
	v_add_co_ci_u32_e32 v3, vcc_lo, s5, v3, vcc_lo
	s_mov_b32 s4, 0
	.p2align	6
.LBB7_65:                               ; =>This Inner Loop Header: Depth=1
	s_delay_alu instid0(VALU_DEP_2) | instskip(NEXT) | instid1(VALU_DEP_2)
	v_add_co_u32 v4, vcc_lo, s24, v2
	v_add_co_ci_u32_e32 v5, vcc_lo, s25, v3, vcc_lo
	v_add_nc_u32_e32 v1, s28, v1
	global_load_b32 v6, v[4:5], off
	v_add_co_u32 v4, vcc_lo, s26, v2
	v_add_co_ci_u32_e32 v5, vcc_lo, s27, v3, vcc_lo
	v_cmp_le_i32_e32 vcc_lo, s16, v1
	v_add_co_u32 v2, s0, v2, s3
	s_delay_alu instid0(VALU_DEP_1)
	v_add_co_ci_u32_e64 v3, s0, 0, v3, s0
	s_or_b32 s4, vcc_lo, s4
	s_waitcnt vmcnt(0)
	global_store_b32 v[4:5], v6, off
	s_and_not1_b32 exec_lo, exec_lo, s4
	s_cbranch_execnz .LBB7_65
.LBB7_66:
	s_or_b32 exec_lo, exec_lo, s2
	s_mov_b32 s0, 0
.LBB7_67:
	s_delay_alu instid0(SALU_CYCLE_1)
	s_and_b32 vcc_lo, exec_lo, s0
	s_cbranch_vccz .LBB7_71
; %bb.68:
	s_ashr_i32 s0, s1, 2
	s_mov_b32 s1, exec_lo
	v_cmpx_gt_i32_e64 s0, v0
	s_cbranch_execz .LBB7_71
; %bb.69:
	v_lshlrev_b32_e32 v1, 4, v0
	s_mov_b32 s1, 0
	s_lshl_b32 s2, s28, 4
	.p2align	6
.LBB7_70:                               ; =>This Inner Loop Header: Depth=1
	s_delay_alu instid0(VALU_DEP_1) | instskip(NEXT) | instid1(VALU_DEP_1)
	v_add_co_u32 v2, s3, s24, v1
	v_add_co_ci_u32_e64 v3, null, s25, 0, s3
	v_add_nc_u32_e32 v0, s28, v0
	v_add_co_u32 v6, s3, s26, v1
	global_load_b128 v[2:5], v[2:3], off
	s_add_u32 s26, s26, s2
	v_cmp_le_i32_e32 vcc_lo, s0, v0
	v_add_co_ci_u32_e64 v7, null, s27, 0, s3
	s_addc_u32 s27, s27, 0
	s_add_u32 s24, s24, s2
	s_addc_u32 s25, s25, 0
	s_or_b32 s1, vcc_lo, s1
	s_waitcnt vmcnt(0)
	global_store_b128 v[6:7], v[2:5], off
	s_and_not1_b32 exec_lo, exec_lo, s1
	s_cbranch_execnz .LBB7_70
.LBB7_71:
	s_nop 0
	s_sendmsg sendmsg(MSG_DEALLOC_VGPRS)
	s_endpgm
.LBB7_72:
                                        ; implicit-def: $sgpr26_sgpr27
	s_branch .LBB7_3
	.section	.rodata,"a",@progbits
	.p2align	6, 0x0
	.amdhsa_kernel _ZN4vllm30reshape_and_cache_flash_kernelIffLNS_18Fp8KVCacheDataTypeE0EEEvPKT_S4_PT0_S6_PKlllllliiiPKfSA_i
		.amdhsa_group_segment_fixed_size 0
		.amdhsa_private_segment_fixed_size 0
		.amdhsa_kernarg_size 376
		.amdhsa_user_sgpr_count 15
		.amdhsa_user_sgpr_dispatch_ptr 0
		.amdhsa_user_sgpr_queue_ptr 0
		.amdhsa_user_sgpr_kernarg_segment_ptr 1
		.amdhsa_user_sgpr_dispatch_id 0
		.amdhsa_user_sgpr_private_segment_size 0
		.amdhsa_wavefront_size32 1
		.amdhsa_uses_dynamic_stack 0
		.amdhsa_enable_private_segment 0
		.amdhsa_system_sgpr_workgroup_id_x 1
		.amdhsa_system_sgpr_workgroup_id_y 0
		.amdhsa_system_sgpr_workgroup_id_z 0
		.amdhsa_system_sgpr_workgroup_info 0
		.amdhsa_system_vgpr_workitem_id 0
		.amdhsa_next_free_vgpr 40
		.amdhsa_next_free_sgpr 47
		.amdhsa_reserve_vcc 1
		.amdhsa_float_round_mode_32 0
		.amdhsa_float_round_mode_16_64 0
		.amdhsa_float_denorm_mode_32 3
		.amdhsa_float_denorm_mode_16_64 3
		.amdhsa_dx10_clamp 1
		.amdhsa_ieee_mode 1
		.amdhsa_fp16_overflow 0
		.amdhsa_workgroup_processor_mode 1
		.amdhsa_memory_ordered 1
		.amdhsa_forward_progress 0
		.amdhsa_shared_vgpr_count 0
		.amdhsa_exception_fp_ieee_invalid_op 0
		.amdhsa_exception_fp_denorm_src 0
		.amdhsa_exception_fp_ieee_div_zero 0
		.amdhsa_exception_fp_ieee_overflow 0
		.amdhsa_exception_fp_ieee_underflow 0
		.amdhsa_exception_fp_ieee_inexact 0
		.amdhsa_exception_int_div_zero 0
	.end_amdhsa_kernel
	.section	.text._ZN4vllm30reshape_and_cache_flash_kernelIffLNS_18Fp8KVCacheDataTypeE0EEEvPKT_S4_PT0_S6_PKlllllliiiPKfSA_i,"axG",@progbits,_ZN4vllm30reshape_and_cache_flash_kernelIffLNS_18Fp8KVCacheDataTypeE0EEEvPKT_S4_PT0_S6_PKlllllliiiPKfSA_i,comdat
.Lfunc_end7:
	.size	_ZN4vllm30reshape_and_cache_flash_kernelIffLNS_18Fp8KVCacheDataTypeE0EEEvPKT_S4_PT0_S6_PKlllllliiiPKfSA_i, .Lfunc_end7-_ZN4vllm30reshape_and_cache_flash_kernelIffLNS_18Fp8KVCacheDataTypeE0EEEvPKT_S4_PT0_S6_PKlllllliiiPKfSA_i
                                        ; -- End function
	.section	.AMDGPU.csdata,"",@progbits
; Kernel info:
; codeLenInByte = 4784
; NumSgprs: 49
; NumVgprs: 40
; ScratchSize: 0
; MemoryBound: 0
; FloatMode: 240
; IeeeMode: 1
; LDSByteSize: 0 bytes/workgroup (compile time only)
; SGPRBlocks: 6
; VGPRBlocks: 4
; NumSGPRsForWavesPerEU: 49
; NumVGPRsForWavesPerEU: 40
; Occupancy: 16
; WaveLimiterHint : 1
; COMPUTE_PGM_RSRC2:SCRATCH_EN: 0
; COMPUTE_PGM_RSRC2:USER_SGPR: 15
; COMPUTE_PGM_RSRC2:TRAP_HANDLER: 0
; COMPUTE_PGM_RSRC2:TGID_X_EN: 1
; COMPUTE_PGM_RSRC2:TGID_Y_EN: 0
; COMPUTE_PGM_RSRC2:TGID_Z_EN: 0
; COMPUTE_PGM_RSRC2:TIDIG_COMP_CNT: 0
	.section	.text._ZN4vllm30reshape_and_cache_flash_kernelIttLNS_18Fp8KVCacheDataTypeE0EEEvPKT_S4_PT0_S6_PKlllllliiiPKfSA_i,"axG",@progbits,_ZN4vllm30reshape_and_cache_flash_kernelIttLNS_18Fp8KVCacheDataTypeE0EEEvPKT_S4_PT0_S6_PKlllllliiiPKfSA_i,comdat
	.protected	_ZN4vllm30reshape_and_cache_flash_kernelIttLNS_18Fp8KVCacheDataTypeE0EEEvPKT_S4_PT0_S6_PKlllllliiiPKfSA_i ; -- Begin function _ZN4vllm30reshape_and_cache_flash_kernelIttLNS_18Fp8KVCacheDataTypeE0EEEvPKT_S4_PT0_S6_PKlllllliiiPKfSA_i
	.globl	_ZN4vllm30reshape_and_cache_flash_kernelIttLNS_18Fp8KVCacheDataTypeE0EEEvPKT_S4_PT0_S6_PKlllllliiiPKfSA_i
	.p2align	8
	.type	_ZN4vllm30reshape_and_cache_flash_kernelIttLNS_18Fp8KVCacheDataTypeE0EEEvPKT_S4_PT0_S6_PKlllllliiiPKfSA_i,@function
_ZN4vllm30reshape_and_cache_flash_kernelIttLNS_18Fp8KVCacheDataTypeE0EEEvPKT_S4_PT0_S6_PKlllllliiiPKfSA_i: ; @_ZN4vllm30reshape_and_cache_flash_kernelIttLNS_18Fp8KVCacheDataTypeE0EEEvPKT_S4_PT0_S6_PKlllllliiiPKfSA_i
; %bb.0:
	s_load_b64 s[4:5], s[0:1], 0x20
	s_mov_b32 s2, s15
	s_mov_b32 s3, 0
	s_delay_alu instid0(SALU_CYCLE_1)
	s_lshl_b64 s[6:7], s[2:3], 3
	s_waitcnt lgkmcnt(0)
	s_add_u32 s4, s4, s6
	s_addc_u32 s5, s5, s7
	s_load_b64 s[24:25], s[4:5], 0x0
	s_waitcnt lgkmcnt(0)
	v_cmp_lt_i64_e64 s4, s[24:25], 0
	s_delay_alu instid0(VALU_DEP_1)
	s_and_b32 vcc_lo, exec_lo, s4
	s_cbranch_vccnz .LBB8_91
; %bb.1:
	s_clause 0x1
	s_load_b128 s[20:23], s[0:1], 0x50
	s_load_b256 s[4:11], s[0:1], 0x0
	s_waitcnt lgkmcnt(0)
	s_ashr_i32 s23, s22, 31
	s_delay_alu instid0(SALU_CYCLE_1) | instskip(SKIP_1) | instid1(SALU_CYCLE_1)
	s_or_b64 s[12:13], s[24:25], s[22:23]
	s_mov_b32 s12, s3
	s_cmp_lg_u64 s[12:13], 0
	s_cbranch_scc0 .LBB8_92
; %bb.2:
	s_add_u32 s14, s22, s23
	s_mov_b32 s12, s23
	s_mov_b32 s13, s23
	s_addc_u32 s15, s23, s23
	s_delay_alu instid0(SALU_CYCLE_1) | instskip(NEXT) | instid1(SALU_CYCLE_1)
	s_xor_b64 s[14:15], s[14:15], s[12:13]
	v_cvt_f32_u32_e32 v1, s14
	v_cvt_f32_u32_e32 v2, s15
	s_sub_u32 s17, 0, s14
	s_subb_u32 s18, 0, s15
	s_delay_alu instid0(VALU_DEP_1) | instskip(NEXT) | instid1(VALU_DEP_1)
	v_fmamk_f32 v1, v2, 0x4f800000, v1
	v_rcp_f32_e32 v1, v1
	s_waitcnt_depctr 0xfff
	v_mul_f32_e32 v1, 0x5f7ffffc, v1
	s_delay_alu instid0(VALU_DEP_1) | instskip(NEXT) | instid1(VALU_DEP_1)
	v_mul_f32_e32 v2, 0x2f800000, v1
	v_trunc_f32_e32 v2, v2
	s_delay_alu instid0(VALU_DEP_1) | instskip(SKIP_1) | instid1(VALU_DEP_2)
	v_fmamk_f32 v1, v2, 0xcf800000, v1
	v_cvt_u32_f32_e32 v2, v2
	v_cvt_u32_f32_e32 v1, v1
	s_delay_alu instid0(VALU_DEP_2) | instskip(NEXT) | instid1(VALU_DEP_2)
	v_readfirstlane_b32 s3, v2
	v_readfirstlane_b32 s16, v1
	s_delay_alu instid0(VALU_DEP_2) | instskip(NEXT) | instid1(VALU_DEP_1)
	s_mul_i32 s19, s17, s3
	s_mul_hi_u32 s27, s17, s16
	s_mul_i32 s26, s18, s16
	s_add_i32 s19, s27, s19
	s_mul_i32 s28, s17, s16
	s_add_i32 s19, s19, s26
	s_mul_hi_u32 s27, s16, s28
	s_mul_hi_u32 s29, s3, s28
	s_mul_i32 s26, s3, s28
	s_mul_hi_u32 s28, s16, s19
	s_mul_i32 s16, s16, s19
	s_mul_hi_u32 s30, s3, s19
	s_add_u32 s16, s27, s16
	s_addc_u32 s27, 0, s28
	s_add_u32 s16, s16, s26
	s_mul_i32 s19, s3, s19
	s_addc_u32 s16, s27, s29
	s_addc_u32 s26, s30, 0
	s_add_u32 s16, s16, s19
	s_addc_u32 s19, 0, s26
	v_add_co_u32 v1, s16, v1, s16
	s_delay_alu instid0(VALU_DEP_1) | instskip(SKIP_1) | instid1(VALU_DEP_1)
	s_cmp_lg_u32 s16, 0
	s_addc_u32 s3, s3, s19
	v_readfirstlane_b32 s16, v1
	s_mul_i32 s19, s17, s3
	s_delay_alu instid0(VALU_DEP_1)
	s_mul_hi_u32 s26, s17, s16
	s_mul_i32 s18, s18, s16
	s_add_i32 s19, s26, s19
	s_mul_i32 s17, s17, s16
	s_add_i32 s19, s19, s18
	s_mul_hi_u32 s26, s3, s17
	s_mul_i32 s27, s3, s17
	s_mul_hi_u32 s17, s16, s17
	s_mul_hi_u32 s28, s16, s19
	s_mul_i32 s16, s16, s19
	s_mul_hi_u32 s18, s3, s19
	s_add_u32 s16, s17, s16
	s_addc_u32 s17, 0, s28
	s_add_u32 s16, s16, s27
	s_mul_i32 s19, s3, s19
	s_addc_u32 s16, s17, s26
	s_addc_u32 s17, s18, 0
	s_add_u32 s16, s16, s19
	s_addc_u32 s17, 0, s17
	v_add_co_u32 v1, s16, v1, s16
	s_delay_alu instid0(VALU_DEP_1) | instskip(SKIP_2) | instid1(VALU_DEP_1)
	s_cmp_lg_u32 s16, 0
	s_addc_u32 s3, s3, s17
	s_ashr_i32 s16, s25, 31
	v_readfirstlane_b32 s26, v1
	s_add_u32 s18, s24, s16
	s_mov_b32 s17, s16
	s_addc_u32 s19, s25, s16
	s_delay_alu instid0(SALU_CYCLE_1) | instskip(NEXT) | instid1(SALU_CYCLE_1)
	s_xor_b64 s[18:19], s[18:19], s[16:17]
	s_mul_i32 s28, s18, s3
	s_mul_hi_u32 s29, s18, s26
	s_mul_hi_u32 s27, s18, s3
	;; [unrolled: 1-line block ×3, first 2 shown]
	s_mul_i32 s26, s19, s26
	s_add_u32 s28, s29, s28
	s_addc_u32 s27, 0, s27
	s_mul_hi_u32 s30, s19, s3
	s_add_u32 s26, s28, s26
	s_mul_i32 s3, s19, s3
	s_addc_u32 s26, s27, s31
	s_addc_u32 s27, s30, 0
	s_add_u32 s3, s26, s3
	s_addc_u32 s26, 0, s27
	s_mul_i32 s30, s14, s3
	s_mul_hi_u32 s27, s14, s3
	s_mul_i32 s29, s14, s26
	v_sub_co_u32 v1, s18, s18, s30
	s_mul_i32 s28, s15, s3
	s_add_i32 s27, s27, s29
	s_delay_alu instid0(SALU_CYCLE_1) | instskip(NEXT) | instid1(VALU_DEP_1)
	s_add_i32 s27, s27, s28
	v_sub_co_u32 v2, s29, v1, s14
	s_sub_i32 s28, s19, s27
	s_cmp_lg_u32 s18, 0
	s_subb_u32 s28, s28, s15
	s_cmp_lg_u32 s29, 0
	v_readfirstlane_b32 s29, v2
	s_subb_u32 s28, s28, 0
	s_delay_alu instid0(SALU_CYCLE_1) | instskip(SKIP_1) | instid1(VALU_DEP_1)
	s_cmp_ge_u32 s28, s15
	s_cselect_b32 s30, -1, 0
	s_cmp_ge_u32 s29, s14
	s_cselect_b32 s29, -1, 0
	s_cmp_eq_u32 s28, s15
	s_cselect_b32 s28, s29, s30
	s_add_u32 s29, s3, 1
	s_addc_u32 s30, s26, 0
	s_add_u32 s31, s3, 2
	s_addc_u32 s33, s26, 0
	s_cmp_lg_u32 s28, 0
	s_cselect_b32 s28, s31, s29
	s_cselect_b32 s29, s33, s30
	s_cmp_lg_u32 s18, 0
	v_readfirstlane_b32 s18, v1
	s_subb_u32 s19, s19, s27
	s_delay_alu instid0(SALU_CYCLE_1) | instskip(SKIP_1) | instid1(VALU_DEP_1)
	s_cmp_ge_u32 s19, s15
	s_cselect_b32 s27, -1, 0
	s_cmp_ge_u32 s18, s14
	s_cselect_b32 s14, -1, 0
	s_cmp_eq_u32 s19, s15
	s_cselect_b32 s14, s14, s27
	s_delay_alu instid0(SALU_CYCLE_1) | instskip(SKIP_3) | instid1(SALU_CYCLE_1)
	s_cmp_lg_u32 s14, 0
	s_cselect_b32 s15, s29, s26
	s_cselect_b32 s14, s28, s3
	s_xor_b64 s[12:13], s[16:17], s[12:13]
	s_xor_b64 s[14:15], s[14:15], s[12:13]
	s_delay_alu instid0(SALU_CYCLE_1)
	s_sub_u32 s26, s14, s12
	s_subb_u32 s27, s15, s13
	s_cbranch_execnz .LBB8_4
.LBB8_3:
	v_cvt_f32_u32_e32 v1, s22
	s_sub_i32 s12, 0, s22
	s_mov_b32 s27, 0
	s_delay_alu instid0(VALU_DEP_1) | instskip(SKIP_2) | instid1(VALU_DEP_1)
	v_rcp_iflag_f32_e32 v1, v1
	s_waitcnt_depctr 0xfff
	v_mul_f32_e32 v1, 0x4f7ffffe, v1
	v_cvt_u32_f32_e32 v1, v1
	s_delay_alu instid0(VALU_DEP_1) | instskip(NEXT) | instid1(VALU_DEP_1)
	v_readfirstlane_b32 s3, v1
	s_mul_i32 s12, s12, s3
	s_delay_alu instid0(SALU_CYCLE_1) | instskip(NEXT) | instid1(SALU_CYCLE_1)
	s_mul_hi_u32 s12, s3, s12
	s_add_i32 s3, s3, s12
	s_delay_alu instid0(SALU_CYCLE_1) | instskip(NEXT) | instid1(SALU_CYCLE_1)
	s_mul_hi_u32 s3, s24, s3
	s_mul_i32 s12, s3, s22
	s_add_i32 s13, s3, 1
	s_sub_i32 s12, s24, s12
	s_delay_alu instid0(SALU_CYCLE_1)
	s_sub_i32 s14, s12, s22
	s_cmp_ge_u32 s12, s22
	s_cselect_b32 s3, s13, s3
	s_cselect_b32 s12, s14, s12
	s_add_i32 s13, s3, 1
	s_cmp_ge_u32 s12, s22
	s_cselect_b32 s26, s13, s3
.LBB8_4:
	s_clause 0x1
	s_load_b256 s[12:19], s[0:1], 0x28
	s_load_b64 s[28:29], s[0:1], 0x48
	s_mul_i32 s3, s26, s23
	s_mul_hi_u32 s23, s26, s22
	s_mul_i32 s30, s27, s22
	s_add_i32 s3, s23, s3
	s_mul_i32 s22, s26, s22
	s_add_i32 s3, s3, s30
	s_sub_u32 s22, s24, s22
	s_clause 0x1
	s_load_b32 s23, s[0:1], 0x70
	s_load_b32 s34, s[0:1], 0x84
	s_subb_u32 s31, s25, s3
	s_waitcnt lgkmcnt(0)
	s_mul_i32 s1, s2, s19
	s_mul_hi_u32 s3, s2, s18
	s_mul_i32 s0, s2, s18
	s_add_i32 s1, s3, s1
	s_mul_i32 s24, s2, s29
	s_lshl_b64 s[18:19], s[0:1], 1
	s_mul_hi_u32 s25, s2, s28
	s_add_u32 s29, s4, s18
	s_mul_i32 s2, s2, s28
	s_addc_u32 s30, s5, s19
	s_add_i32 s3, s25, s24
	s_mul_i32 s13, s26, s13
	s_lshl_b64 s[2:3], s[2:3], 1
	s_mul_hi_u32 s1, s26, s12
	s_add_u32 s24, s6, s2
	s_mul_i32 s27, s27, s12
	s_addc_u32 s25, s7, s3
	s_add_i32 s1, s1, s13
	s_mul_i32 s0, s26, s12
	s_add_i32 s1, s1, s27
	s_mul_i32 s15, s22, s15
	s_lshl_b64 s[12:13], s[0:1], 1
	s_mul_hi_u32 s26, s22, s14
	s_add_u32 s27, s8, s12
	s_mul_i32 s31, s31, s14
	s_addc_u32 s28, s9, s13
	s_add_i32 s1, s26, s15
	s_mul_i32 s0, s22, s14
	s_add_i32 s1, s1, s31
	s_delay_alu instid0(SALU_CYCLE_1)
	s_lshl_b64 s[14:15], s[0:1], 1
	s_mov_b32 s0, s21
	s_add_u32 s31, s27, s14
	s_addc_u32 s33, s28, s15
	s_add_u32 s1, s10, s12
	s_addc_u32 s22, s11, s13
	;; [unrolled: 2-line block ×3, first 2 shown]
	s_ashr_i32 s1, s21, 31
	s_delay_alu instid0(SALU_CYCLE_1)
	s_cmp_lg_u64 s[0:1], s[16:17]
	s_cselect_b32 s0, -1, 0
	s_cmp_lg_u32 s23, 0
	s_cselect_b32 s1, -1, 0
	s_and_b32 s28, s34, 0xffff
	s_or_b32 s0, s0, s1
	s_delay_alu instid0(SALU_CYCLE_1)
	s_and_b32 vcc_lo, exec_lo, s0
	s_mov_b32 s0, -1
	s_cbranch_vccz .LBB8_49
; %bb.5:
	v_lshrrev_b32_e32 v24, 5, v0
	s_mov_b32 s34, exec_lo
	s_delay_alu instid0(VALU_DEP_1)
	v_cmpx_gt_i32_e64 s20, v24
	s_cbranch_execz .LBB8_48
; %bb.6:
	v_mad_u64_u32 v[3:4], null, s16, v24, 0
	v_dual_mov_b32 v2, 0 :: v_dual_and_b32 v25, 31, v0
	s_and_b32 s0, s21, 7
	s_lshr_b32 s35, s28, 5
	s_cmp_eq_u32 s0, 0
	s_mul_i32 s1, s17, s35
	s_delay_alu instid0(VALU_DEP_2) | instskip(SKIP_3) | instid1(VALU_DEP_1)
	v_dual_mov_b32 v1, v4 :: v_dual_lshlrev_b32 v28, 4, v25
	s_mul_hi_u32 s22, s16, s35
	s_cselect_b32 s43, -1, 0
	s_ashr_i32 s36, s21, 3
	v_mad_u64_u32 v[4:5], null, s17, v24, v[1:2]
	s_add_u32 s38, s14, s12
	s_mul_i32 s0, s16, s35
	s_addc_u32 s39, s15, s13
	s_add_i32 s1, s22, s1
	v_mul_lo_u32 v5, s21, v24
	s_lshl_b64 s[22:23], s[0:1], 1
	s_delay_alu instid0(VALU_DEP_2)
	v_lshlrev_b64 v[3:4], 1, v[3:4]
	s_add_u32 s37, s4, s18
	v_not_b32_e32 v26, v25
	v_or_b32_e32 v27, 32, v25
	v_cmp_gt_i32_e32 vcc_lo, s36, v25
	v_lshlrev_b32_e32 v33, 1, v25
	v_add_co_u32 v1, s0, s38, v3
	s_delay_alu instid0(VALU_DEP_1) | instskip(SKIP_1) | instid1(VALU_DEP_2)
	v_add_co_ci_u32_e64 v6, s0, s39, v4, s0
	s_addc_u32 s38, s5, s19
	v_add_co_u32 v9, s0, v1, v28
	s_delay_alu instid0(VALU_DEP_1) | instskip(SKIP_1) | instid1(VALU_DEP_1)
	v_add_co_ci_u32_e64 v10, s0, 0, v6, s0
	v_add_co_u32 v29, s0, s37, v28
	v_add_co_ci_u32_e64 v30, null, s38, 0, s0
	s_delay_alu instid0(VALU_DEP_4) | instskip(NEXT) | instid1(VALU_DEP_1)
	v_add_co_u32 v3, s0, s8, v9
	v_add_co_ci_u32_e64 v4, s0, s9, v10, s0
	v_add_co_u32 v7, s0, s8, v1
	s_delay_alu instid0(VALU_DEP_1)
	v_add_co_ci_u32_e64 v8, s0, s9, v6, s0
	v_add_co_u32 v9, s0, s10, v9
	s_add_u32 s39, s6, s2
	v_add_co_ci_u32_e64 v10, s0, s11, v10, s0
	s_addc_u32 s40, s7, s3
	v_add_co_u32 v31, s0, s39, v28
	s_delay_alu instid0(VALU_DEP_1) | instskip(SKIP_1) | instid1(VALU_DEP_1)
	v_add_co_ci_u32_e64 v32, null, s40, 0, s0
	v_add_co_u32 v11, s0, s10, v1
	v_add_co_ci_u32_e64 v12, s0, s11, v6, s0
	s_mov_b32 s41, 0
	s_mul_i32 s42, s21, s35
	s_xor_b32 s43, s43, -1
	s_branch .LBB8_9
.LBB8_7:                                ;   in Loop: Header=BB8_9 Depth=1
	s_or_b32 exec_lo, exec_lo, s45
.LBB8_8:                                ;   in Loop: Header=BB8_9 Depth=1
	s_delay_alu instid0(SALU_CYCLE_1) | instskip(SKIP_1) | instid1(VALU_DEP_1)
	s_or_b32 exec_lo, exec_lo, s44
	v_add_co_u32 v3, s0, v3, s22
	v_add_co_ci_u32_e64 v4, s0, s23, v4, s0
	v_add_co_u32 v7, s0, v7, s22
	v_add_nc_u32_e32 v24, s35, v24
	v_add_co_ci_u32_e64 v8, s0, s23, v8, s0
	v_add_co_u32 v9, s0, v9, s22
	s_delay_alu instid0(VALU_DEP_1) | instskip(NEXT) | instid1(VALU_DEP_4)
	v_add_co_ci_u32_e64 v10, s0, s23, v10, s0
	v_cmp_le_i32_e64 s0, s20, v24
	v_add_co_u32 v11, s1, v11, s22
	v_add_nc_u32_e32 v5, s42, v5
	v_add_co_ci_u32_e64 v12, s1, s23, v12, s1
	s_delay_alu instid0(VALU_DEP_4) | instskip(NEXT) | instid1(SALU_CYCLE_1)
	s_or_b32 s41, s0, s41
	s_and_not1_b32 exec_lo, exec_lo, s41
	s_cbranch_execz .LBB8_48
.LBB8_9:                                ; =>This Loop Header: Depth=1
                                        ;     Child Loop BB8_14 Depth 2
                                        ;     Child Loop BB8_18 Depth 2
	;; [unrolled: 1-line block ×8, first 2 shown]
	v_mul_lo_u32 v13, v24, s21
	v_mad_u64_u32 v[15:16], null, v24, s16, 0
	v_ashrrev_i32_e32 v6, 31, v5
	s_delay_alu instid0(VALU_DEP_3) | instskip(NEXT) | instid1(VALU_DEP_3)
	v_ashrrev_i32_e32 v14, 31, v13
	v_mov_b32_e32 v1, v16
	s_delay_alu instid0(VALU_DEP_2) | instskip(NEXT) | instid1(VALU_DEP_2)
	v_lshlrev_b64 v[17:18], 1, v[13:14]
	v_mad_u64_u32 v[13:14], null, v24, s17, v[1:2]
	s_delay_alu instid0(VALU_DEP_2) | instskip(NEXT) | instid1(VALU_DEP_1)
	v_add_co_u32 v23, s0, s29, v17
	v_add_co_ci_u32_e64 v34, s0, s30, v18, s0
	s_delay_alu instid0(VALU_DEP_2) | instskip(SKIP_1) | instid1(VALU_DEP_2)
	v_dual_mov_b32 v16, v13 :: v_dual_and_b32 v1, 15, v23
	v_lshlrev_b64 v[13:14], 1, v[5:6]
	v_lshlrev_b64 v[15:16], 1, v[15:16]
	s_delay_alu instid0(VALU_DEP_3) | instskip(NEXT) | instid1(VALU_DEP_1)
	v_cmp_ne_u64_e64 s0, 0, v[1:2]
	s_or_b32 s0, s43, s0
	s_delay_alu instid0(SALU_CYCLE_1) | instskip(NEXT) | instid1(SALU_CYCLE_1)
	s_and_saveexec_b32 s1, s0
	s_xor_b32 s44, exec_lo, s1
	s_cbranch_execz .LBB8_24
; %bb.10:                               ;   in Loop: Header=BB8_9 Depth=1
	v_sub_nc_u32_e32 v1, 0, v23
	v_add_co_u32 v6, s0, s31, v15
	s_delay_alu instid0(VALU_DEP_1) | instskip(NEXT) | instid1(VALU_DEP_3)
	v_add_co_ci_u32_e64 v35, s0, s33, v16, s0
	v_bfe_u32 v1, v1, 1, 3
	s_mov_b32 s1, exec_lo
	s_delay_alu instid0(VALU_DEP_1) | instskip(NEXT) | instid1(VALU_DEP_1)
	v_min_i32_e32 v19, s21, v1
	v_cmpx_gt_i32_e64 v19, v25
	s_cbranch_execz .LBB8_12
; %bb.11:                               ;   in Loop: Header=BB8_9 Depth=1
	v_add_co_u32 v20, s0, v23, v33
	s_delay_alu instid0(VALU_DEP_1) | instskip(SKIP_2) | instid1(VALU_DEP_1)
	v_add_co_ci_u32_e64 v21, s0, 0, v34, s0
	global_load_u16 v1, v[20:21], off
	v_add_co_u32 v20, s0, v6, v33
	v_add_co_ci_u32_e64 v21, s0, 0, v35, s0
	s_waitcnt vmcnt(0)
	global_store_b16 v[20:21], v1, off
.LBB8_12:                               ;   in Loop: Header=BB8_9 Depth=1
	s_or_b32 exec_lo, exec_lo, s1
	v_sub_nc_u32_e32 v1, s21, v19
	s_mov_b32 s45, exec_lo
	s_delay_alu instid0(VALU_DEP_1) | instskip(NEXT) | instid1(VALU_DEP_1)
	v_ashrrev_i32_e32 v20, 31, v1
	v_lshrrev_b32_e32 v20, 29, v20
	s_delay_alu instid0(VALU_DEP_1) | instskip(SKIP_1) | instid1(VALU_DEP_2)
	v_add_nc_u32_e32 v21, v1, v20
	v_ashrrev_i32_e32 v20, 31, v19
	v_ashrrev_i32_e32 v36, 3, v21
	s_delay_alu instid0(VALU_DEP_2) | instskip(NEXT) | instid1(VALU_DEP_2)
	v_lshlrev_b64 v[19:20], 1, v[19:20]
	v_cmpx_gt_i32_e64 v36, v25
	s_cbranch_execz .LBB8_15
; %bb.13:                               ;   in Loop: Header=BB8_9 Depth=1
	v_add_co_u32 v37, s0, v29, v13
	s_delay_alu instid0(VALU_DEP_1)
	v_add_co_ci_u32_e64 v38, s0, v30, v14, s0
	v_dual_mov_b32 v22, v4 :: v_dual_mov_b32 v21, v3
	v_mov_b32_e32 v39, v25
	s_mov_b32 s46, 0
	.p2align	6
.LBB8_14:                               ;   Parent Loop BB8_9 Depth=1
                                        ; =>  This Inner Loop Header: Depth=2
	v_add_co_u32 v40, s0, v37, v19
	s_delay_alu instid0(VALU_DEP_1)
	v_add_co_ci_u32_e64 v41, s0, v38, v20, s0
	v_add_co_u32 v44, s0, v21, v19
	v_add_nc_u32_e32 v39, 32, v39
	global_load_b128 v[40:43], v[40:41], off
	v_add_co_ci_u32_e64 v45, s0, v22, v20, s0
	v_add_co_u32 v21, s0, 0x200, v21
	s_delay_alu instid0(VALU_DEP_1) | instskip(SKIP_2) | instid1(VALU_DEP_1)
	v_add_co_ci_u32_e64 v22, s0, 0, v22, s0
	v_cmp_ge_i32_e64 s0, v39, v36
	v_add_co_u32 v37, s1, 0x200, v37
	v_add_co_ci_u32_e64 v38, s1, 0, v38, s1
	s_delay_alu instid0(VALU_DEP_3)
	s_or_b32 s46, s0, s46
	s_waitcnt vmcnt(0)
	global_store_b128 v[44:45], v[40:43], off
	s_and_not1_b32 exec_lo, exec_lo, s46
	s_cbranch_execnz .LBB8_14
.LBB8_15:                               ;   in Loop: Header=BB8_9 Depth=1
	s_or_b32 exec_lo, exec_lo, s45
	v_lshlrev_b32_e32 v22, 3, v36
	s_mov_b32 s45, exec_lo
	s_delay_alu instid0(VALU_DEP_1) | instskip(NEXT) | instid1(VALU_DEP_1)
	v_add_nc_u32_e32 v21, v22, v25
	v_cmpx_lt_i32_e64 v21, v1
	s_cbranch_execz .LBB8_23
; %bb.16:                               ;   in Loop: Header=BB8_9 Depth=1
	v_add_nc_u32_e32 v36, v27, v22
	s_mov_b32 s1, -1
	s_mov_b32 s46, exec_lo
	s_delay_alu instid0(VALU_DEP_1) | instskip(NEXT) | instid1(VALU_DEP_1)
	v_max_i32_e32 v36, v36, v1
	v_add_nc_u32_e32 v36, v36, v26
	s_delay_alu instid0(VALU_DEP_1) | instskip(NEXT) | instid1(VALU_DEP_1)
	v_sub_nc_u32_e32 v22, v36, v22
	v_cmpx_lt_u32_e32 31, v22
	s_cbranch_execz .LBB8_20
; %bb.17:                               ;   in Loop: Header=BB8_9 Depth=1
	v_lshrrev_b32_e32 v22, 5, v22
	v_add_co_u32 v37, s0, v23, v19
	s_delay_alu instid0(VALU_DEP_1) | instskip(NEXT) | instid1(VALU_DEP_3)
	v_add_co_ci_u32_e64 v34, s0, v34, v20, s0
	v_add_nc_u32_e32 v36, 1, v22
	v_add_nc_u32_e32 v22, 32, v21
	v_add_co_u32 v6, s0, v6, v19
	s_delay_alu instid0(VALU_DEP_1) | instskip(NEXT) | instid1(VALU_DEP_3)
	v_add_co_ci_u32_e64 v35, s0, v35, v20, s0
	v_dual_mov_b32 v23, v22 :: v_dual_and_b32 v38, 0xffffffe, v36
	v_mov_b32_e32 v22, v21
	s_mov_b32 s47, 0
	s_delay_alu instid0(VALU_DEP_2)
	v_mov_b32_e32 v39, v38
	s_set_inst_prefetch_distance 0x1
	.p2align	6
.LBB8_18:                               ;   Parent Loop BB8_9 Depth=1
                                        ; =>  This Inner Loop Header: Depth=2
	s_delay_alu instid0(VALU_DEP_2) | instskip(NEXT) | instid1(VALU_DEP_2)
	v_ashrrev_i32_e32 v41, 31, v22
	v_dual_mov_b32 v40, v22 :: v_dual_add_nc_u32 v39, -2, v39
	v_ashrrev_i32_e32 v43, 31, v23
	v_dual_mov_b32 v42, v23 :: v_dual_add_nc_u32 v23, 64, v23
	s_delay_alu instid0(VALU_DEP_3) | instskip(SKIP_1) | instid1(VALU_DEP_3)
	v_lshlrev_b64 v[40:41], 1, v[40:41]
	v_add_nc_u32_e32 v22, 64, v22
	v_lshlrev_b64 v[42:43], 1, v[42:43]
	s_delay_alu instid0(VALU_DEP_3) | instskip(NEXT) | instid1(VALU_DEP_1)
	v_add_co_u32 v44, s0, v37, v40
	v_add_co_ci_u32_e64 v45, s0, v34, v41, s0
	s_delay_alu instid0(VALU_DEP_3) | instskip(NEXT) | instid1(VALU_DEP_1)
	v_add_co_u32 v46, s0, v37, v42
	v_add_co_ci_u32_e64 v47, s0, v34, v43, s0
	s_clause 0x1
	global_load_u16 v44, v[44:45], off
	global_load_u16 v45, v[46:47], off
	v_add_co_u32 v40, s1, v6, v40
	v_cmp_eq_u32_e64 s0, 0, v39
	v_add_co_ci_u32_e64 v41, s1, v35, v41, s1
	v_add_co_u32 v42, s1, v6, v42
	s_delay_alu instid0(VALU_DEP_1) | instskip(NEXT) | instid1(VALU_DEP_4)
	v_add_co_ci_u32_e64 v43, s1, v35, v43, s1
	s_or_b32 s47, s0, s47
	s_waitcnt vmcnt(1)
	global_store_b16 v[40:41], v44, off
	s_waitcnt vmcnt(0)
	global_store_b16 v[42:43], v45, off
	s_and_not1_b32 exec_lo, exec_lo, s47
	s_cbranch_execnz .LBB8_18
; %bb.19:                               ;   in Loop: Header=BB8_9 Depth=1
	s_set_inst_prefetch_distance 0x2
	s_or_b32 exec_lo, exec_lo, s47
	v_cmp_ne_u32_e64 s0, v36, v38
	v_lshl_add_u32 v21, v38, 5, v21
	s_delay_alu instid0(VALU_DEP_2)
	s_or_not1_b32 s1, s0, exec_lo
.LBB8_20:                               ;   in Loop: Header=BB8_9 Depth=1
	s_or_b32 exec_lo, exec_lo, s46
	s_delay_alu instid0(SALU_CYCLE_1)
	s_and_b32 exec_lo, exec_lo, s1
	s_cbranch_execz .LBB8_23
; %bb.21:                               ;   in Loop: Header=BB8_9 Depth=1
	v_ashrrev_i32_e32 v22, 31, v21
	s_mov_b32 s46, 0
	s_delay_alu instid0(VALU_DEP_1) | instskip(NEXT) | instid1(VALU_DEP_1)
	v_lshlrev_b64 v[22:23], 1, v[21:22]
	v_add_co_u32 v6, s0, v19, v22
	s_delay_alu instid0(VALU_DEP_1) | instskip(NEXT) | instid1(VALU_DEP_2)
	v_add_co_ci_u32_e64 v23, s0, v20, v23, s0
	v_add_co_u32 v19, s0, v6, v13
	s_delay_alu instid0(VALU_DEP_1) | instskip(NEXT) | instid1(VALU_DEP_2)
	v_add_co_ci_u32_e64 v20, s0, v23, v14, s0
	v_add_co_u32 v19, s0, s37, v19
	s_delay_alu instid0(VALU_DEP_1) | instskip(SKIP_1) | instid1(VALU_DEP_1)
	v_add_co_ci_u32_e64 v20, s0, s38, v20, s0
	v_add_co_u32 v22, s0, v7, v6
	v_add_co_ci_u32_e64 v23, s0, v8, v23, s0
	.p2align	6
.LBB8_22:                               ;   Parent Loop BB8_9 Depth=1
                                        ; =>  This Inner Loop Header: Depth=2
	global_load_u16 v6, v[19:20], off
	v_add_nc_u32_e32 v21, 32, v21
	v_add_co_u32 v19, s0, v19, 64
	s_delay_alu instid0(VALU_DEP_1) | instskip(NEXT) | instid1(VALU_DEP_3)
	v_add_co_ci_u32_e64 v20, s0, 0, v20, s0
	v_cmp_ge_i32_e64 s0, v21, v1
	s_delay_alu instid0(VALU_DEP_1) | instskip(SKIP_3) | instid1(VALU_DEP_1)
	s_or_b32 s46, s0, s46
	s_waitcnt vmcnt(0)
	global_store_b16 v[22:23], v6, off
	v_add_co_u32 v22, s1, v22, 64
	v_add_co_ci_u32_e64 v23, s1, 0, v23, s1
	s_and_not1_b32 exec_lo, exec_lo, s46
	s_cbranch_execnz .LBB8_22
.LBB8_23:                               ;   in Loop: Header=BB8_9 Depth=1
	s_or_b32 exec_lo, exec_lo, s45
.LBB8_24:                               ;   in Loop: Header=BB8_9 Depth=1
	s_and_not1_saveexec_b32 s44, s44
	s_cbranch_execz .LBB8_29
; %bb.25:                               ;   in Loop: Header=BB8_9 Depth=1
	s_and_saveexec_b32 s45, vcc_lo
	s_cbranch_execz .LBB8_28
; %bb.26:                               ;   in Loop: Header=BB8_9 Depth=1
	v_add_co_u32 v1, s0, s37, v13
	s_delay_alu instid0(VALU_DEP_1)
	v_add_co_ci_u32_e64 v6, s0, s38, v14, s0
	v_dual_mov_b32 v20, v8 :: v_dual_mov_b32 v19, v7
	v_mov_b32_e32 v21, v25
	s_mov_b32 s46, 0
	.p2align	6
.LBB8_27:                               ;   Parent Loop BB8_9 Depth=1
                                        ; =>  This Inner Loop Header: Depth=2
	v_add_co_u32 v22, s0, v1, v28
	s_delay_alu instid0(VALU_DEP_1) | instskip(NEXT) | instid1(VALU_DEP_3)
	v_add_co_ci_u32_e64 v23, s0, 0, v6, s0
	v_add_nc_u32_e32 v21, 32, v21
	v_add_co_u32 v1, s1, 0x200, v1
	global_load_b128 v[34:37], v[22:23], off
	v_add_co_u32 v22, s0, v19, v28
	s_delay_alu instid0(VALU_DEP_1) | instskip(SKIP_1) | instid1(VALU_DEP_1)
	v_add_co_ci_u32_e64 v23, s0, 0, v20, s0
	v_add_co_u32 v19, s0, 0x200, v19
	v_add_co_ci_u32_e64 v20, s0, 0, v20, s0
	v_cmp_le_i32_e64 s0, s36, v21
	v_add_co_ci_u32_e64 v6, s1, 0, v6, s1
	s_delay_alu instid0(VALU_DEP_2)
	s_or_b32 s46, s0, s46
	s_waitcnt vmcnt(0)
	global_store_b128 v[22:23], v[34:37], off
	s_and_not1_b32 exec_lo, exec_lo, s46
	s_cbranch_execnz .LBB8_27
.LBB8_28:                               ;   in Loop: Header=BB8_9 Depth=1
	s_or_b32 exec_lo, exec_lo, s45
.LBB8_29:                               ;   in Loop: Header=BB8_9 Depth=1
	s_delay_alu instid0(SALU_CYCLE_1) | instskip(SKIP_1) | instid1(VALU_DEP_1)
	s_or_b32 exec_lo, exec_lo, s44
	v_add_co_u32 v6, s0, s24, v17
	v_add_co_ci_u32_e64 v19, s0, s25, v18, s0
	s_delay_alu instid0(VALU_DEP_2) | instskip(NEXT) | instid1(VALU_DEP_1)
	v_and_b32_e32 v1, 15, v6
	v_cmp_ne_u64_e64 s0, 0, v[1:2]
	s_delay_alu instid0(VALU_DEP_1) | instskip(NEXT) | instid1(SALU_CYCLE_1)
	s_or_b32 s0, s43, s0
	s_and_saveexec_b32 s1, s0
	s_delay_alu instid0(SALU_CYCLE_1)
	s_xor_b32 s44, exec_lo, s1
	s_cbranch_execz .LBB8_44
; %bb.30:                               ;   in Loop: Header=BB8_9 Depth=1
	v_sub_nc_u32_e32 v1, 0, v6
	v_add_co_u32 v20, s0, s26, v15
	s_delay_alu instid0(VALU_DEP_1) | instskip(NEXT) | instid1(VALU_DEP_3)
	v_add_co_ci_u32_e64 v21, s0, s27, v16, s0
	v_bfe_u32 v1, v1, 1, 3
	s_mov_b32 s1, exec_lo
	s_delay_alu instid0(VALU_DEP_1) | instskip(NEXT) | instid1(VALU_DEP_1)
	v_min_i32_e32 v17, s21, v1
	v_cmpx_gt_i32_e64 v17, v25
	s_cbranch_execz .LBB8_32
; %bb.31:                               ;   in Loop: Header=BB8_9 Depth=1
	v_add_co_u32 v15, s0, v6, v33
	s_delay_alu instid0(VALU_DEP_1) | instskip(SKIP_2) | instid1(VALU_DEP_1)
	v_add_co_ci_u32_e64 v16, s0, 0, v19, s0
	global_load_u16 v1, v[15:16], off
	v_add_co_u32 v15, s0, v20, v33
	v_add_co_ci_u32_e64 v16, s0, 0, v21, s0
	s_waitcnt vmcnt(0)
	global_store_b16 v[15:16], v1, off
.LBB8_32:                               ;   in Loop: Header=BB8_9 Depth=1
	s_or_b32 exec_lo, exec_lo, s1
	v_sub_nc_u32_e32 v1, s21, v17
	v_ashrrev_i32_e32 v18, 31, v17
	s_mov_b32 s45, exec_lo
	s_delay_alu instid0(VALU_DEP_2) | instskip(NEXT) | instid1(VALU_DEP_1)
	v_ashrrev_i32_e32 v15, 31, v1
	v_lshrrev_b32_e32 v15, 29, v15
	s_delay_alu instid0(VALU_DEP_1) | instskip(NEXT) | instid1(VALU_DEP_1)
	v_add_nc_u32_e32 v15, v1, v15
	v_ashrrev_i32_e32 v22, 3, v15
	v_lshlrev_b64 v[15:16], 1, v[17:18]
	s_delay_alu instid0(VALU_DEP_2)
	v_cmpx_gt_i32_e64 v22, v25
	s_cbranch_execz .LBB8_35
; %bb.33:                               ;   in Loop: Header=BB8_9 Depth=1
	v_add_co_u32 v23, s0, v31, v13
	s_delay_alu instid0(VALU_DEP_1)
	v_add_co_ci_u32_e64 v34, s0, v32, v14, s0
	v_dual_mov_b32 v18, v10 :: v_dual_mov_b32 v17, v9
	v_mov_b32_e32 v35, v25
	s_mov_b32 s46, 0
	.p2align	6
.LBB8_34:                               ;   Parent Loop BB8_9 Depth=1
                                        ; =>  This Inner Loop Header: Depth=2
	v_add_co_u32 v36, s0, v23, v15
	s_delay_alu instid0(VALU_DEP_1)
	v_add_co_ci_u32_e64 v37, s0, v34, v16, s0
	v_add_co_u32 v40, s0, v17, v15
	v_add_nc_u32_e32 v35, 32, v35
	global_load_b128 v[36:39], v[36:37], off
	v_add_co_ci_u32_e64 v41, s0, v18, v16, s0
	v_add_co_u32 v17, s0, 0x200, v17
	s_delay_alu instid0(VALU_DEP_1) | instskip(SKIP_2) | instid1(VALU_DEP_1)
	v_add_co_ci_u32_e64 v18, s0, 0, v18, s0
	v_cmp_ge_i32_e64 s0, v35, v22
	v_add_co_u32 v23, s1, 0x200, v23
	v_add_co_ci_u32_e64 v34, s1, 0, v34, s1
	s_delay_alu instid0(VALU_DEP_3)
	s_or_b32 s46, s0, s46
	s_waitcnt vmcnt(0)
	global_store_b128 v[40:41], v[36:39], off
	s_and_not1_b32 exec_lo, exec_lo, s46
	s_cbranch_execnz .LBB8_34
.LBB8_35:                               ;   in Loop: Header=BB8_9 Depth=1
	s_or_b32 exec_lo, exec_lo, s45
	v_lshlrev_b32_e32 v18, 3, v22
	s_mov_b32 s45, exec_lo
	s_delay_alu instid0(VALU_DEP_1) | instskip(NEXT) | instid1(VALU_DEP_1)
	v_add_nc_u32_e32 v17, v18, v25
	v_cmpx_lt_i32_e64 v17, v1
	s_cbranch_execz .LBB8_43
; %bb.36:                               ;   in Loop: Header=BB8_9 Depth=1
	v_add_nc_u32_e32 v22, v27, v18
	s_mov_b32 s1, -1
	s_mov_b32 s46, exec_lo
	s_delay_alu instid0(VALU_DEP_1) | instskip(NEXT) | instid1(VALU_DEP_1)
	v_max_i32_e32 v22, v22, v1
	v_add_nc_u32_e32 v22, v22, v26
	s_delay_alu instid0(VALU_DEP_1) | instskip(NEXT) | instid1(VALU_DEP_1)
	v_sub_nc_u32_e32 v18, v22, v18
	v_cmpx_lt_u32_e32 31, v18
	s_cbranch_execz .LBB8_40
; %bb.37:                               ;   in Loop: Header=BB8_9 Depth=1
	v_lshrrev_b32_e32 v18, 5, v18
	v_add_co_u32 v6, s0, v6, v15
	s_delay_alu instid0(VALU_DEP_1) | instskip(NEXT) | instid1(VALU_DEP_3)
	v_add_co_ci_u32_e64 v23, s0, v19, v16, s0
	v_add_nc_u32_e32 v22, 1, v18
	v_add_nc_u32_e32 v18, 32, v17
	v_add_co_u32 v20, s0, v20, v15
	s_delay_alu instid0(VALU_DEP_1) | instskip(NEXT) | instid1(VALU_DEP_3)
	v_add_co_ci_u32_e64 v21, s0, v21, v16, s0
	v_dual_mov_b32 v19, v18 :: v_dual_and_b32 v34, 0xffffffe, v22
	v_mov_b32_e32 v18, v17
	s_mov_b32 s47, 0
	s_delay_alu instid0(VALU_DEP_2)
	v_mov_b32_e32 v35, v34
	s_set_inst_prefetch_distance 0x1
	.p2align	6
.LBB8_38:                               ;   Parent Loop BB8_9 Depth=1
                                        ; =>  This Inner Loop Header: Depth=2
	s_delay_alu instid0(VALU_DEP_2) | instskip(NEXT) | instid1(VALU_DEP_2)
	v_ashrrev_i32_e32 v37, 31, v18
	v_dual_mov_b32 v36, v18 :: v_dual_add_nc_u32 v35, -2, v35
	v_ashrrev_i32_e32 v39, 31, v19
	v_dual_mov_b32 v38, v19 :: v_dual_add_nc_u32 v19, 64, v19
	s_delay_alu instid0(VALU_DEP_3) | instskip(SKIP_1) | instid1(VALU_DEP_3)
	v_lshlrev_b64 v[36:37], 1, v[36:37]
	v_add_nc_u32_e32 v18, 64, v18
	v_lshlrev_b64 v[38:39], 1, v[38:39]
	s_delay_alu instid0(VALU_DEP_3) | instskip(NEXT) | instid1(VALU_DEP_1)
	v_add_co_u32 v40, s0, v6, v36
	v_add_co_ci_u32_e64 v41, s0, v23, v37, s0
	s_delay_alu instid0(VALU_DEP_3) | instskip(NEXT) | instid1(VALU_DEP_1)
	v_add_co_u32 v42, s0, v6, v38
	v_add_co_ci_u32_e64 v43, s0, v23, v39, s0
	s_clause 0x1
	global_load_u16 v40, v[40:41], off
	global_load_u16 v41, v[42:43], off
	v_add_co_u32 v36, s1, v20, v36
	v_cmp_eq_u32_e64 s0, 0, v35
	v_add_co_ci_u32_e64 v37, s1, v21, v37, s1
	v_add_co_u32 v38, s1, v20, v38
	s_delay_alu instid0(VALU_DEP_1) | instskip(NEXT) | instid1(VALU_DEP_4)
	v_add_co_ci_u32_e64 v39, s1, v21, v39, s1
	s_or_b32 s47, s0, s47
	s_waitcnt vmcnt(1)
	global_store_b16 v[36:37], v40, off
	s_waitcnt vmcnt(0)
	global_store_b16 v[38:39], v41, off
	s_and_not1_b32 exec_lo, exec_lo, s47
	s_cbranch_execnz .LBB8_38
; %bb.39:                               ;   in Loop: Header=BB8_9 Depth=1
	s_set_inst_prefetch_distance 0x2
	s_or_b32 exec_lo, exec_lo, s47
	v_cmp_ne_u32_e64 s0, v22, v34
	v_lshl_add_u32 v17, v34, 5, v17
	s_delay_alu instid0(VALU_DEP_2)
	s_or_not1_b32 s1, s0, exec_lo
.LBB8_40:                               ;   in Loop: Header=BB8_9 Depth=1
	s_or_b32 exec_lo, exec_lo, s46
	s_delay_alu instid0(SALU_CYCLE_1)
	s_and_b32 exec_lo, exec_lo, s1
	s_cbranch_execz .LBB8_43
; %bb.41:                               ;   in Loop: Header=BB8_9 Depth=1
	v_ashrrev_i32_e32 v18, 31, v17
	s_mov_b32 s46, 0
	s_delay_alu instid0(VALU_DEP_1) | instskip(NEXT) | instid1(VALU_DEP_1)
	v_lshlrev_b64 v[18:19], 1, v[17:18]
	v_add_co_u32 v6, s0, v15, v18
	s_delay_alu instid0(VALU_DEP_1) | instskip(NEXT) | instid1(VALU_DEP_2)
	v_add_co_ci_u32_e64 v16, s0, v16, v19, s0
	v_add_co_u32 v13, s0, v6, v13
	s_delay_alu instid0(VALU_DEP_1) | instskip(NEXT) | instid1(VALU_DEP_2)
	v_add_co_ci_u32_e64 v14, s0, v16, v14, s0
	v_add_co_u32 v13, s0, s39, v13
	s_delay_alu instid0(VALU_DEP_1) | instskip(SKIP_1) | instid1(VALU_DEP_1)
	v_add_co_ci_u32_e64 v14, s0, s40, v14, s0
	v_add_co_u32 v15, s0, v11, v6
	v_add_co_ci_u32_e64 v16, s0, v12, v16, s0
	.p2align	6
.LBB8_42:                               ;   Parent Loop BB8_9 Depth=1
                                        ; =>  This Inner Loop Header: Depth=2
	global_load_u16 v6, v[13:14], off
	v_add_nc_u32_e32 v17, 32, v17
	v_add_co_u32 v13, s0, v13, 64
	s_delay_alu instid0(VALU_DEP_1) | instskip(NEXT) | instid1(VALU_DEP_3)
	v_add_co_ci_u32_e64 v14, s0, 0, v14, s0
	v_cmp_ge_i32_e64 s0, v17, v1
	s_delay_alu instid0(VALU_DEP_1) | instskip(SKIP_3) | instid1(VALU_DEP_1)
	s_or_b32 s46, s0, s46
	s_waitcnt vmcnt(0)
	global_store_b16 v[15:16], v6, off
	v_add_co_u32 v15, s1, v15, 64
	v_add_co_ci_u32_e64 v16, s1, 0, v16, s1
	s_and_not1_b32 exec_lo, exec_lo, s46
	s_cbranch_execnz .LBB8_42
.LBB8_43:                               ;   in Loop: Header=BB8_9 Depth=1
	s_or_b32 exec_lo, exec_lo, s45
                                        ; implicit-def: $vgpr13_vgpr14
.LBB8_44:                               ;   in Loop: Header=BB8_9 Depth=1
	s_and_not1_saveexec_b32 s44, s44
	s_cbranch_execz .LBB8_8
; %bb.45:                               ;   in Loop: Header=BB8_9 Depth=1
	s_and_saveexec_b32 s45, vcc_lo
	s_cbranch_execz .LBB8_7
; %bb.46:                               ;   in Loop: Header=BB8_9 Depth=1
	v_add_co_u32 v1, s0, s39, v13
	s_delay_alu instid0(VALU_DEP_1)
	v_add_co_ci_u32_e64 v6, s0, s40, v14, s0
	v_dual_mov_b32 v14, v12 :: v_dual_mov_b32 v13, v11
	v_mov_b32_e32 v15, v25
	s_mov_b32 s46, 0
	.p2align	6
.LBB8_47:                               ;   Parent Loop BB8_9 Depth=1
                                        ; =>  This Inner Loop Header: Depth=2
	v_add_co_u32 v16, s0, v1, v28
	s_delay_alu instid0(VALU_DEP_1)
	v_add_co_ci_u32_e64 v17, s0, 0, v6, s0
	v_add_co_u32 v20, s0, v13, v28
	v_add_nc_u32_e32 v15, 32, v15
	global_load_b128 v[16:19], v[16:17], off
	v_add_co_ci_u32_e64 v21, s0, 0, v14, s0
	v_add_co_u32 v13, s0, 0x200, v13
	s_delay_alu instid0(VALU_DEP_1) | instskip(SKIP_2) | instid1(VALU_DEP_1)
	v_add_co_ci_u32_e64 v14, s0, 0, v14, s0
	v_cmp_le_i32_e64 s0, s36, v15
	v_add_co_u32 v1, s1, 0x200, v1
	v_add_co_ci_u32_e64 v6, s1, 0, v6, s1
	s_delay_alu instid0(VALU_DEP_3)
	s_or_b32 s46, s0, s46
	s_waitcnt vmcnt(0)
	global_store_b128 v[20:21], v[16:19], off
	s_and_not1_b32 exec_lo, exec_lo, s46
	s_cbranch_execnz .LBB8_47
	s_branch .LBB8_7
.LBB8_48:
	s_or_b32 exec_lo, exec_lo, s34
	s_mov_b32 s0, 0
.LBB8_49:
	s_delay_alu instid0(SALU_CYCLE_1)
	s_and_not1_b32 vcc_lo, exec_lo, s0
	s_cbranch_vccnz .LBB8_91
; %bb.50:
	s_and_b32 s0, s29, 15
	s_mov_b32 s1, 0
	s_delay_alu instid0(SALU_CYCLE_1) | instskip(SKIP_3) | instid1(SALU_CYCLE_1)
	s_cmp_lg_u64 s[0:1], 0
	s_mul_i32 s1, s21, s20
	s_cselect_b32 s0, -1, 0
	s_and_b32 s16, s1, 7
	s_cmp_eq_u32 s16, 0
	s_cselect_b32 s22, -1, 0
	s_cmp_lg_u32 s16, 0
	s_cselect_b32 s16, -1, 0
	s_delay_alu instid0(SALU_CYCLE_1) | instskip(NEXT) | instid1(SALU_CYCLE_1)
	s_or_b32 s0, s0, s16
	s_and_b32 vcc_lo, exec_lo, s0
	s_mov_b32 s0, -1
	s_cbranch_vccz .LBB8_66
; %bb.51:
	s_sub_i32 s0, 0, s29
	s_mov_b32 s17, exec_lo
	s_bfe_u32 s0, s0, 0x30001
	s_delay_alu instid0(SALU_CYCLE_1) | instskip(NEXT) | instid1(SALU_CYCLE_1)
	s_min_i32 s16, s0, s1
	v_cmpx_gt_i32_e64 s16, v0
	s_cbranch_execz .LBB8_54
; %bb.52:
	v_dual_mov_b32 v2, 0 :: v_dual_lshlrev_b32 v1, 1, v0
	v_mov_b32_e32 v3, v0
	s_mov_b32 s20, 0
	s_lshl_b32 s21, s28, 1
	.p2align	6
.LBB8_53:                               ; =>This Inner Loop Header: Depth=1
	s_delay_alu instid0(VALU_DEP_2)
	v_add_co_u32 v4, vcc_lo, s29, v1
	v_add_co_ci_u32_e32 v5, vcc_lo, s30, v2, vcc_lo
	v_add_nc_u32_e32 v3, s28, v3
	global_load_u16 v6, v[4:5], off
	v_add_co_u32 v4, vcc_lo, s31, v1
	v_add_co_ci_u32_e32 v5, vcc_lo, s33, v2, vcc_lo
	v_cmp_le_i32_e32 vcc_lo, s16, v3
	v_add_co_u32 v1, s0, v1, s21
	s_delay_alu instid0(VALU_DEP_1)
	v_add_co_ci_u32_e64 v2, s0, 0, v2, s0
	s_or_b32 s20, vcc_lo, s20
	s_waitcnt vmcnt(0)
	global_store_b16 v[4:5], v6, off
	s_and_not1_b32 exec_lo, exec_lo, s20
	s_cbranch_execnz .LBB8_53
.LBB8_54:
	s_or_b32 exec_lo, exec_lo, s17
	s_sub_i32 s23, s1, s16
	s_ashr_i32 s17, s16, 31
	s_ashr_i32 s0, s23, 31
	s_mov_b32 s35, exec_lo
	s_lshr_b32 s0, s0, 29
	s_delay_alu instid0(SALU_CYCLE_1) | instskip(NEXT) | instid1(SALU_CYCLE_1)
	s_add_i32 s0, s23, s0
	s_ashr_i32 s34, s0, 3
	s_delay_alu instid0(SALU_CYCLE_1)
	v_cmpx_gt_i32_e64 s34, v0
	s_cbranch_execz .LBB8_57
; %bb.55:
	s_lshl_b64 s[20:21], s[16:17], 1
	v_lshlrev_b32_e32 v3, 4, v0
	s_add_u32 s0, s12, s14
	s_addc_u32 s36, s13, s15
	s_add_u32 s0, s8, s0
	s_addc_u32 s8, s9, s36
	v_add_co_u32 v1, s0, s0, v3
	s_delay_alu instid0(VALU_DEP_1) | instskip(SKIP_4) | instid1(VALU_DEP_1)
	v_add_co_ci_u32_e64 v2, null, s8, 0, s0
	s_lshl_b32 s8, s28, 4
	s_add_u32 s0, s4, s18
	s_addc_u32 s4, s5, s19
	v_add_co_u32 v3, s0, s0, v3
	v_add_co_ci_u32_e64 v4, null, s4, 0, s0
	v_mov_b32_e32 v5, v0
	s_mov_b32 s4, 0
	.p2align	6
.LBB8_56:                               ; =>This Inner Loop Header: Depth=1
	s_delay_alu instid0(VALU_DEP_3) | instskip(NEXT) | instid1(VALU_DEP_3)
	v_add_co_u32 v6, vcc_lo, v3, s20
	v_add_co_ci_u32_e32 v7, vcc_lo, s21, v4, vcc_lo
	v_add_co_u32 v10, vcc_lo, v1, s20
	v_add_nc_u32_e32 v5, s28, v5
	global_load_b128 v[6:9], v[6:7], off
	v_add_co_ci_u32_e32 v11, vcc_lo, s21, v2, vcc_lo
	v_add_co_u32 v1, vcc_lo, v1, s8
	v_add_co_ci_u32_e32 v2, vcc_lo, 0, v2, vcc_lo
	v_cmp_le_i32_e32 vcc_lo, s34, v5
	v_add_co_u32 v3, s0, v3, s8
	s_delay_alu instid0(VALU_DEP_1)
	v_add_co_ci_u32_e64 v4, s0, 0, v4, s0
	s_or_b32 s4, vcc_lo, s4
	s_waitcnt vmcnt(0)
	global_store_b128 v[10:11], v[6:9], off
	s_and_not1_b32 exec_lo, exec_lo, s4
	s_cbranch_execnz .LBB8_56
.LBB8_57:
	s_or_b32 exec_lo, exec_lo, s35
	v_lshl_add_u32 v1, s34, 3, v0
	s_mov_b32 s4, exec_lo
	s_delay_alu instid0(VALU_DEP_1)
	v_cmpx_gt_i32_e64 s23, v1
	s_cbranch_execz .LBB8_65
; %bb.58:
	v_cvt_f32_u32_e32 v2, s28
	s_sub_i32 s0, 0, s28
	v_add_nc_u32_e32 v4, s28, v1
	s_cmp_eq_u32 s28, 1
	s_mov_b32 s8, 0
	v_rcp_iflag_f32_e32 v2, v2
	s_delay_alu instid0(VALU_DEP_1) | instskip(SKIP_3) | instid1(VALU_DEP_1)
	v_cmp_gt_i32_e32 vcc_lo, s23, v4
	v_max_i32_e32 v5, s23, v4
	s_waitcnt_depctr 0xfff
	v_mul_f32_e32 v2, 0x4f7ffffe, v2
	v_cvt_u32_f32_e32 v2, v2
	s_delay_alu instid0(VALU_DEP_1) | instskip(SKIP_1) | instid1(VALU_DEP_1)
	v_mul_lo_u32 v3, s0, v2
	v_add_co_ci_u32_e64 v4, s0, s28, v1, vcc_lo
	v_sub_nc_u32_e32 v4, v5, v4
	s_delay_alu instid0(VALU_DEP_3) | instskip(NEXT) | instid1(VALU_DEP_1)
	v_mul_hi_u32 v3, v2, v3
	v_add_nc_u32_e32 v2, v2, v3
	s_delay_alu instid0(VALU_DEP_1) | instskip(NEXT) | instid1(VALU_DEP_1)
	v_mul_hi_u32 v2, v4, v2
	v_mul_lo_u32 v3, v2, s28
	s_delay_alu instid0(VALU_DEP_1) | instskip(SKIP_1) | instid1(VALU_DEP_2)
	v_sub_nc_u32_e32 v3, v4, v3
	v_add_nc_u32_e32 v4, 1, v2
	v_subrev_nc_u32_e32 v5, s28, v3
	v_cmp_le_u32_e64 s0, s28, v3
	s_delay_alu instid0(VALU_DEP_1) | instskip(NEXT) | instid1(VALU_DEP_3)
	v_cndmask_b32_e64 v2, v2, v4, s0
	v_cndmask_b32_e64 v3, v3, v5, s0
	s_delay_alu instid0(VALU_DEP_2) | instskip(NEXT) | instid1(VALU_DEP_2)
	v_add_nc_u32_e32 v4, 1, v2
	v_cmp_le_u32_e64 s0, s28, v3
	s_delay_alu instid0(VALU_DEP_1) | instskip(SKIP_1) | instid1(VALU_DEP_1)
	v_cndmask_b32_e64 v2, v2, v4, s0
	s_cselect_b32 s0, -1, 0
	v_add_co_ci_u32_e32 v4, vcc_lo, 1, v2, vcc_lo
	s_delay_alu instid0(VALU_DEP_1)
	v_cmp_lt_u32_e32 vcc_lo, 15, v4
	s_and_b32 s9, vcc_lo, s0
	s_mov_b32 s0, -1
	s_and_saveexec_b32 s5, s9
	s_cbranch_execz .LBB8_62
; %bb.59:
	v_dual_mov_b32 v2, v1 :: v_dual_and_b32 v5, -16, v4
	s_lshl_b64 s[20:21], s[16:17], 1
	s_delay_alu instid0(SALU_CYCLE_1) | instskip(NEXT) | instid1(VALU_DEP_1)
	s_add_u32 s9, s29, s20
	v_mov_b32_e32 v6, v5
	s_addc_u32 s18, s30, s21
	s_add_u32 s19, s31, s20
	s_addc_u32 s20, s33, s21
	.p2align	6
.LBB8_60:                               ; =>This Inner Loop Header: Depth=1
	v_ashrrev_i32_e32 v3, 31, v2
	v_add_nc_u32_e32 v6, -16, v6
	s_delay_alu instid0(VALU_DEP_2) | instskip(SKIP_1) | instid1(VALU_DEP_2)
	v_lshlrev_b64 v[15:16], 1, v[2:3]
	v_add_nc_u32_e32 v2, 16, v2
	v_add_co_u32 v11, vcc_lo, s9, v15
	s_delay_alu instid0(VALU_DEP_3)
	v_add_co_ci_u32_e32 v12, vcc_lo, s18, v16, vcc_lo
	v_cmp_eq_u32_e32 vcc_lo, 0, v6
	v_add_co_u32 v15, s0, s19, v15
	s_clause 0x1
	global_load_b128 v[7:10], v[11:12], off
	global_load_b128 v[11:14], v[11:12], off offset:16
	v_add_co_ci_u32_e64 v16, s0, s20, v16, s0
	s_or_b32 s8, vcc_lo, s8
	s_waitcnt vmcnt(1)
	global_store_b128 v[15:16], v[7:10], off
	s_waitcnt vmcnt(0)
	global_store_b128 v[15:16], v[11:14], off offset:16
	s_and_not1_b32 exec_lo, exec_lo, s8
	s_cbranch_execnz .LBB8_60
; %bb.61:
	s_or_b32 exec_lo, exec_lo, s8
	v_cmp_ne_u32_e32 vcc_lo, v4, v5
	v_add_nc_u32_e32 v1, v1, v5
	s_or_not1_b32 s0, vcc_lo, exec_lo
.LBB8_62:
	s_or_b32 exec_lo, exec_lo, s5
	s_delay_alu instid0(SALU_CYCLE_1)
	s_and_b32 exec_lo, exec_lo, s0
	s_cbranch_execz .LBB8_65
; %bb.63:
	v_ashrrev_i32_e32 v2, 31, v1
	s_lshl_b64 s[8:9], s[16:17], 1
	s_lshl_b32 s5, s28, 1
	s_delay_alu instid0(VALU_DEP_1) | instskip(NEXT) | instid1(VALU_DEP_1)
	v_lshlrev_b64 v[2:3], 1, v[1:2]
	v_add_co_u32 v2, vcc_lo, s8, v2
	s_delay_alu instid0(VALU_DEP_2)
	v_add_co_ci_u32_e32 v3, vcc_lo, s9, v3, vcc_lo
	s_mov_b32 s8, 0
	.p2align	6
.LBB8_64:                               ; =>This Inner Loop Header: Depth=1
	s_delay_alu instid0(VALU_DEP_2) | instskip(NEXT) | instid1(VALU_DEP_2)
	v_add_co_u32 v4, vcc_lo, s29, v2
	v_add_co_ci_u32_e32 v5, vcc_lo, s30, v3, vcc_lo
	v_add_nc_u32_e32 v1, s28, v1
	global_load_u16 v6, v[4:5], off
	v_add_co_u32 v4, vcc_lo, s31, v2
	v_add_co_ci_u32_e32 v5, vcc_lo, s33, v3, vcc_lo
	v_cmp_le_i32_e32 vcc_lo, s23, v1
	v_add_co_u32 v2, s0, v2, s5
	s_delay_alu instid0(VALU_DEP_1)
	v_add_co_ci_u32_e64 v3, s0, 0, v3, s0
	s_or_b32 s8, vcc_lo, s8
	s_waitcnt vmcnt(0)
	global_store_b16 v[4:5], v6, off
	s_and_not1_b32 exec_lo, exec_lo, s8
	s_cbranch_execnz .LBB8_64
.LBB8_65:
	s_or_b32 exec_lo, exec_lo, s4
	s_mov_b32 s0, 0
.LBB8_66:
	s_delay_alu instid0(SALU_CYCLE_1)
	s_and_b32 vcc_lo, exec_lo, s0
	s_cbranch_vccz .LBB8_71
; %bb.67:
	s_ashr_i32 s0, s1, 3
	s_mov_b32 s4, exec_lo
	v_cmpx_gt_i32_e64 s0, v0
	s_cbranch_execz .LBB8_70
; %bb.68:
	v_dual_mov_b32 v2, v0 :: v_dual_lshlrev_b32 v1, 4, v0
	s_mov_b32 s5, 0
	s_lshl_b32 s8, s28, 4
	.p2align	6
.LBB8_69:                               ; =>This Inner Loop Header: Depth=1
	s_delay_alu instid0(VALU_DEP_1) | instskip(NEXT) | instid1(VALU_DEP_1)
	v_add_co_u32 v3, s9, s29, v1
	v_add_co_ci_u32_e64 v4, null, s30, 0, s9
	v_add_nc_u32_e32 v2, s28, v2
	v_add_co_u32 v7, s9, s31, v1
	global_load_b128 v[3:6], v[3:4], off
	s_add_u32 s31, s31, s8
	v_cmp_le_i32_e32 vcc_lo, s0, v2
	v_add_co_ci_u32_e64 v8, null, s33, 0, s9
	s_addc_u32 s33, s33, 0
	s_add_u32 s29, s29, s8
	s_addc_u32 s30, s30, 0
	s_or_b32 s5, vcc_lo, s5
	s_waitcnt vmcnt(0)
	global_store_b128 v[7:8], v[3:6], off
	s_and_not1_b32 exec_lo, exec_lo, s5
	s_cbranch_execnz .LBB8_69
.LBB8_70:
	s_or_b32 exec_lo, exec_lo, s4
.LBB8_71:
	s_and_b32 s4, s24, 15
	s_mov_b32 s5, 0
	s_delay_alu instid0(SALU_CYCLE_1) | instskip(SKIP_2) | instid1(SALU_CYCLE_1)
	s_cmp_lg_u64 s[4:5], 0
	s_cselect_b32 s0, -1, 0
	s_xor_b32 s4, s22, -1
	s_or_b32 s0, s4, s0
	s_delay_alu instid0(SALU_CYCLE_1)
	s_and_b32 vcc_lo, exec_lo, s0
	s_mov_b32 s0, -1
	s_cbranch_vccz .LBB8_87
; %bb.72:
	s_sub_i32 s0, 0, s24
	s_mov_b32 s5, exec_lo
	s_bfe_u32 s0, s0, 0x30001
	s_delay_alu instid0(SALU_CYCLE_1) | instskip(NEXT) | instid1(SALU_CYCLE_1)
	s_min_i32 s4, s0, s1
	v_cmpx_gt_i32_e64 s4, v0
	s_cbranch_execz .LBB8_75
; %bb.73:
	v_dual_mov_b32 v2, 0 :: v_dual_lshlrev_b32 v1, 1, v0
	v_mov_b32_e32 v3, v0
	s_mov_b32 s8, 0
	s_lshl_b32 s9, s28, 1
	.p2align	6
.LBB8_74:                               ; =>This Inner Loop Header: Depth=1
	s_delay_alu instid0(VALU_DEP_2)
	v_add_co_u32 v4, vcc_lo, s24, v1
	v_add_co_ci_u32_e32 v5, vcc_lo, s25, v2, vcc_lo
	v_add_nc_u32_e32 v3, s28, v3
	global_load_u16 v6, v[4:5], off
	v_add_co_u32 v4, vcc_lo, s26, v1
	v_add_co_ci_u32_e32 v5, vcc_lo, s27, v2, vcc_lo
	v_cmp_le_i32_e32 vcc_lo, s4, v3
	v_add_co_u32 v1, s0, v1, s9
	s_delay_alu instid0(VALU_DEP_1)
	v_add_co_ci_u32_e64 v2, s0, 0, v2, s0
	s_or_b32 s8, vcc_lo, s8
	s_waitcnt vmcnt(0)
	global_store_b16 v[4:5], v6, off
	s_and_not1_b32 exec_lo, exec_lo, s8
	s_cbranch_execnz .LBB8_74
.LBB8_75:
	s_or_b32 exec_lo, exec_lo, s5
	s_sub_i32 s16, s1, s4
	s_ashr_i32 s5, s4, 31
	s_ashr_i32 s0, s16, 31
	s_mov_b32 s18, exec_lo
	s_lshr_b32 s0, s0, 29
	s_delay_alu instid0(SALU_CYCLE_1) | instskip(NEXT) | instid1(SALU_CYCLE_1)
	s_add_i32 s0, s16, s0
	s_ashr_i32 s17, s0, 3
	s_delay_alu instid0(SALU_CYCLE_1)
	v_cmpx_gt_i32_e64 s17, v0
	s_cbranch_execz .LBB8_78
; %bb.76:
	s_lshl_b64 s[8:9], s[4:5], 1
	v_lshlrev_b32_e32 v3, 4, v0
	s_add_u32 s0, s12, s14
	s_addc_u32 s12, s13, s15
	s_add_u32 s0, s10, s0
	s_addc_u32 s10, s11, s12
	v_add_co_u32 v1, s0, s0, v3
	s_delay_alu instid0(VALU_DEP_1) | instskip(SKIP_4) | instid1(VALU_DEP_1)
	v_add_co_ci_u32_e64 v2, null, s10, 0, s0
	s_lshl_b32 s10, s28, 4
	s_add_u32 s0, s6, s2
	s_addc_u32 s2, s7, s3
	v_add_co_u32 v3, s0, s0, v3
	v_add_co_ci_u32_e64 v4, null, s2, 0, s0
	v_mov_b32_e32 v5, v0
	s_mov_b32 s2, 0
	.p2align	6
.LBB8_77:                               ; =>This Inner Loop Header: Depth=1
	s_delay_alu instid0(VALU_DEP_3) | instskip(NEXT) | instid1(VALU_DEP_3)
	v_add_co_u32 v6, vcc_lo, v3, s8
	v_add_co_ci_u32_e32 v7, vcc_lo, s9, v4, vcc_lo
	v_add_co_u32 v10, vcc_lo, v1, s8
	v_add_nc_u32_e32 v5, s28, v5
	global_load_b128 v[6:9], v[6:7], off
	v_add_co_ci_u32_e32 v11, vcc_lo, s9, v2, vcc_lo
	v_add_co_u32 v1, vcc_lo, v1, s10
	v_add_co_ci_u32_e32 v2, vcc_lo, 0, v2, vcc_lo
	v_cmp_le_i32_e32 vcc_lo, s17, v5
	v_add_co_u32 v3, s0, v3, s10
	s_delay_alu instid0(VALU_DEP_1)
	v_add_co_ci_u32_e64 v4, s0, 0, v4, s0
	s_or_b32 s2, vcc_lo, s2
	s_waitcnt vmcnt(0)
	global_store_b128 v[10:11], v[6:9], off
	s_and_not1_b32 exec_lo, exec_lo, s2
	s_cbranch_execnz .LBB8_77
.LBB8_78:
	s_or_b32 exec_lo, exec_lo, s18
	v_lshl_add_u32 v1, s17, 3, v0
	s_mov_b32 s2, exec_lo
	s_delay_alu instid0(VALU_DEP_1)
	v_cmpx_gt_i32_e64 s16, v1
	s_cbranch_execz .LBB8_86
; %bb.79:
	v_cvt_f32_u32_e32 v2, s28
	s_sub_i32 s0, 0, s28
	v_add_nc_u32_e32 v4, s28, v1
	s_cmp_eq_u32 s28, 1
	s_mov_b32 s6, 0
	v_rcp_iflag_f32_e32 v2, v2
	s_delay_alu instid0(VALU_DEP_1) | instskip(SKIP_3) | instid1(VALU_DEP_1)
	v_cmp_gt_i32_e32 vcc_lo, s16, v4
	v_max_i32_e32 v5, s16, v4
	s_waitcnt_depctr 0xfff
	v_mul_f32_e32 v2, 0x4f7ffffe, v2
	v_cvt_u32_f32_e32 v2, v2
	s_delay_alu instid0(VALU_DEP_1) | instskip(SKIP_1) | instid1(VALU_DEP_1)
	v_mul_lo_u32 v3, s0, v2
	v_add_co_ci_u32_e64 v4, s0, s28, v1, vcc_lo
	v_sub_nc_u32_e32 v4, v5, v4
	s_delay_alu instid0(VALU_DEP_3) | instskip(NEXT) | instid1(VALU_DEP_1)
	v_mul_hi_u32 v3, v2, v3
	v_add_nc_u32_e32 v2, v2, v3
	s_delay_alu instid0(VALU_DEP_1) | instskip(NEXT) | instid1(VALU_DEP_1)
	v_mul_hi_u32 v2, v4, v2
	v_mul_lo_u32 v3, v2, s28
	s_delay_alu instid0(VALU_DEP_1) | instskip(SKIP_1) | instid1(VALU_DEP_2)
	v_sub_nc_u32_e32 v3, v4, v3
	v_add_nc_u32_e32 v4, 1, v2
	v_subrev_nc_u32_e32 v5, s28, v3
	v_cmp_le_u32_e64 s0, s28, v3
	s_delay_alu instid0(VALU_DEP_1) | instskip(NEXT) | instid1(VALU_DEP_3)
	v_cndmask_b32_e64 v2, v2, v4, s0
	v_cndmask_b32_e64 v3, v3, v5, s0
	s_delay_alu instid0(VALU_DEP_2) | instskip(NEXT) | instid1(VALU_DEP_2)
	v_add_nc_u32_e32 v4, 1, v2
	v_cmp_le_u32_e64 s0, s28, v3
	s_delay_alu instid0(VALU_DEP_1) | instskip(SKIP_1) | instid1(VALU_DEP_1)
	v_cndmask_b32_e64 v2, v2, v4, s0
	s_cselect_b32 s0, -1, 0
	v_add_co_ci_u32_e32 v4, vcc_lo, 1, v2, vcc_lo
	s_delay_alu instid0(VALU_DEP_1)
	v_cmp_lt_u32_e32 vcc_lo, 15, v4
	s_and_b32 s7, vcc_lo, s0
	s_mov_b32 s0, -1
	s_and_saveexec_b32 s3, s7
	s_cbranch_execz .LBB8_83
; %bb.80:
	v_dual_mov_b32 v2, v1 :: v_dual_and_b32 v5, -16, v4
	s_lshl_b64 s[10:11], s[4:5], 1
	s_delay_alu instid0(SALU_CYCLE_1) | instskip(NEXT) | instid1(VALU_DEP_1)
	s_add_u32 s7, s24, s10
	v_mov_b32_e32 v6, v5
	s_addc_u32 s8, s25, s11
	s_add_u32 s9, s26, s10
	s_addc_u32 s10, s27, s11
	.p2align	6
.LBB8_81:                               ; =>This Inner Loop Header: Depth=1
	v_ashrrev_i32_e32 v3, 31, v2
	v_add_nc_u32_e32 v6, -16, v6
	s_delay_alu instid0(VALU_DEP_2) | instskip(SKIP_1) | instid1(VALU_DEP_2)
	v_lshlrev_b64 v[15:16], 1, v[2:3]
	v_add_nc_u32_e32 v2, 16, v2
	v_add_co_u32 v11, vcc_lo, s7, v15
	s_delay_alu instid0(VALU_DEP_3)
	v_add_co_ci_u32_e32 v12, vcc_lo, s8, v16, vcc_lo
	v_cmp_eq_u32_e32 vcc_lo, 0, v6
	v_add_co_u32 v15, s0, s9, v15
	s_clause 0x1
	global_load_b128 v[7:10], v[11:12], off
	global_load_b128 v[11:14], v[11:12], off offset:16
	v_add_co_ci_u32_e64 v16, s0, s10, v16, s0
	s_or_b32 s6, vcc_lo, s6
	s_waitcnt vmcnt(1)
	global_store_b128 v[15:16], v[7:10], off
	s_waitcnt vmcnt(0)
	global_store_b128 v[15:16], v[11:14], off offset:16
	s_and_not1_b32 exec_lo, exec_lo, s6
	s_cbranch_execnz .LBB8_81
; %bb.82:
	s_or_b32 exec_lo, exec_lo, s6
	v_cmp_ne_u32_e32 vcc_lo, v4, v5
	v_add_nc_u32_e32 v1, v1, v5
	s_or_not1_b32 s0, vcc_lo, exec_lo
.LBB8_83:
	s_or_b32 exec_lo, exec_lo, s3
	s_delay_alu instid0(SALU_CYCLE_1)
	s_and_b32 exec_lo, exec_lo, s0
	s_cbranch_execz .LBB8_86
; %bb.84:
	v_ashrrev_i32_e32 v2, 31, v1
	s_lshl_b64 s[4:5], s[4:5], 1
	s_lshl_b32 s3, s28, 1
	s_delay_alu instid0(VALU_DEP_1) | instskip(NEXT) | instid1(VALU_DEP_1)
	v_lshlrev_b64 v[2:3], 1, v[1:2]
	v_add_co_u32 v2, vcc_lo, s4, v2
	s_delay_alu instid0(VALU_DEP_2)
	v_add_co_ci_u32_e32 v3, vcc_lo, s5, v3, vcc_lo
	s_mov_b32 s4, 0
	.p2align	6
.LBB8_85:                               ; =>This Inner Loop Header: Depth=1
	s_delay_alu instid0(VALU_DEP_2) | instskip(NEXT) | instid1(VALU_DEP_2)
	v_add_co_u32 v4, vcc_lo, s24, v2
	v_add_co_ci_u32_e32 v5, vcc_lo, s25, v3, vcc_lo
	v_add_nc_u32_e32 v1, s28, v1
	global_load_u16 v6, v[4:5], off
	v_add_co_u32 v4, vcc_lo, s26, v2
	v_add_co_ci_u32_e32 v5, vcc_lo, s27, v3, vcc_lo
	v_cmp_le_i32_e32 vcc_lo, s16, v1
	v_add_co_u32 v2, s0, v2, s3
	s_delay_alu instid0(VALU_DEP_1)
	v_add_co_ci_u32_e64 v3, s0, 0, v3, s0
	s_or_b32 s4, vcc_lo, s4
	s_waitcnt vmcnt(0)
	global_store_b16 v[4:5], v6, off
	s_and_not1_b32 exec_lo, exec_lo, s4
	s_cbranch_execnz .LBB8_85
.LBB8_86:
	s_or_b32 exec_lo, exec_lo, s2
	s_mov_b32 s0, 0
.LBB8_87:
	s_delay_alu instid0(SALU_CYCLE_1)
	s_and_b32 vcc_lo, exec_lo, s0
	s_cbranch_vccz .LBB8_91
; %bb.88:
	s_ashr_i32 s0, s1, 3
	s_mov_b32 s1, exec_lo
	v_cmpx_gt_i32_e64 s0, v0
	s_cbranch_execz .LBB8_91
; %bb.89:
	v_lshlrev_b32_e32 v1, 4, v0
	s_mov_b32 s1, 0
	s_lshl_b32 s2, s28, 4
	.p2align	6
.LBB8_90:                               ; =>This Inner Loop Header: Depth=1
	s_delay_alu instid0(VALU_DEP_1) | instskip(NEXT) | instid1(VALU_DEP_1)
	v_add_co_u32 v2, s3, s24, v1
	v_add_co_ci_u32_e64 v3, null, s25, 0, s3
	v_add_nc_u32_e32 v0, s28, v0
	v_add_co_u32 v6, s3, s26, v1
	global_load_b128 v[2:5], v[2:3], off
	s_add_u32 s26, s26, s2
	v_cmp_le_i32_e32 vcc_lo, s0, v0
	v_add_co_ci_u32_e64 v7, null, s27, 0, s3
	s_addc_u32 s27, s27, 0
	s_add_u32 s24, s24, s2
	s_addc_u32 s25, s25, 0
	s_or_b32 s1, vcc_lo, s1
	s_waitcnt vmcnt(0)
	global_store_b128 v[6:7], v[2:5], off
	s_and_not1_b32 exec_lo, exec_lo, s1
	s_cbranch_execnz .LBB8_90
.LBB8_91:
	s_nop 0
	s_sendmsg sendmsg(MSG_DEALLOC_VGPRS)
	s_endpgm
.LBB8_92:
                                        ; implicit-def: $sgpr26_sgpr27
	s_branch .LBB8_3
	.section	.rodata,"a",@progbits
	.p2align	6, 0x0
	.amdhsa_kernel _ZN4vllm30reshape_and_cache_flash_kernelIttLNS_18Fp8KVCacheDataTypeE0EEEvPKT_S4_PT0_S6_PKlllllliiiPKfSA_i
		.amdhsa_group_segment_fixed_size 0
		.amdhsa_private_segment_fixed_size 0
		.amdhsa_kernarg_size 376
		.amdhsa_user_sgpr_count 15
		.amdhsa_user_sgpr_dispatch_ptr 0
		.amdhsa_user_sgpr_queue_ptr 0
		.amdhsa_user_sgpr_kernarg_segment_ptr 1
		.amdhsa_user_sgpr_dispatch_id 0
		.amdhsa_user_sgpr_private_segment_size 0
		.amdhsa_wavefront_size32 1
		.amdhsa_uses_dynamic_stack 0
		.amdhsa_enable_private_segment 0
		.amdhsa_system_sgpr_workgroup_id_x 1
		.amdhsa_system_sgpr_workgroup_id_y 0
		.amdhsa_system_sgpr_workgroup_id_z 0
		.amdhsa_system_sgpr_workgroup_info 0
		.amdhsa_system_vgpr_workitem_id 0
		.amdhsa_next_free_vgpr 48
		.amdhsa_next_free_sgpr 48
		.amdhsa_reserve_vcc 1
		.amdhsa_float_round_mode_32 0
		.amdhsa_float_round_mode_16_64 0
		.amdhsa_float_denorm_mode_32 3
		.amdhsa_float_denorm_mode_16_64 3
		.amdhsa_dx10_clamp 1
		.amdhsa_ieee_mode 1
		.amdhsa_fp16_overflow 0
		.amdhsa_workgroup_processor_mode 1
		.amdhsa_memory_ordered 1
		.amdhsa_forward_progress 0
		.amdhsa_shared_vgpr_count 0
		.amdhsa_exception_fp_ieee_invalid_op 0
		.amdhsa_exception_fp_denorm_src 0
		.amdhsa_exception_fp_ieee_div_zero 0
		.amdhsa_exception_fp_ieee_overflow 0
		.amdhsa_exception_fp_ieee_underflow 0
		.amdhsa_exception_fp_ieee_inexact 0
		.amdhsa_exception_int_div_zero 0
	.end_amdhsa_kernel
	.section	.text._ZN4vllm30reshape_and_cache_flash_kernelIttLNS_18Fp8KVCacheDataTypeE0EEEvPKT_S4_PT0_S6_PKlllllliiiPKfSA_i,"axG",@progbits,_ZN4vllm30reshape_and_cache_flash_kernelIttLNS_18Fp8KVCacheDataTypeE0EEEvPKT_S4_PT0_S6_PKlllllliiiPKfSA_i,comdat
.Lfunc_end8:
	.size	_ZN4vllm30reshape_and_cache_flash_kernelIttLNS_18Fp8KVCacheDataTypeE0EEEvPKT_S4_PT0_S6_PKlllllliiiPKfSA_i, .Lfunc_end8-_ZN4vllm30reshape_and_cache_flash_kernelIttLNS_18Fp8KVCacheDataTypeE0EEEvPKT_S4_PT0_S6_PKlllllliiiPKfSA_i
                                        ; -- End function
	.section	.AMDGPU.csdata,"",@progbits
; Kernel info:
; codeLenInByte = 6284
; NumSgprs: 50
; NumVgprs: 48
; ScratchSize: 0
; MemoryBound: 0
; FloatMode: 240
; IeeeMode: 1
; LDSByteSize: 0 bytes/workgroup (compile time only)
; SGPRBlocks: 6
; VGPRBlocks: 5
; NumSGPRsForWavesPerEU: 50
; NumVGPRsForWavesPerEU: 48
; Occupancy: 16
; WaveLimiterHint : 1
; COMPUTE_PGM_RSRC2:SCRATCH_EN: 0
; COMPUTE_PGM_RSRC2:USER_SGPR: 15
; COMPUTE_PGM_RSRC2:TRAP_HANDLER: 0
; COMPUTE_PGM_RSRC2:TGID_X_EN: 1
; COMPUTE_PGM_RSRC2:TGID_Y_EN: 0
; COMPUTE_PGM_RSRC2:TGID_Z_EN: 0
; COMPUTE_PGM_RSRC2:TIDIG_COMP_CNT: 0
	.section	.text._ZN4vllm30reshape_and_cache_flash_kernelI14__hip_bfloat16S1_LNS_18Fp8KVCacheDataTypeE0EEEvPKT_S5_PT0_S7_PKlllllliiiPKfSB_i,"axG",@progbits,_ZN4vllm30reshape_and_cache_flash_kernelI14__hip_bfloat16S1_LNS_18Fp8KVCacheDataTypeE0EEEvPKT_S5_PT0_S7_PKlllllliiiPKfSB_i,comdat
	.protected	_ZN4vllm30reshape_and_cache_flash_kernelI14__hip_bfloat16S1_LNS_18Fp8KVCacheDataTypeE0EEEvPKT_S5_PT0_S7_PKlllllliiiPKfSB_i ; -- Begin function _ZN4vllm30reshape_and_cache_flash_kernelI14__hip_bfloat16S1_LNS_18Fp8KVCacheDataTypeE0EEEvPKT_S5_PT0_S7_PKlllllliiiPKfSB_i
	.globl	_ZN4vllm30reshape_and_cache_flash_kernelI14__hip_bfloat16S1_LNS_18Fp8KVCacheDataTypeE0EEEvPKT_S5_PT0_S7_PKlllllliiiPKfSB_i
	.p2align	8
	.type	_ZN4vllm30reshape_and_cache_flash_kernelI14__hip_bfloat16S1_LNS_18Fp8KVCacheDataTypeE0EEEvPKT_S5_PT0_S7_PKlllllliiiPKfSB_i,@function
_ZN4vllm30reshape_and_cache_flash_kernelI14__hip_bfloat16S1_LNS_18Fp8KVCacheDataTypeE0EEEvPKT_S5_PT0_S7_PKlllllliiiPKfSB_i: ; @_ZN4vllm30reshape_and_cache_flash_kernelI14__hip_bfloat16S1_LNS_18Fp8KVCacheDataTypeE0EEEvPKT_S5_PT0_S7_PKlllllliiiPKfSB_i
; %bb.0:
	s_load_b64 s[4:5], s[0:1], 0x20
	s_mov_b32 s2, s15
	s_mov_b32 s3, 0
	s_delay_alu instid0(SALU_CYCLE_1)
	s_lshl_b64 s[6:7], s[2:3], 3
	s_waitcnt lgkmcnt(0)
	s_add_u32 s4, s4, s6
	s_addc_u32 s5, s5, s7
	s_load_b64 s[24:25], s[4:5], 0x0
	s_waitcnt lgkmcnt(0)
	v_cmp_lt_i64_e64 s4, s[24:25], 0
	s_delay_alu instid0(VALU_DEP_1)
	s_and_b32 vcc_lo, exec_lo, s4
	s_cbranch_vccnz .LBB9_91
; %bb.1:
	s_clause 0x1
	s_load_b128 s[20:23], s[0:1], 0x50
	s_load_b256 s[4:11], s[0:1], 0x0
	s_waitcnt lgkmcnt(0)
	s_ashr_i32 s23, s22, 31
	s_delay_alu instid0(SALU_CYCLE_1) | instskip(SKIP_1) | instid1(SALU_CYCLE_1)
	s_or_b64 s[12:13], s[24:25], s[22:23]
	s_mov_b32 s12, s3
	s_cmp_lg_u64 s[12:13], 0
	s_cbranch_scc0 .LBB9_92
; %bb.2:
	s_add_u32 s14, s22, s23
	s_mov_b32 s12, s23
	s_mov_b32 s13, s23
	s_addc_u32 s15, s23, s23
	s_delay_alu instid0(SALU_CYCLE_1) | instskip(NEXT) | instid1(SALU_CYCLE_1)
	s_xor_b64 s[14:15], s[14:15], s[12:13]
	v_cvt_f32_u32_e32 v1, s14
	v_cvt_f32_u32_e32 v2, s15
	s_sub_u32 s17, 0, s14
	s_subb_u32 s18, 0, s15
	s_delay_alu instid0(VALU_DEP_1) | instskip(NEXT) | instid1(VALU_DEP_1)
	v_fmamk_f32 v1, v2, 0x4f800000, v1
	v_rcp_f32_e32 v1, v1
	s_waitcnt_depctr 0xfff
	v_mul_f32_e32 v1, 0x5f7ffffc, v1
	s_delay_alu instid0(VALU_DEP_1) | instskip(NEXT) | instid1(VALU_DEP_1)
	v_mul_f32_e32 v2, 0x2f800000, v1
	v_trunc_f32_e32 v2, v2
	s_delay_alu instid0(VALU_DEP_1) | instskip(SKIP_1) | instid1(VALU_DEP_2)
	v_fmamk_f32 v1, v2, 0xcf800000, v1
	v_cvt_u32_f32_e32 v2, v2
	v_cvt_u32_f32_e32 v1, v1
	s_delay_alu instid0(VALU_DEP_2) | instskip(NEXT) | instid1(VALU_DEP_2)
	v_readfirstlane_b32 s3, v2
	v_readfirstlane_b32 s16, v1
	s_delay_alu instid0(VALU_DEP_2) | instskip(NEXT) | instid1(VALU_DEP_1)
	s_mul_i32 s19, s17, s3
	s_mul_hi_u32 s27, s17, s16
	s_mul_i32 s26, s18, s16
	s_add_i32 s19, s27, s19
	s_mul_i32 s28, s17, s16
	s_add_i32 s19, s19, s26
	s_mul_hi_u32 s27, s16, s28
	s_mul_hi_u32 s29, s3, s28
	s_mul_i32 s26, s3, s28
	s_mul_hi_u32 s28, s16, s19
	s_mul_i32 s16, s16, s19
	s_mul_hi_u32 s30, s3, s19
	s_add_u32 s16, s27, s16
	s_addc_u32 s27, 0, s28
	s_add_u32 s16, s16, s26
	s_mul_i32 s19, s3, s19
	s_addc_u32 s16, s27, s29
	s_addc_u32 s26, s30, 0
	s_add_u32 s16, s16, s19
	s_addc_u32 s19, 0, s26
	v_add_co_u32 v1, s16, v1, s16
	s_delay_alu instid0(VALU_DEP_1) | instskip(SKIP_1) | instid1(VALU_DEP_1)
	s_cmp_lg_u32 s16, 0
	s_addc_u32 s3, s3, s19
	v_readfirstlane_b32 s16, v1
	s_mul_i32 s19, s17, s3
	s_delay_alu instid0(VALU_DEP_1)
	s_mul_hi_u32 s26, s17, s16
	s_mul_i32 s18, s18, s16
	s_add_i32 s19, s26, s19
	s_mul_i32 s17, s17, s16
	s_add_i32 s19, s19, s18
	s_mul_hi_u32 s26, s3, s17
	s_mul_i32 s27, s3, s17
	s_mul_hi_u32 s17, s16, s17
	s_mul_hi_u32 s28, s16, s19
	s_mul_i32 s16, s16, s19
	s_mul_hi_u32 s18, s3, s19
	s_add_u32 s16, s17, s16
	s_addc_u32 s17, 0, s28
	s_add_u32 s16, s16, s27
	s_mul_i32 s19, s3, s19
	s_addc_u32 s16, s17, s26
	s_addc_u32 s17, s18, 0
	s_add_u32 s16, s16, s19
	s_addc_u32 s17, 0, s17
	v_add_co_u32 v1, s16, v1, s16
	s_delay_alu instid0(VALU_DEP_1) | instskip(SKIP_2) | instid1(VALU_DEP_1)
	s_cmp_lg_u32 s16, 0
	s_addc_u32 s3, s3, s17
	s_ashr_i32 s16, s25, 31
	v_readfirstlane_b32 s26, v1
	s_add_u32 s18, s24, s16
	s_mov_b32 s17, s16
	s_addc_u32 s19, s25, s16
	s_delay_alu instid0(SALU_CYCLE_1) | instskip(NEXT) | instid1(SALU_CYCLE_1)
	s_xor_b64 s[18:19], s[18:19], s[16:17]
	s_mul_i32 s28, s18, s3
	s_mul_hi_u32 s29, s18, s26
	s_mul_hi_u32 s27, s18, s3
	;; [unrolled: 1-line block ×3, first 2 shown]
	s_mul_i32 s26, s19, s26
	s_add_u32 s28, s29, s28
	s_addc_u32 s27, 0, s27
	s_mul_hi_u32 s30, s19, s3
	s_add_u32 s26, s28, s26
	s_mul_i32 s3, s19, s3
	s_addc_u32 s26, s27, s31
	s_addc_u32 s27, s30, 0
	s_add_u32 s3, s26, s3
	s_addc_u32 s26, 0, s27
	s_mul_i32 s30, s14, s3
	s_mul_hi_u32 s27, s14, s3
	s_mul_i32 s29, s14, s26
	v_sub_co_u32 v1, s18, s18, s30
	s_mul_i32 s28, s15, s3
	s_add_i32 s27, s27, s29
	s_delay_alu instid0(SALU_CYCLE_1) | instskip(NEXT) | instid1(VALU_DEP_1)
	s_add_i32 s27, s27, s28
	v_sub_co_u32 v2, s29, v1, s14
	s_sub_i32 s28, s19, s27
	s_cmp_lg_u32 s18, 0
	s_subb_u32 s28, s28, s15
	s_cmp_lg_u32 s29, 0
	v_readfirstlane_b32 s29, v2
	s_subb_u32 s28, s28, 0
	s_delay_alu instid0(SALU_CYCLE_1) | instskip(SKIP_1) | instid1(VALU_DEP_1)
	s_cmp_ge_u32 s28, s15
	s_cselect_b32 s30, -1, 0
	s_cmp_ge_u32 s29, s14
	s_cselect_b32 s29, -1, 0
	s_cmp_eq_u32 s28, s15
	s_cselect_b32 s28, s29, s30
	s_add_u32 s29, s3, 1
	s_addc_u32 s30, s26, 0
	s_add_u32 s31, s3, 2
	s_addc_u32 s33, s26, 0
	s_cmp_lg_u32 s28, 0
	s_cselect_b32 s28, s31, s29
	s_cselect_b32 s29, s33, s30
	s_cmp_lg_u32 s18, 0
	v_readfirstlane_b32 s18, v1
	s_subb_u32 s19, s19, s27
	s_delay_alu instid0(SALU_CYCLE_1) | instskip(SKIP_1) | instid1(VALU_DEP_1)
	s_cmp_ge_u32 s19, s15
	s_cselect_b32 s27, -1, 0
	s_cmp_ge_u32 s18, s14
	s_cselect_b32 s14, -1, 0
	s_cmp_eq_u32 s19, s15
	s_cselect_b32 s14, s14, s27
	s_delay_alu instid0(SALU_CYCLE_1) | instskip(SKIP_3) | instid1(SALU_CYCLE_1)
	s_cmp_lg_u32 s14, 0
	s_cselect_b32 s15, s29, s26
	s_cselect_b32 s14, s28, s3
	s_xor_b64 s[12:13], s[16:17], s[12:13]
	s_xor_b64 s[14:15], s[14:15], s[12:13]
	s_delay_alu instid0(SALU_CYCLE_1)
	s_sub_u32 s26, s14, s12
	s_subb_u32 s27, s15, s13
	s_cbranch_execnz .LBB9_4
.LBB9_3:
	v_cvt_f32_u32_e32 v1, s22
	s_sub_i32 s12, 0, s22
	s_mov_b32 s27, 0
	s_delay_alu instid0(VALU_DEP_1) | instskip(SKIP_2) | instid1(VALU_DEP_1)
	v_rcp_iflag_f32_e32 v1, v1
	s_waitcnt_depctr 0xfff
	v_mul_f32_e32 v1, 0x4f7ffffe, v1
	v_cvt_u32_f32_e32 v1, v1
	s_delay_alu instid0(VALU_DEP_1) | instskip(NEXT) | instid1(VALU_DEP_1)
	v_readfirstlane_b32 s3, v1
	s_mul_i32 s12, s12, s3
	s_delay_alu instid0(SALU_CYCLE_1) | instskip(NEXT) | instid1(SALU_CYCLE_1)
	s_mul_hi_u32 s12, s3, s12
	s_add_i32 s3, s3, s12
	s_delay_alu instid0(SALU_CYCLE_1) | instskip(NEXT) | instid1(SALU_CYCLE_1)
	s_mul_hi_u32 s3, s24, s3
	s_mul_i32 s12, s3, s22
	s_add_i32 s13, s3, 1
	s_sub_i32 s12, s24, s12
	s_delay_alu instid0(SALU_CYCLE_1)
	s_sub_i32 s14, s12, s22
	s_cmp_ge_u32 s12, s22
	s_cselect_b32 s3, s13, s3
	s_cselect_b32 s12, s14, s12
	s_add_i32 s13, s3, 1
	s_cmp_ge_u32 s12, s22
	s_cselect_b32 s26, s13, s3
.LBB9_4:
	s_clause 0x1
	s_load_b256 s[12:19], s[0:1], 0x28
	s_load_b64 s[28:29], s[0:1], 0x48
	s_mul_i32 s3, s26, s23
	s_mul_hi_u32 s23, s26, s22
	s_mul_i32 s30, s27, s22
	s_add_i32 s3, s23, s3
	s_mul_i32 s22, s26, s22
	s_add_i32 s3, s3, s30
	s_sub_u32 s22, s24, s22
	s_clause 0x1
	s_load_b32 s23, s[0:1], 0x70
	s_load_b32 s34, s[0:1], 0x84
	s_subb_u32 s31, s25, s3
	s_waitcnt lgkmcnt(0)
	s_mul_i32 s1, s2, s19
	s_mul_hi_u32 s3, s2, s18
	s_mul_i32 s0, s2, s18
	s_add_i32 s1, s3, s1
	s_mul_i32 s24, s2, s29
	s_lshl_b64 s[18:19], s[0:1], 1
	s_mul_hi_u32 s25, s2, s28
	s_add_u32 s29, s4, s18
	s_mul_i32 s2, s2, s28
	s_addc_u32 s30, s5, s19
	s_add_i32 s3, s25, s24
	s_mul_i32 s13, s26, s13
	s_lshl_b64 s[2:3], s[2:3], 1
	s_mul_hi_u32 s1, s26, s12
	s_add_u32 s24, s6, s2
	s_mul_i32 s27, s27, s12
	s_addc_u32 s25, s7, s3
	s_add_i32 s1, s1, s13
	s_mul_i32 s0, s26, s12
	s_add_i32 s1, s1, s27
	s_mul_i32 s15, s22, s15
	s_lshl_b64 s[12:13], s[0:1], 1
	s_mul_hi_u32 s26, s22, s14
	s_add_u32 s27, s8, s12
	s_mul_i32 s31, s31, s14
	s_addc_u32 s28, s9, s13
	s_add_i32 s1, s26, s15
	s_mul_i32 s0, s22, s14
	s_add_i32 s1, s1, s31
	s_delay_alu instid0(SALU_CYCLE_1)
	s_lshl_b64 s[14:15], s[0:1], 1
	s_mov_b32 s0, s21
	s_add_u32 s31, s27, s14
	s_addc_u32 s33, s28, s15
	s_add_u32 s1, s10, s12
	s_addc_u32 s22, s11, s13
	;; [unrolled: 2-line block ×3, first 2 shown]
	s_ashr_i32 s1, s21, 31
	s_delay_alu instid0(SALU_CYCLE_1)
	s_cmp_lg_u64 s[0:1], s[16:17]
	s_cselect_b32 s0, -1, 0
	s_cmp_lg_u32 s23, 0
	s_cselect_b32 s1, -1, 0
	s_and_b32 s28, s34, 0xffff
	s_or_b32 s0, s0, s1
	s_delay_alu instid0(SALU_CYCLE_1)
	s_and_b32 vcc_lo, exec_lo, s0
	s_mov_b32 s0, -1
	s_cbranch_vccz .LBB9_49
; %bb.5:
	v_lshrrev_b32_e32 v24, 5, v0
	s_mov_b32 s34, exec_lo
	s_delay_alu instid0(VALU_DEP_1)
	v_cmpx_gt_i32_e64 s20, v24
	s_cbranch_execz .LBB9_48
; %bb.6:
	v_mad_u64_u32 v[3:4], null, s16, v24, 0
	v_dual_mov_b32 v2, 0 :: v_dual_and_b32 v25, 31, v0
	s_and_b32 s0, s21, 7
	s_lshr_b32 s35, s28, 5
	s_cmp_eq_u32 s0, 0
	s_mul_i32 s1, s17, s35
	s_delay_alu instid0(VALU_DEP_2) | instskip(SKIP_3) | instid1(VALU_DEP_1)
	v_dual_mov_b32 v1, v4 :: v_dual_lshlrev_b32 v28, 4, v25
	s_mul_hi_u32 s22, s16, s35
	s_cselect_b32 s43, -1, 0
	s_ashr_i32 s36, s21, 3
	v_mad_u64_u32 v[4:5], null, s17, v24, v[1:2]
	s_add_u32 s38, s14, s12
	s_mul_i32 s0, s16, s35
	s_addc_u32 s39, s15, s13
	s_add_i32 s1, s22, s1
	v_mul_lo_u32 v5, s21, v24
	s_lshl_b64 s[22:23], s[0:1], 1
	s_delay_alu instid0(VALU_DEP_2)
	v_lshlrev_b64 v[3:4], 1, v[3:4]
	s_add_u32 s37, s4, s18
	v_not_b32_e32 v26, v25
	v_or_b32_e32 v27, 32, v25
	v_cmp_gt_i32_e32 vcc_lo, s36, v25
	v_lshlrev_b32_e32 v33, 1, v25
	v_add_co_u32 v1, s0, s38, v3
	s_delay_alu instid0(VALU_DEP_1) | instskip(SKIP_1) | instid1(VALU_DEP_2)
	v_add_co_ci_u32_e64 v6, s0, s39, v4, s0
	s_addc_u32 s38, s5, s19
	v_add_co_u32 v9, s0, v1, v28
	s_delay_alu instid0(VALU_DEP_1) | instskip(SKIP_1) | instid1(VALU_DEP_1)
	v_add_co_ci_u32_e64 v10, s0, 0, v6, s0
	v_add_co_u32 v29, s0, s37, v28
	v_add_co_ci_u32_e64 v30, null, s38, 0, s0
	s_delay_alu instid0(VALU_DEP_4) | instskip(NEXT) | instid1(VALU_DEP_1)
	v_add_co_u32 v3, s0, s8, v9
	v_add_co_ci_u32_e64 v4, s0, s9, v10, s0
	v_add_co_u32 v7, s0, s8, v1
	s_delay_alu instid0(VALU_DEP_1)
	v_add_co_ci_u32_e64 v8, s0, s9, v6, s0
	v_add_co_u32 v9, s0, s10, v9
	s_add_u32 s39, s6, s2
	v_add_co_ci_u32_e64 v10, s0, s11, v10, s0
	s_addc_u32 s40, s7, s3
	v_add_co_u32 v31, s0, s39, v28
	s_delay_alu instid0(VALU_DEP_1) | instskip(SKIP_1) | instid1(VALU_DEP_1)
	v_add_co_ci_u32_e64 v32, null, s40, 0, s0
	v_add_co_u32 v11, s0, s10, v1
	v_add_co_ci_u32_e64 v12, s0, s11, v6, s0
	s_mov_b32 s41, 0
	s_mul_i32 s42, s21, s35
	s_xor_b32 s43, s43, -1
	s_branch .LBB9_9
.LBB9_7:                                ;   in Loop: Header=BB9_9 Depth=1
	s_or_b32 exec_lo, exec_lo, s45
.LBB9_8:                                ;   in Loop: Header=BB9_9 Depth=1
	s_delay_alu instid0(SALU_CYCLE_1) | instskip(SKIP_1) | instid1(VALU_DEP_1)
	s_or_b32 exec_lo, exec_lo, s44
	v_add_co_u32 v3, s0, v3, s22
	v_add_co_ci_u32_e64 v4, s0, s23, v4, s0
	v_add_co_u32 v7, s0, v7, s22
	v_add_nc_u32_e32 v24, s35, v24
	v_add_co_ci_u32_e64 v8, s0, s23, v8, s0
	v_add_co_u32 v9, s0, v9, s22
	s_delay_alu instid0(VALU_DEP_1) | instskip(NEXT) | instid1(VALU_DEP_4)
	v_add_co_ci_u32_e64 v10, s0, s23, v10, s0
	v_cmp_le_i32_e64 s0, s20, v24
	v_add_co_u32 v11, s1, v11, s22
	v_add_nc_u32_e32 v5, s42, v5
	v_add_co_ci_u32_e64 v12, s1, s23, v12, s1
	s_delay_alu instid0(VALU_DEP_4) | instskip(NEXT) | instid1(SALU_CYCLE_1)
	s_or_b32 s41, s0, s41
	s_and_not1_b32 exec_lo, exec_lo, s41
	s_cbranch_execz .LBB9_48
.LBB9_9:                                ; =>This Loop Header: Depth=1
                                        ;     Child Loop BB9_14 Depth 2
                                        ;     Child Loop BB9_18 Depth 2
	;; [unrolled: 1-line block ×8, first 2 shown]
	v_mul_lo_u32 v13, v24, s21
	v_mad_u64_u32 v[15:16], null, v24, s16, 0
	v_ashrrev_i32_e32 v6, 31, v5
	s_delay_alu instid0(VALU_DEP_3) | instskip(NEXT) | instid1(VALU_DEP_3)
	v_ashrrev_i32_e32 v14, 31, v13
	v_mov_b32_e32 v1, v16
	s_delay_alu instid0(VALU_DEP_2) | instskip(NEXT) | instid1(VALU_DEP_2)
	v_lshlrev_b64 v[17:18], 1, v[13:14]
	v_mad_u64_u32 v[13:14], null, v24, s17, v[1:2]
	s_delay_alu instid0(VALU_DEP_2) | instskip(NEXT) | instid1(VALU_DEP_1)
	v_add_co_u32 v23, s0, s29, v17
	v_add_co_ci_u32_e64 v34, s0, s30, v18, s0
	s_delay_alu instid0(VALU_DEP_2) | instskip(SKIP_1) | instid1(VALU_DEP_2)
	v_dual_mov_b32 v16, v13 :: v_dual_and_b32 v1, 15, v23
	v_lshlrev_b64 v[13:14], 1, v[5:6]
	v_lshlrev_b64 v[15:16], 1, v[15:16]
	s_delay_alu instid0(VALU_DEP_3) | instskip(NEXT) | instid1(VALU_DEP_1)
	v_cmp_ne_u64_e64 s0, 0, v[1:2]
	s_or_b32 s0, s43, s0
	s_delay_alu instid0(SALU_CYCLE_1) | instskip(NEXT) | instid1(SALU_CYCLE_1)
	s_and_saveexec_b32 s1, s0
	s_xor_b32 s44, exec_lo, s1
	s_cbranch_execz .LBB9_24
; %bb.10:                               ;   in Loop: Header=BB9_9 Depth=1
	v_sub_nc_u32_e32 v1, 0, v23
	v_add_co_u32 v6, s0, s31, v15
	s_delay_alu instid0(VALU_DEP_1) | instskip(NEXT) | instid1(VALU_DEP_3)
	v_add_co_ci_u32_e64 v35, s0, s33, v16, s0
	v_bfe_u32 v1, v1, 1, 3
	s_mov_b32 s1, exec_lo
	s_delay_alu instid0(VALU_DEP_1) | instskip(NEXT) | instid1(VALU_DEP_1)
	v_min_i32_e32 v19, s21, v1
	v_cmpx_gt_i32_e64 v19, v25
	s_cbranch_execz .LBB9_12
; %bb.11:                               ;   in Loop: Header=BB9_9 Depth=1
	v_add_co_u32 v20, s0, v23, v33
	s_delay_alu instid0(VALU_DEP_1) | instskip(SKIP_2) | instid1(VALU_DEP_1)
	v_add_co_ci_u32_e64 v21, s0, 0, v34, s0
	global_load_u16 v1, v[20:21], off
	v_add_co_u32 v20, s0, v6, v33
	v_add_co_ci_u32_e64 v21, s0, 0, v35, s0
	s_waitcnt vmcnt(0)
	global_store_b16 v[20:21], v1, off
.LBB9_12:                               ;   in Loop: Header=BB9_9 Depth=1
	s_or_b32 exec_lo, exec_lo, s1
	v_sub_nc_u32_e32 v1, s21, v19
	s_mov_b32 s45, exec_lo
	s_delay_alu instid0(VALU_DEP_1) | instskip(NEXT) | instid1(VALU_DEP_1)
	v_ashrrev_i32_e32 v20, 31, v1
	v_lshrrev_b32_e32 v20, 29, v20
	s_delay_alu instid0(VALU_DEP_1) | instskip(SKIP_1) | instid1(VALU_DEP_2)
	v_add_nc_u32_e32 v21, v1, v20
	v_ashrrev_i32_e32 v20, 31, v19
	v_ashrrev_i32_e32 v36, 3, v21
	s_delay_alu instid0(VALU_DEP_2) | instskip(NEXT) | instid1(VALU_DEP_2)
	v_lshlrev_b64 v[19:20], 1, v[19:20]
	v_cmpx_gt_i32_e64 v36, v25
	s_cbranch_execz .LBB9_15
; %bb.13:                               ;   in Loop: Header=BB9_9 Depth=1
	v_add_co_u32 v37, s0, v29, v13
	s_delay_alu instid0(VALU_DEP_1)
	v_add_co_ci_u32_e64 v38, s0, v30, v14, s0
	v_dual_mov_b32 v22, v4 :: v_dual_mov_b32 v21, v3
	v_mov_b32_e32 v39, v25
	s_mov_b32 s46, 0
	.p2align	6
.LBB9_14:                               ;   Parent Loop BB9_9 Depth=1
                                        ; =>  This Inner Loop Header: Depth=2
	v_add_co_u32 v40, s0, v37, v19
	s_delay_alu instid0(VALU_DEP_1)
	v_add_co_ci_u32_e64 v41, s0, v38, v20, s0
	v_add_co_u32 v44, s0, v21, v19
	v_add_nc_u32_e32 v39, 32, v39
	global_load_b128 v[40:43], v[40:41], off
	v_add_co_ci_u32_e64 v45, s0, v22, v20, s0
	v_add_co_u32 v21, s0, 0x200, v21
	s_delay_alu instid0(VALU_DEP_1) | instskip(SKIP_2) | instid1(VALU_DEP_1)
	v_add_co_ci_u32_e64 v22, s0, 0, v22, s0
	v_cmp_ge_i32_e64 s0, v39, v36
	v_add_co_u32 v37, s1, 0x200, v37
	v_add_co_ci_u32_e64 v38, s1, 0, v38, s1
	s_delay_alu instid0(VALU_DEP_3)
	s_or_b32 s46, s0, s46
	s_waitcnt vmcnt(0)
	global_store_b128 v[44:45], v[40:43], off
	s_and_not1_b32 exec_lo, exec_lo, s46
	s_cbranch_execnz .LBB9_14
.LBB9_15:                               ;   in Loop: Header=BB9_9 Depth=1
	s_or_b32 exec_lo, exec_lo, s45
	v_lshlrev_b32_e32 v22, 3, v36
	s_mov_b32 s45, exec_lo
	s_delay_alu instid0(VALU_DEP_1) | instskip(NEXT) | instid1(VALU_DEP_1)
	v_add_nc_u32_e32 v21, v22, v25
	v_cmpx_lt_i32_e64 v21, v1
	s_cbranch_execz .LBB9_23
; %bb.16:                               ;   in Loop: Header=BB9_9 Depth=1
	v_add_nc_u32_e32 v36, v27, v22
	s_mov_b32 s1, -1
	s_mov_b32 s46, exec_lo
	s_delay_alu instid0(VALU_DEP_1) | instskip(NEXT) | instid1(VALU_DEP_1)
	v_max_i32_e32 v36, v36, v1
	v_add_nc_u32_e32 v36, v36, v26
	s_delay_alu instid0(VALU_DEP_1) | instskip(NEXT) | instid1(VALU_DEP_1)
	v_sub_nc_u32_e32 v22, v36, v22
	v_cmpx_lt_u32_e32 31, v22
	s_cbranch_execz .LBB9_20
; %bb.17:                               ;   in Loop: Header=BB9_9 Depth=1
	v_lshrrev_b32_e32 v22, 5, v22
	v_add_co_u32 v37, s0, v23, v19
	s_delay_alu instid0(VALU_DEP_1) | instskip(NEXT) | instid1(VALU_DEP_3)
	v_add_co_ci_u32_e64 v34, s0, v34, v20, s0
	v_add_nc_u32_e32 v36, 1, v22
	v_add_nc_u32_e32 v22, 32, v21
	v_add_co_u32 v6, s0, v6, v19
	s_delay_alu instid0(VALU_DEP_1) | instskip(NEXT) | instid1(VALU_DEP_3)
	v_add_co_ci_u32_e64 v35, s0, v35, v20, s0
	v_dual_mov_b32 v23, v22 :: v_dual_and_b32 v38, 0xffffffe, v36
	v_mov_b32_e32 v22, v21
	s_mov_b32 s47, 0
	s_delay_alu instid0(VALU_DEP_2)
	v_mov_b32_e32 v39, v38
	s_set_inst_prefetch_distance 0x1
	.p2align	6
.LBB9_18:                               ;   Parent Loop BB9_9 Depth=1
                                        ; =>  This Inner Loop Header: Depth=2
	s_delay_alu instid0(VALU_DEP_2) | instskip(NEXT) | instid1(VALU_DEP_2)
	v_ashrrev_i32_e32 v41, 31, v22
	v_dual_mov_b32 v40, v22 :: v_dual_add_nc_u32 v39, -2, v39
	v_ashrrev_i32_e32 v43, 31, v23
	v_dual_mov_b32 v42, v23 :: v_dual_add_nc_u32 v23, 64, v23
	s_delay_alu instid0(VALU_DEP_3) | instskip(SKIP_1) | instid1(VALU_DEP_3)
	v_lshlrev_b64 v[40:41], 1, v[40:41]
	v_add_nc_u32_e32 v22, 64, v22
	v_lshlrev_b64 v[42:43], 1, v[42:43]
	s_delay_alu instid0(VALU_DEP_3) | instskip(NEXT) | instid1(VALU_DEP_1)
	v_add_co_u32 v44, s0, v37, v40
	v_add_co_ci_u32_e64 v45, s0, v34, v41, s0
	s_delay_alu instid0(VALU_DEP_3) | instskip(NEXT) | instid1(VALU_DEP_1)
	v_add_co_u32 v46, s0, v37, v42
	v_add_co_ci_u32_e64 v47, s0, v34, v43, s0
	s_clause 0x1
	global_load_u16 v44, v[44:45], off
	global_load_u16 v45, v[46:47], off
	v_add_co_u32 v40, s1, v6, v40
	v_cmp_eq_u32_e64 s0, 0, v39
	v_add_co_ci_u32_e64 v41, s1, v35, v41, s1
	v_add_co_u32 v42, s1, v6, v42
	s_delay_alu instid0(VALU_DEP_1) | instskip(NEXT) | instid1(VALU_DEP_4)
	v_add_co_ci_u32_e64 v43, s1, v35, v43, s1
	s_or_b32 s47, s0, s47
	s_waitcnt vmcnt(1)
	global_store_b16 v[40:41], v44, off
	s_waitcnt vmcnt(0)
	global_store_b16 v[42:43], v45, off
	s_and_not1_b32 exec_lo, exec_lo, s47
	s_cbranch_execnz .LBB9_18
; %bb.19:                               ;   in Loop: Header=BB9_9 Depth=1
	s_set_inst_prefetch_distance 0x2
	s_or_b32 exec_lo, exec_lo, s47
	v_cmp_ne_u32_e64 s0, v36, v38
	v_lshl_add_u32 v21, v38, 5, v21
	s_delay_alu instid0(VALU_DEP_2)
	s_or_not1_b32 s1, s0, exec_lo
.LBB9_20:                               ;   in Loop: Header=BB9_9 Depth=1
	s_or_b32 exec_lo, exec_lo, s46
	s_delay_alu instid0(SALU_CYCLE_1)
	s_and_b32 exec_lo, exec_lo, s1
	s_cbranch_execz .LBB9_23
; %bb.21:                               ;   in Loop: Header=BB9_9 Depth=1
	v_ashrrev_i32_e32 v22, 31, v21
	s_mov_b32 s46, 0
	s_delay_alu instid0(VALU_DEP_1) | instskip(NEXT) | instid1(VALU_DEP_1)
	v_lshlrev_b64 v[22:23], 1, v[21:22]
	v_add_co_u32 v6, s0, v19, v22
	s_delay_alu instid0(VALU_DEP_1) | instskip(NEXT) | instid1(VALU_DEP_2)
	v_add_co_ci_u32_e64 v23, s0, v20, v23, s0
	v_add_co_u32 v19, s0, v6, v13
	s_delay_alu instid0(VALU_DEP_1) | instskip(NEXT) | instid1(VALU_DEP_2)
	v_add_co_ci_u32_e64 v20, s0, v23, v14, s0
	v_add_co_u32 v19, s0, s37, v19
	s_delay_alu instid0(VALU_DEP_1) | instskip(SKIP_1) | instid1(VALU_DEP_1)
	v_add_co_ci_u32_e64 v20, s0, s38, v20, s0
	v_add_co_u32 v22, s0, v7, v6
	v_add_co_ci_u32_e64 v23, s0, v8, v23, s0
	.p2align	6
.LBB9_22:                               ;   Parent Loop BB9_9 Depth=1
                                        ; =>  This Inner Loop Header: Depth=2
	global_load_u16 v6, v[19:20], off
	v_add_nc_u32_e32 v21, 32, v21
	v_add_co_u32 v19, s0, v19, 64
	s_delay_alu instid0(VALU_DEP_1) | instskip(NEXT) | instid1(VALU_DEP_3)
	v_add_co_ci_u32_e64 v20, s0, 0, v20, s0
	v_cmp_ge_i32_e64 s0, v21, v1
	s_delay_alu instid0(VALU_DEP_1) | instskip(SKIP_3) | instid1(VALU_DEP_1)
	s_or_b32 s46, s0, s46
	s_waitcnt vmcnt(0)
	global_store_b16 v[22:23], v6, off
	v_add_co_u32 v22, s1, v22, 64
	v_add_co_ci_u32_e64 v23, s1, 0, v23, s1
	s_and_not1_b32 exec_lo, exec_lo, s46
	s_cbranch_execnz .LBB9_22
.LBB9_23:                               ;   in Loop: Header=BB9_9 Depth=1
	s_or_b32 exec_lo, exec_lo, s45
.LBB9_24:                               ;   in Loop: Header=BB9_9 Depth=1
	s_and_not1_saveexec_b32 s44, s44
	s_cbranch_execz .LBB9_29
; %bb.25:                               ;   in Loop: Header=BB9_9 Depth=1
	s_and_saveexec_b32 s45, vcc_lo
	s_cbranch_execz .LBB9_28
; %bb.26:                               ;   in Loop: Header=BB9_9 Depth=1
	v_add_co_u32 v1, s0, s37, v13
	s_delay_alu instid0(VALU_DEP_1)
	v_add_co_ci_u32_e64 v6, s0, s38, v14, s0
	v_dual_mov_b32 v20, v8 :: v_dual_mov_b32 v19, v7
	v_mov_b32_e32 v21, v25
	s_mov_b32 s46, 0
	.p2align	6
.LBB9_27:                               ;   Parent Loop BB9_9 Depth=1
                                        ; =>  This Inner Loop Header: Depth=2
	v_add_co_u32 v22, s0, v1, v28
	s_delay_alu instid0(VALU_DEP_1) | instskip(NEXT) | instid1(VALU_DEP_3)
	v_add_co_ci_u32_e64 v23, s0, 0, v6, s0
	v_add_nc_u32_e32 v21, 32, v21
	v_add_co_u32 v1, s1, 0x200, v1
	global_load_b128 v[34:37], v[22:23], off
	v_add_co_u32 v22, s0, v19, v28
	s_delay_alu instid0(VALU_DEP_1) | instskip(SKIP_1) | instid1(VALU_DEP_1)
	v_add_co_ci_u32_e64 v23, s0, 0, v20, s0
	v_add_co_u32 v19, s0, 0x200, v19
	v_add_co_ci_u32_e64 v20, s0, 0, v20, s0
	v_cmp_le_i32_e64 s0, s36, v21
	v_add_co_ci_u32_e64 v6, s1, 0, v6, s1
	s_delay_alu instid0(VALU_DEP_2)
	s_or_b32 s46, s0, s46
	s_waitcnt vmcnt(0)
	global_store_b128 v[22:23], v[34:37], off
	s_and_not1_b32 exec_lo, exec_lo, s46
	s_cbranch_execnz .LBB9_27
.LBB9_28:                               ;   in Loop: Header=BB9_9 Depth=1
	s_or_b32 exec_lo, exec_lo, s45
.LBB9_29:                               ;   in Loop: Header=BB9_9 Depth=1
	s_delay_alu instid0(SALU_CYCLE_1) | instskip(SKIP_1) | instid1(VALU_DEP_1)
	s_or_b32 exec_lo, exec_lo, s44
	v_add_co_u32 v6, s0, s24, v17
	v_add_co_ci_u32_e64 v19, s0, s25, v18, s0
	s_delay_alu instid0(VALU_DEP_2) | instskip(NEXT) | instid1(VALU_DEP_1)
	v_and_b32_e32 v1, 15, v6
	v_cmp_ne_u64_e64 s0, 0, v[1:2]
	s_delay_alu instid0(VALU_DEP_1) | instskip(NEXT) | instid1(SALU_CYCLE_1)
	s_or_b32 s0, s43, s0
	s_and_saveexec_b32 s1, s0
	s_delay_alu instid0(SALU_CYCLE_1)
	s_xor_b32 s44, exec_lo, s1
	s_cbranch_execz .LBB9_44
; %bb.30:                               ;   in Loop: Header=BB9_9 Depth=1
	v_sub_nc_u32_e32 v1, 0, v6
	v_add_co_u32 v20, s0, s26, v15
	s_delay_alu instid0(VALU_DEP_1) | instskip(NEXT) | instid1(VALU_DEP_3)
	v_add_co_ci_u32_e64 v21, s0, s27, v16, s0
	v_bfe_u32 v1, v1, 1, 3
	s_mov_b32 s1, exec_lo
	s_delay_alu instid0(VALU_DEP_1) | instskip(NEXT) | instid1(VALU_DEP_1)
	v_min_i32_e32 v17, s21, v1
	v_cmpx_gt_i32_e64 v17, v25
	s_cbranch_execz .LBB9_32
; %bb.31:                               ;   in Loop: Header=BB9_9 Depth=1
	v_add_co_u32 v15, s0, v6, v33
	s_delay_alu instid0(VALU_DEP_1) | instskip(SKIP_2) | instid1(VALU_DEP_1)
	v_add_co_ci_u32_e64 v16, s0, 0, v19, s0
	global_load_u16 v1, v[15:16], off
	v_add_co_u32 v15, s0, v20, v33
	v_add_co_ci_u32_e64 v16, s0, 0, v21, s0
	s_waitcnt vmcnt(0)
	global_store_b16 v[15:16], v1, off
.LBB9_32:                               ;   in Loop: Header=BB9_9 Depth=1
	s_or_b32 exec_lo, exec_lo, s1
	v_sub_nc_u32_e32 v1, s21, v17
	v_ashrrev_i32_e32 v18, 31, v17
	s_mov_b32 s45, exec_lo
	s_delay_alu instid0(VALU_DEP_2) | instskip(NEXT) | instid1(VALU_DEP_1)
	v_ashrrev_i32_e32 v15, 31, v1
	v_lshrrev_b32_e32 v15, 29, v15
	s_delay_alu instid0(VALU_DEP_1) | instskip(NEXT) | instid1(VALU_DEP_1)
	v_add_nc_u32_e32 v15, v1, v15
	v_ashrrev_i32_e32 v22, 3, v15
	v_lshlrev_b64 v[15:16], 1, v[17:18]
	s_delay_alu instid0(VALU_DEP_2)
	v_cmpx_gt_i32_e64 v22, v25
	s_cbranch_execz .LBB9_35
; %bb.33:                               ;   in Loop: Header=BB9_9 Depth=1
	v_add_co_u32 v23, s0, v31, v13
	s_delay_alu instid0(VALU_DEP_1)
	v_add_co_ci_u32_e64 v34, s0, v32, v14, s0
	v_dual_mov_b32 v18, v10 :: v_dual_mov_b32 v17, v9
	v_mov_b32_e32 v35, v25
	s_mov_b32 s46, 0
	.p2align	6
.LBB9_34:                               ;   Parent Loop BB9_9 Depth=1
                                        ; =>  This Inner Loop Header: Depth=2
	v_add_co_u32 v36, s0, v23, v15
	s_delay_alu instid0(VALU_DEP_1)
	v_add_co_ci_u32_e64 v37, s0, v34, v16, s0
	v_add_co_u32 v40, s0, v17, v15
	v_add_nc_u32_e32 v35, 32, v35
	global_load_b128 v[36:39], v[36:37], off
	v_add_co_ci_u32_e64 v41, s0, v18, v16, s0
	v_add_co_u32 v17, s0, 0x200, v17
	s_delay_alu instid0(VALU_DEP_1) | instskip(SKIP_2) | instid1(VALU_DEP_1)
	v_add_co_ci_u32_e64 v18, s0, 0, v18, s0
	v_cmp_ge_i32_e64 s0, v35, v22
	v_add_co_u32 v23, s1, 0x200, v23
	v_add_co_ci_u32_e64 v34, s1, 0, v34, s1
	s_delay_alu instid0(VALU_DEP_3)
	s_or_b32 s46, s0, s46
	s_waitcnt vmcnt(0)
	global_store_b128 v[40:41], v[36:39], off
	s_and_not1_b32 exec_lo, exec_lo, s46
	s_cbranch_execnz .LBB9_34
.LBB9_35:                               ;   in Loop: Header=BB9_9 Depth=1
	s_or_b32 exec_lo, exec_lo, s45
	v_lshlrev_b32_e32 v18, 3, v22
	s_mov_b32 s45, exec_lo
	s_delay_alu instid0(VALU_DEP_1) | instskip(NEXT) | instid1(VALU_DEP_1)
	v_add_nc_u32_e32 v17, v18, v25
	v_cmpx_lt_i32_e64 v17, v1
	s_cbranch_execz .LBB9_43
; %bb.36:                               ;   in Loop: Header=BB9_9 Depth=1
	v_add_nc_u32_e32 v22, v27, v18
	s_mov_b32 s1, -1
	s_mov_b32 s46, exec_lo
	s_delay_alu instid0(VALU_DEP_1) | instskip(NEXT) | instid1(VALU_DEP_1)
	v_max_i32_e32 v22, v22, v1
	v_add_nc_u32_e32 v22, v22, v26
	s_delay_alu instid0(VALU_DEP_1) | instskip(NEXT) | instid1(VALU_DEP_1)
	v_sub_nc_u32_e32 v18, v22, v18
	v_cmpx_lt_u32_e32 31, v18
	s_cbranch_execz .LBB9_40
; %bb.37:                               ;   in Loop: Header=BB9_9 Depth=1
	v_lshrrev_b32_e32 v18, 5, v18
	v_add_co_u32 v6, s0, v6, v15
	s_delay_alu instid0(VALU_DEP_1) | instskip(NEXT) | instid1(VALU_DEP_3)
	v_add_co_ci_u32_e64 v23, s0, v19, v16, s0
	v_add_nc_u32_e32 v22, 1, v18
	v_add_nc_u32_e32 v18, 32, v17
	v_add_co_u32 v20, s0, v20, v15
	s_delay_alu instid0(VALU_DEP_1) | instskip(NEXT) | instid1(VALU_DEP_3)
	v_add_co_ci_u32_e64 v21, s0, v21, v16, s0
	v_dual_mov_b32 v19, v18 :: v_dual_and_b32 v34, 0xffffffe, v22
	v_mov_b32_e32 v18, v17
	s_mov_b32 s47, 0
	s_delay_alu instid0(VALU_DEP_2)
	v_mov_b32_e32 v35, v34
	s_set_inst_prefetch_distance 0x1
	.p2align	6
.LBB9_38:                               ;   Parent Loop BB9_9 Depth=1
                                        ; =>  This Inner Loop Header: Depth=2
	s_delay_alu instid0(VALU_DEP_2) | instskip(NEXT) | instid1(VALU_DEP_2)
	v_ashrrev_i32_e32 v37, 31, v18
	v_dual_mov_b32 v36, v18 :: v_dual_add_nc_u32 v35, -2, v35
	v_ashrrev_i32_e32 v39, 31, v19
	v_dual_mov_b32 v38, v19 :: v_dual_add_nc_u32 v19, 64, v19
	s_delay_alu instid0(VALU_DEP_3) | instskip(SKIP_1) | instid1(VALU_DEP_3)
	v_lshlrev_b64 v[36:37], 1, v[36:37]
	v_add_nc_u32_e32 v18, 64, v18
	v_lshlrev_b64 v[38:39], 1, v[38:39]
	s_delay_alu instid0(VALU_DEP_3) | instskip(NEXT) | instid1(VALU_DEP_1)
	v_add_co_u32 v40, s0, v6, v36
	v_add_co_ci_u32_e64 v41, s0, v23, v37, s0
	s_delay_alu instid0(VALU_DEP_3) | instskip(NEXT) | instid1(VALU_DEP_1)
	v_add_co_u32 v42, s0, v6, v38
	v_add_co_ci_u32_e64 v43, s0, v23, v39, s0
	s_clause 0x1
	global_load_u16 v40, v[40:41], off
	global_load_u16 v41, v[42:43], off
	v_add_co_u32 v36, s1, v20, v36
	v_cmp_eq_u32_e64 s0, 0, v35
	v_add_co_ci_u32_e64 v37, s1, v21, v37, s1
	v_add_co_u32 v38, s1, v20, v38
	s_delay_alu instid0(VALU_DEP_1) | instskip(NEXT) | instid1(VALU_DEP_4)
	v_add_co_ci_u32_e64 v39, s1, v21, v39, s1
	s_or_b32 s47, s0, s47
	s_waitcnt vmcnt(1)
	global_store_b16 v[36:37], v40, off
	s_waitcnt vmcnt(0)
	global_store_b16 v[38:39], v41, off
	s_and_not1_b32 exec_lo, exec_lo, s47
	s_cbranch_execnz .LBB9_38
; %bb.39:                               ;   in Loop: Header=BB9_9 Depth=1
	s_set_inst_prefetch_distance 0x2
	s_or_b32 exec_lo, exec_lo, s47
	v_cmp_ne_u32_e64 s0, v22, v34
	v_lshl_add_u32 v17, v34, 5, v17
	s_delay_alu instid0(VALU_DEP_2)
	s_or_not1_b32 s1, s0, exec_lo
.LBB9_40:                               ;   in Loop: Header=BB9_9 Depth=1
	s_or_b32 exec_lo, exec_lo, s46
	s_delay_alu instid0(SALU_CYCLE_1)
	s_and_b32 exec_lo, exec_lo, s1
	s_cbranch_execz .LBB9_43
; %bb.41:                               ;   in Loop: Header=BB9_9 Depth=1
	v_ashrrev_i32_e32 v18, 31, v17
	s_mov_b32 s46, 0
	s_delay_alu instid0(VALU_DEP_1) | instskip(NEXT) | instid1(VALU_DEP_1)
	v_lshlrev_b64 v[18:19], 1, v[17:18]
	v_add_co_u32 v6, s0, v15, v18
	s_delay_alu instid0(VALU_DEP_1) | instskip(NEXT) | instid1(VALU_DEP_2)
	v_add_co_ci_u32_e64 v16, s0, v16, v19, s0
	v_add_co_u32 v13, s0, v6, v13
	s_delay_alu instid0(VALU_DEP_1) | instskip(NEXT) | instid1(VALU_DEP_2)
	v_add_co_ci_u32_e64 v14, s0, v16, v14, s0
	v_add_co_u32 v13, s0, s39, v13
	s_delay_alu instid0(VALU_DEP_1) | instskip(SKIP_1) | instid1(VALU_DEP_1)
	v_add_co_ci_u32_e64 v14, s0, s40, v14, s0
	v_add_co_u32 v15, s0, v11, v6
	v_add_co_ci_u32_e64 v16, s0, v12, v16, s0
	.p2align	6
.LBB9_42:                               ;   Parent Loop BB9_9 Depth=1
                                        ; =>  This Inner Loop Header: Depth=2
	global_load_u16 v6, v[13:14], off
	v_add_nc_u32_e32 v17, 32, v17
	v_add_co_u32 v13, s0, v13, 64
	s_delay_alu instid0(VALU_DEP_1) | instskip(NEXT) | instid1(VALU_DEP_3)
	v_add_co_ci_u32_e64 v14, s0, 0, v14, s0
	v_cmp_ge_i32_e64 s0, v17, v1
	s_delay_alu instid0(VALU_DEP_1) | instskip(SKIP_3) | instid1(VALU_DEP_1)
	s_or_b32 s46, s0, s46
	s_waitcnt vmcnt(0)
	global_store_b16 v[15:16], v6, off
	v_add_co_u32 v15, s1, v15, 64
	v_add_co_ci_u32_e64 v16, s1, 0, v16, s1
	s_and_not1_b32 exec_lo, exec_lo, s46
	s_cbranch_execnz .LBB9_42
.LBB9_43:                               ;   in Loop: Header=BB9_9 Depth=1
	s_or_b32 exec_lo, exec_lo, s45
                                        ; implicit-def: $vgpr13_vgpr14
.LBB9_44:                               ;   in Loop: Header=BB9_9 Depth=1
	s_and_not1_saveexec_b32 s44, s44
	s_cbranch_execz .LBB9_8
; %bb.45:                               ;   in Loop: Header=BB9_9 Depth=1
	s_and_saveexec_b32 s45, vcc_lo
	s_cbranch_execz .LBB9_7
; %bb.46:                               ;   in Loop: Header=BB9_9 Depth=1
	v_add_co_u32 v1, s0, s39, v13
	s_delay_alu instid0(VALU_DEP_1)
	v_add_co_ci_u32_e64 v6, s0, s40, v14, s0
	v_dual_mov_b32 v14, v12 :: v_dual_mov_b32 v13, v11
	v_mov_b32_e32 v15, v25
	s_mov_b32 s46, 0
	.p2align	6
.LBB9_47:                               ;   Parent Loop BB9_9 Depth=1
                                        ; =>  This Inner Loop Header: Depth=2
	v_add_co_u32 v16, s0, v1, v28
	s_delay_alu instid0(VALU_DEP_1)
	v_add_co_ci_u32_e64 v17, s0, 0, v6, s0
	v_add_co_u32 v20, s0, v13, v28
	v_add_nc_u32_e32 v15, 32, v15
	global_load_b128 v[16:19], v[16:17], off
	v_add_co_ci_u32_e64 v21, s0, 0, v14, s0
	v_add_co_u32 v13, s0, 0x200, v13
	s_delay_alu instid0(VALU_DEP_1) | instskip(SKIP_2) | instid1(VALU_DEP_1)
	v_add_co_ci_u32_e64 v14, s0, 0, v14, s0
	v_cmp_le_i32_e64 s0, s36, v15
	v_add_co_u32 v1, s1, 0x200, v1
	v_add_co_ci_u32_e64 v6, s1, 0, v6, s1
	s_delay_alu instid0(VALU_DEP_3)
	s_or_b32 s46, s0, s46
	s_waitcnt vmcnt(0)
	global_store_b128 v[20:21], v[16:19], off
	s_and_not1_b32 exec_lo, exec_lo, s46
	s_cbranch_execnz .LBB9_47
	s_branch .LBB9_7
.LBB9_48:
	s_or_b32 exec_lo, exec_lo, s34
	s_mov_b32 s0, 0
.LBB9_49:
	s_delay_alu instid0(SALU_CYCLE_1)
	s_and_not1_b32 vcc_lo, exec_lo, s0
	s_cbranch_vccnz .LBB9_91
; %bb.50:
	s_and_b32 s0, s29, 15
	s_mov_b32 s1, 0
	s_delay_alu instid0(SALU_CYCLE_1) | instskip(SKIP_3) | instid1(SALU_CYCLE_1)
	s_cmp_lg_u64 s[0:1], 0
	s_mul_i32 s1, s21, s20
	s_cselect_b32 s0, -1, 0
	s_and_b32 s16, s1, 7
	s_cmp_eq_u32 s16, 0
	s_cselect_b32 s22, -1, 0
	s_cmp_lg_u32 s16, 0
	s_cselect_b32 s16, -1, 0
	s_delay_alu instid0(SALU_CYCLE_1) | instskip(NEXT) | instid1(SALU_CYCLE_1)
	s_or_b32 s0, s0, s16
	s_and_b32 vcc_lo, exec_lo, s0
	s_mov_b32 s0, -1
	s_cbranch_vccz .LBB9_66
; %bb.51:
	s_sub_i32 s0, 0, s29
	s_mov_b32 s17, exec_lo
	s_bfe_u32 s0, s0, 0x30001
	s_delay_alu instid0(SALU_CYCLE_1) | instskip(NEXT) | instid1(SALU_CYCLE_1)
	s_min_i32 s16, s0, s1
	v_cmpx_gt_i32_e64 s16, v0
	s_cbranch_execz .LBB9_54
; %bb.52:
	v_dual_mov_b32 v2, 0 :: v_dual_lshlrev_b32 v1, 1, v0
	v_mov_b32_e32 v3, v0
	s_mov_b32 s20, 0
	s_lshl_b32 s21, s28, 1
	.p2align	6
.LBB9_53:                               ; =>This Inner Loop Header: Depth=1
	s_delay_alu instid0(VALU_DEP_2)
	v_add_co_u32 v4, vcc_lo, s29, v1
	v_add_co_ci_u32_e32 v5, vcc_lo, s30, v2, vcc_lo
	v_add_nc_u32_e32 v3, s28, v3
	global_load_u16 v6, v[4:5], off
	v_add_co_u32 v4, vcc_lo, s31, v1
	v_add_co_ci_u32_e32 v5, vcc_lo, s33, v2, vcc_lo
	v_cmp_le_i32_e32 vcc_lo, s16, v3
	v_add_co_u32 v1, s0, v1, s21
	s_delay_alu instid0(VALU_DEP_1)
	v_add_co_ci_u32_e64 v2, s0, 0, v2, s0
	s_or_b32 s20, vcc_lo, s20
	s_waitcnt vmcnt(0)
	global_store_b16 v[4:5], v6, off
	s_and_not1_b32 exec_lo, exec_lo, s20
	s_cbranch_execnz .LBB9_53
.LBB9_54:
	s_or_b32 exec_lo, exec_lo, s17
	s_sub_i32 s23, s1, s16
	s_ashr_i32 s17, s16, 31
	s_ashr_i32 s0, s23, 31
	s_mov_b32 s35, exec_lo
	s_lshr_b32 s0, s0, 29
	s_delay_alu instid0(SALU_CYCLE_1) | instskip(NEXT) | instid1(SALU_CYCLE_1)
	s_add_i32 s0, s23, s0
	s_ashr_i32 s34, s0, 3
	s_delay_alu instid0(SALU_CYCLE_1)
	v_cmpx_gt_i32_e64 s34, v0
	s_cbranch_execz .LBB9_57
; %bb.55:
	s_lshl_b64 s[20:21], s[16:17], 1
	v_lshlrev_b32_e32 v3, 4, v0
	s_add_u32 s0, s12, s14
	s_addc_u32 s36, s13, s15
	s_add_u32 s0, s8, s0
	s_addc_u32 s8, s9, s36
	v_add_co_u32 v1, s0, s0, v3
	s_delay_alu instid0(VALU_DEP_1) | instskip(SKIP_4) | instid1(VALU_DEP_1)
	v_add_co_ci_u32_e64 v2, null, s8, 0, s0
	s_lshl_b32 s8, s28, 4
	s_add_u32 s0, s4, s18
	s_addc_u32 s4, s5, s19
	v_add_co_u32 v3, s0, s0, v3
	v_add_co_ci_u32_e64 v4, null, s4, 0, s0
	v_mov_b32_e32 v5, v0
	s_mov_b32 s4, 0
	.p2align	6
.LBB9_56:                               ; =>This Inner Loop Header: Depth=1
	s_delay_alu instid0(VALU_DEP_3) | instskip(NEXT) | instid1(VALU_DEP_3)
	v_add_co_u32 v6, vcc_lo, v3, s20
	v_add_co_ci_u32_e32 v7, vcc_lo, s21, v4, vcc_lo
	v_add_co_u32 v10, vcc_lo, v1, s20
	v_add_nc_u32_e32 v5, s28, v5
	global_load_b128 v[6:9], v[6:7], off
	v_add_co_ci_u32_e32 v11, vcc_lo, s21, v2, vcc_lo
	v_add_co_u32 v1, vcc_lo, v1, s8
	v_add_co_ci_u32_e32 v2, vcc_lo, 0, v2, vcc_lo
	v_cmp_le_i32_e32 vcc_lo, s34, v5
	v_add_co_u32 v3, s0, v3, s8
	s_delay_alu instid0(VALU_DEP_1)
	v_add_co_ci_u32_e64 v4, s0, 0, v4, s0
	s_or_b32 s4, vcc_lo, s4
	s_waitcnt vmcnt(0)
	global_store_b128 v[10:11], v[6:9], off
	s_and_not1_b32 exec_lo, exec_lo, s4
	s_cbranch_execnz .LBB9_56
.LBB9_57:
	s_or_b32 exec_lo, exec_lo, s35
	v_lshl_add_u32 v1, s34, 3, v0
	s_mov_b32 s4, exec_lo
	s_delay_alu instid0(VALU_DEP_1)
	v_cmpx_gt_i32_e64 s23, v1
	s_cbranch_execz .LBB9_65
; %bb.58:
	v_cvt_f32_u32_e32 v2, s28
	s_sub_i32 s0, 0, s28
	v_add_nc_u32_e32 v4, s28, v1
	s_cmp_eq_u32 s28, 1
	s_mov_b32 s8, 0
	v_rcp_iflag_f32_e32 v2, v2
	s_delay_alu instid0(VALU_DEP_1) | instskip(SKIP_3) | instid1(VALU_DEP_1)
	v_cmp_gt_i32_e32 vcc_lo, s23, v4
	v_max_i32_e32 v5, s23, v4
	s_waitcnt_depctr 0xfff
	v_mul_f32_e32 v2, 0x4f7ffffe, v2
	v_cvt_u32_f32_e32 v2, v2
	s_delay_alu instid0(VALU_DEP_1) | instskip(SKIP_1) | instid1(VALU_DEP_1)
	v_mul_lo_u32 v3, s0, v2
	v_add_co_ci_u32_e64 v4, s0, s28, v1, vcc_lo
	v_sub_nc_u32_e32 v4, v5, v4
	s_delay_alu instid0(VALU_DEP_3) | instskip(NEXT) | instid1(VALU_DEP_1)
	v_mul_hi_u32 v3, v2, v3
	v_add_nc_u32_e32 v2, v2, v3
	s_delay_alu instid0(VALU_DEP_1) | instskip(NEXT) | instid1(VALU_DEP_1)
	v_mul_hi_u32 v2, v4, v2
	v_mul_lo_u32 v3, v2, s28
	s_delay_alu instid0(VALU_DEP_1) | instskip(SKIP_1) | instid1(VALU_DEP_2)
	v_sub_nc_u32_e32 v3, v4, v3
	v_add_nc_u32_e32 v4, 1, v2
	v_subrev_nc_u32_e32 v5, s28, v3
	v_cmp_le_u32_e64 s0, s28, v3
	s_delay_alu instid0(VALU_DEP_1) | instskip(NEXT) | instid1(VALU_DEP_3)
	v_cndmask_b32_e64 v2, v2, v4, s0
	v_cndmask_b32_e64 v3, v3, v5, s0
	s_delay_alu instid0(VALU_DEP_2) | instskip(NEXT) | instid1(VALU_DEP_2)
	v_add_nc_u32_e32 v4, 1, v2
	v_cmp_le_u32_e64 s0, s28, v3
	s_delay_alu instid0(VALU_DEP_1) | instskip(SKIP_1) | instid1(VALU_DEP_1)
	v_cndmask_b32_e64 v2, v2, v4, s0
	s_cselect_b32 s0, -1, 0
	v_add_co_ci_u32_e32 v4, vcc_lo, 1, v2, vcc_lo
	s_delay_alu instid0(VALU_DEP_1)
	v_cmp_lt_u32_e32 vcc_lo, 15, v4
	s_and_b32 s9, vcc_lo, s0
	s_mov_b32 s0, -1
	s_and_saveexec_b32 s5, s9
	s_cbranch_execz .LBB9_62
; %bb.59:
	v_dual_mov_b32 v2, v1 :: v_dual_and_b32 v5, -16, v4
	s_lshl_b64 s[20:21], s[16:17], 1
	s_delay_alu instid0(SALU_CYCLE_1) | instskip(NEXT) | instid1(VALU_DEP_1)
	s_add_u32 s9, s29, s20
	v_mov_b32_e32 v6, v5
	s_addc_u32 s18, s30, s21
	s_add_u32 s19, s31, s20
	s_addc_u32 s20, s33, s21
	.p2align	6
.LBB9_60:                               ; =>This Inner Loop Header: Depth=1
	v_ashrrev_i32_e32 v3, 31, v2
	v_add_nc_u32_e32 v6, -16, v6
	s_delay_alu instid0(VALU_DEP_2) | instskip(SKIP_1) | instid1(VALU_DEP_2)
	v_lshlrev_b64 v[15:16], 1, v[2:3]
	v_add_nc_u32_e32 v2, 16, v2
	v_add_co_u32 v11, vcc_lo, s9, v15
	s_delay_alu instid0(VALU_DEP_3)
	v_add_co_ci_u32_e32 v12, vcc_lo, s18, v16, vcc_lo
	v_cmp_eq_u32_e32 vcc_lo, 0, v6
	v_add_co_u32 v15, s0, s19, v15
	s_clause 0x1
	global_load_b128 v[7:10], v[11:12], off
	global_load_b128 v[11:14], v[11:12], off offset:16
	v_add_co_ci_u32_e64 v16, s0, s20, v16, s0
	s_or_b32 s8, vcc_lo, s8
	s_waitcnt vmcnt(1)
	global_store_b128 v[15:16], v[7:10], off
	s_waitcnt vmcnt(0)
	global_store_b128 v[15:16], v[11:14], off offset:16
	s_and_not1_b32 exec_lo, exec_lo, s8
	s_cbranch_execnz .LBB9_60
; %bb.61:
	s_or_b32 exec_lo, exec_lo, s8
	v_cmp_ne_u32_e32 vcc_lo, v4, v5
	v_add_nc_u32_e32 v1, v1, v5
	s_or_not1_b32 s0, vcc_lo, exec_lo
.LBB9_62:
	s_or_b32 exec_lo, exec_lo, s5
	s_delay_alu instid0(SALU_CYCLE_1)
	s_and_b32 exec_lo, exec_lo, s0
	s_cbranch_execz .LBB9_65
; %bb.63:
	v_ashrrev_i32_e32 v2, 31, v1
	s_lshl_b64 s[8:9], s[16:17], 1
	s_lshl_b32 s5, s28, 1
	s_delay_alu instid0(VALU_DEP_1) | instskip(NEXT) | instid1(VALU_DEP_1)
	v_lshlrev_b64 v[2:3], 1, v[1:2]
	v_add_co_u32 v2, vcc_lo, s8, v2
	s_delay_alu instid0(VALU_DEP_2)
	v_add_co_ci_u32_e32 v3, vcc_lo, s9, v3, vcc_lo
	s_mov_b32 s8, 0
	.p2align	6
.LBB9_64:                               ; =>This Inner Loop Header: Depth=1
	s_delay_alu instid0(VALU_DEP_2) | instskip(NEXT) | instid1(VALU_DEP_2)
	v_add_co_u32 v4, vcc_lo, s29, v2
	v_add_co_ci_u32_e32 v5, vcc_lo, s30, v3, vcc_lo
	v_add_nc_u32_e32 v1, s28, v1
	global_load_u16 v6, v[4:5], off
	v_add_co_u32 v4, vcc_lo, s31, v2
	v_add_co_ci_u32_e32 v5, vcc_lo, s33, v3, vcc_lo
	v_cmp_le_i32_e32 vcc_lo, s23, v1
	v_add_co_u32 v2, s0, v2, s5
	s_delay_alu instid0(VALU_DEP_1)
	v_add_co_ci_u32_e64 v3, s0, 0, v3, s0
	s_or_b32 s8, vcc_lo, s8
	s_waitcnt vmcnt(0)
	global_store_b16 v[4:5], v6, off
	s_and_not1_b32 exec_lo, exec_lo, s8
	s_cbranch_execnz .LBB9_64
.LBB9_65:
	s_or_b32 exec_lo, exec_lo, s4
	s_mov_b32 s0, 0
.LBB9_66:
	s_delay_alu instid0(SALU_CYCLE_1)
	s_and_b32 vcc_lo, exec_lo, s0
	s_cbranch_vccz .LBB9_71
; %bb.67:
	s_ashr_i32 s0, s1, 3
	s_mov_b32 s4, exec_lo
	v_cmpx_gt_i32_e64 s0, v0
	s_cbranch_execz .LBB9_70
; %bb.68:
	v_dual_mov_b32 v2, v0 :: v_dual_lshlrev_b32 v1, 4, v0
	s_mov_b32 s5, 0
	s_lshl_b32 s8, s28, 4
	.p2align	6
.LBB9_69:                               ; =>This Inner Loop Header: Depth=1
	s_delay_alu instid0(VALU_DEP_1) | instskip(NEXT) | instid1(VALU_DEP_1)
	v_add_co_u32 v3, s9, s29, v1
	v_add_co_ci_u32_e64 v4, null, s30, 0, s9
	v_add_nc_u32_e32 v2, s28, v2
	v_add_co_u32 v7, s9, s31, v1
	global_load_b128 v[3:6], v[3:4], off
	s_add_u32 s31, s31, s8
	v_cmp_le_i32_e32 vcc_lo, s0, v2
	v_add_co_ci_u32_e64 v8, null, s33, 0, s9
	s_addc_u32 s33, s33, 0
	s_add_u32 s29, s29, s8
	s_addc_u32 s30, s30, 0
	s_or_b32 s5, vcc_lo, s5
	s_waitcnt vmcnt(0)
	global_store_b128 v[7:8], v[3:6], off
	s_and_not1_b32 exec_lo, exec_lo, s5
	s_cbranch_execnz .LBB9_69
.LBB9_70:
	s_or_b32 exec_lo, exec_lo, s4
.LBB9_71:
	s_and_b32 s4, s24, 15
	s_mov_b32 s5, 0
	s_delay_alu instid0(SALU_CYCLE_1) | instskip(SKIP_2) | instid1(SALU_CYCLE_1)
	s_cmp_lg_u64 s[4:5], 0
	s_cselect_b32 s0, -1, 0
	s_xor_b32 s4, s22, -1
	s_or_b32 s0, s4, s0
	s_delay_alu instid0(SALU_CYCLE_1)
	s_and_b32 vcc_lo, exec_lo, s0
	s_mov_b32 s0, -1
	s_cbranch_vccz .LBB9_87
; %bb.72:
	s_sub_i32 s0, 0, s24
	s_mov_b32 s5, exec_lo
	s_bfe_u32 s0, s0, 0x30001
	s_delay_alu instid0(SALU_CYCLE_1) | instskip(NEXT) | instid1(SALU_CYCLE_1)
	s_min_i32 s4, s0, s1
	v_cmpx_gt_i32_e64 s4, v0
	s_cbranch_execz .LBB9_75
; %bb.73:
	v_dual_mov_b32 v2, 0 :: v_dual_lshlrev_b32 v1, 1, v0
	v_mov_b32_e32 v3, v0
	s_mov_b32 s8, 0
	s_lshl_b32 s9, s28, 1
	.p2align	6
.LBB9_74:                               ; =>This Inner Loop Header: Depth=1
	s_delay_alu instid0(VALU_DEP_2)
	v_add_co_u32 v4, vcc_lo, s24, v1
	v_add_co_ci_u32_e32 v5, vcc_lo, s25, v2, vcc_lo
	v_add_nc_u32_e32 v3, s28, v3
	global_load_u16 v6, v[4:5], off
	v_add_co_u32 v4, vcc_lo, s26, v1
	v_add_co_ci_u32_e32 v5, vcc_lo, s27, v2, vcc_lo
	v_cmp_le_i32_e32 vcc_lo, s4, v3
	v_add_co_u32 v1, s0, v1, s9
	s_delay_alu instid0(VALU_DEP_1)
	v_add_co_ci_u32_e64 v2, s0, 0, v2, s0
	s_or_b32 s8, vcc_lo, s8
	s_waitcnt vmcnt(0)
	global_store_b16 v[4:5], v6, off
	s_and_not1_b32 exec_lo, exec_lo, s8
	s_cbranch_execnz .LBB9_74
.LBB9_75:
	s_or_b32 exec_lo, exec_lo, s5
	s_sub_i32 s16, s1, s4
	s_ashr_i32 s5, s4, 31
	s_ashr_i32 s0, s16, 31
	s_mov_b32 s18, exec_lo
	s_lshr_b32 s0, s0, 29
	s_delay_alu instid0(SALU_CYCLE_1) | instskip(NEXT) | instid1(SALU_CYCLE_1)
	s_add_i32 s0, s16, s0
	s_ashr_i32 s17, s0, 3
	s_delay_alu instid0(SALU_CYCLE_1)
	v_cmpx_gt_i32_e64 s17, v0
	s_cbranch_execz .LBB9_78
; %bb.76:
	s_lshl_b64 s[8:9], s[4:5], 1
	v_lshlrev_b32_e32 v3, 4, v0
	s_add_u32 s0, s12, s14
	s_addc_u32 s12, s13, s15
	s_add_u32 s0, s10, s0
	s_addc_u32 s10, s11, s12
	v_add_co_u32 v1, s0, s0, v3
	s_delay_alu instid0(VALU_DEP_1) | instskip(SKIP_4) | instid1(VALU_DEP_1)
	v_add_co_ci_u32_e64 v2, null, s10, 0, s0
	s_lshl_b32 s10, s28, 4
	s_add_u32 s0, s6, s2
	s_addc_u32 s2, s7, s3
	v_add_co_u32 v3, s0, s0, v3
	v_add_co_ci_u32_e64 v4, null, s2, 0, s0
	v_mov_b32_e32 v5, v0
	s_mov_b32 s2, 0
	.p2align	6
.LBB9_77:                               ; =>This Inner Loop Header: Depth=1
	s_delay_alu instid0(VALU_DEP_3) | instskip(NEXT) | instid1(VALU_DEP_3)
	v_add_co_u32 v6, vcc_lo, v3, s8
	v_add_co_ci_u32_e32 v7, vcc_lo, s9, v4, vcc_lo
	v_add_co_u32 v10, vcc_lo, v1, s8
	v_add_nc_u32_e32 v5, s28, v5
	global_load_b128 v[6:9], v[6:7], off
	v_add_co_ci_u32_e32 v11, vcc_lo, s9, v2, vcc_lo
	v_add_co_u32 v1, vcc_lo, v1, s10
	v_add_co_ci_u32_e32 v2, vcc_lo, 0, v2, vcc_lo
	v_cmp_le_i32_e32 vcc_lo, s17, v5
	v_add_co_u32 v3, s0, v3, s10
	s_delay_alu instid0(VALU_DEP_1)
	v_add_co_ci_u32_e64 v4, s0, 0, v4, s0
	s_or_b32 s2, vcc_lo, s2
	s_waitcnt vmcnt(0)
	global_store_b128 v[10:11], v[6:9], off
	s_and_not1_b32 exec_lo, exec_lo, s2
	s_cbranch_execnz .LBB9_77
.LBB9_78:
	s_or_b32 exec_lo, exec_lo, s18
	v_lshl_add_u32 v1, s17, 3, v0
	s_mov_b32 s2, exec_lo
	s_delay_alu instid0(VALU_DEP_1)
	v_cmpx_gt_i32_e64 s16, v1
	s_cbranch_execz .LBB9_86
; %bb.79:
	v_cvt_f32_u32_e32 v2, s28
	s_sub_i32 s0, 0, s28
	v_add_nc_u32_e32 v4, s28, v1
	s_cmp_eq_u32 s28, 1
	s_mov_b32 s6, 0
	v_rcp_iflag_f32_e32 v2, v2
	s_delay_alu instid0(VALU_DEP_1) | instskip(SKIP_3) | instid1(VALU_DEP_1)
	v_cmp_gt_i32_e32 vcc_lo, s16, v4
	v_max_i32_e32 v5, s16, v4
	s_waitcnt_depctr 0xfff
	v_mul_f32_e32 v2, 0x4f7ffffe, v2
	v_cvt_u32_f32_e32 v2, v2
	s_delay_alu instid0(VALU_DEP_1) | instskip(SKIP_1) | instid1(VALU_DEP_1)
	v_mul_lo_u32 v3, s0, v2
	v_add_co_ci_u32_e64 v4, s0, s28, v1, vcc_lo
	v_sub_nc_u32_e32 v4, v5, v4
	s_delay_alu instid0(VALU_DEP_3) | instskip(NEXT) | instid1(VALU_DEP_1)
	v_mul_hi_u32 v3, v2, v3
	v_add_nc_u32_e32 v2, v2, v3
	s_delay_alu instid0(VALU_DEP_1) | instskip(NEXT) | instid1(VALU_DEP_1)
	v_mul_hi_u32 v2, v4, v2
	v_mul_lo_u32 v3, v2, s28
	s_delay_alu instid0(VALU_DEP_1) | instskip(SKIP_1) | instid1(VALU_DEP_2)
	v_sub_nc_u32_e32 v3, v4, v3
	v_add_nc_u32_e32 v4, 1, v2
	v_subrev_nc_u32_e32 v5, s28, v3
	v_cmp_le_u32_e64 s0, s28, v3
	s_delay_alu instid0(VALU_DEP_1) | instskip(NEXT) | instid1(VALU_DEP_3)
	v_cndmask_b32_e64 v2, v2, v4, s0
	v_cndmask_b32_e64 v3, v3, v5, s0
	s_delay_alu instid0(VALU_DEP_2) | instskip(NEXT) | instid1(VALU_DEP_2)
	v_add_nc_u32_e32 v4, 1, v2
	v_cmp_le_u32_e64 s0, s28, v3
	s_delay_alu instid0(VALU_DEP_1) | instskip(SKIP_1) | instid1(VALU_DEP_1)
	v_cndmask_b32_e64 v2, v2, v4, s0
	s_cselect_b32 s0, -1, 0
	v_add_co_ci_u32_e32 v4, vcc_lo, 1, v2, vcc_lo
	s_delay_alu instid0(VALU_DEP_1)
	v_cmp_lt_u32_e32 vcc_lo, 15, v4
	s_and_b32 s7, vcc_lo, s0
	s_mov_b32 s0, -1
	s_and_saveexec_b32 s3, s7
	s_cbranch_execz .LBB9_83
; %bb.80:
	v_dual_mov_b32 v2, v1 :: v_dual_and_b32 v5, -16, v4
	s_lshl_b64 s[10:11], s[4:5], 1
	s_delay_alu instid0(SALU_CYCLE_1) | instskip(NEXT) | instid1(VALU_DEP_1)
	s_add_u32 s7, s24, s10
	v_mov_b32_e32 v6, v5
	s_addc_u32 s8, s25, s11
	s_add_u32 s9, s26, s10
	s_addc_u32 s10, s27, s11
	.p2align	6
.LBB9_81:                               ; =>This Inner Loop Header: Depth=1
	v_ashrrev_i32_e32 v3, 31, v2
	v_add_nc_u32_e32 v6, -16, v6
	s_delay_alu instid0(VALU_DEP_2) | instskip(SKIP_1) | instid1(VALU_DEP_2)
	v_lshlrev_b64 v[15:16], 1, v[2:3]
	v_add_nc_u32_e32 v2, 16, v2
	v_add_co_u32 v11, vcc_lo, s7, v15
	s_delay_alu instid0(VALU_DEP_3)
	v_add_co_ci_u32_e32 v12, vcc_lo, s8, v16, vcc_lo
	v_cmp_eq_u32_e32 vcc_lo, 0, v6
	v_add_co_u32 v15, s0, s9, v15
	s_clause 0x1
	global_load_b128 v[7:10], v[11:12], off
	global_load_b128 v[11:14], v[11:12], off offset:16
	v_add_co_ci_u32_e64 v16, s0, s10, v16, s0
	s_or_b32 s6, vcc_lo, s6
	s_waitcnt vmcnt(1)
	global_store_b128 v[15:16], v[7:10], off
	s_waitcnt vmcnt(0)
	global_store_b128 v[15:16], v[11:14], off offset:16
	s_and_not1_b32 exec_lo, exec_lo, s6
	s_cbranch_execnz .LBB9_81
; %bb.82:
	s_or_b32 exec_lo, exec_lo, s6
	v_cmp_ne_u32_e32 vcc_lo, v4, v5
	v_add_nc_u32_e32 v1, v1, v5
	s_or_not1_b32 s0, vcc_lo, exec_lo
.LBB9_83:
	s_or_b32 exec_lo, exec_lo, s3
	s_delay_alu instid0(SALU_CYCLE_1)
	s_and_b32 exec_lo, exec_lo, s0
	s_cbranch_execz .LBB9_86
; %bb.84:
	v_ashrrev_i32_e32 v2, 31, v1
	s_lshl_b64 s[4:5], s[4:5], 1
	s_lshl_b32 s3, s28, 1
	s_delay_alu instid0(VALU_DEP_1) | instskip(NEXT) | instid1(VALU_DEP_1)
	v_lshlrev_b64 v[2:3], 1, v[1:2]
	v_add_co_u32 v2, vcc_lo, s4, v2
	s_delay_alu instid0(VALU_DEP_2)
	v_add_co_ci_u32_e32 v3, vcc_lo, s5, v3, vcc_lo
	s_mov_b32 s4, 0
	.p2align	6
.LBB9_85:                               ; =>This Inner Loop Header: Depth=1
	s_delay_alu instid0(VALU_DEP_2) | instskip(NEXT) | instid1(VALU_DEP_2)
	v_add_co_u32 v4, vcc_lo, s24, v2
	v_add_co_ci_u32_e32 v5, vcc_lo, s25, v3, vcc_lo
	v_add_nc_u32_e32 v1, s28, v1
	global_load_u16 v6, v[4:5], off
	v_add_co_u32 v4, vcc_lo, s26, v2
	v_add_co_ci_u32_e32 v5, vcc_lo, s27, v3, vcc_lo
	v_cmp_le_i32_e32 vcc_lo, s16, v1
	v_add_co_u32 v2, s0, v2, s3
	s_delay_alu instid0(VALU_DEP_1)
	v_add_co_ci_u32_e64 v3, s0, 0, v3, s0
	s_or_b32 s4, vcc_lo, s4
	s_waitcnt vmcnt(0)
	global_store_b16 v[4:5], v6, off
	s_and_not1_b32 exec_lo, exec_lo, s4
	s_cbranch_execnz .LBB9_85
.LBB9_86:
	s_or_b32 exec_lo, exec_lo, s2
	s_mov_b32 s0, 0
.LBB9_87:
	s_delay_alu instid0(SALU_CYCLE_1)
	s_and_b32 vcc_lo, exec_lo, s0
	s_cbranch_vccz .LBB9_91
; %bb.88:
	s_ashr_i32 s0, s1, 3
	s_mov_b32 s1, exec_lo
	v_cmpx_gt_i32_e64 s0, v0
	s_cbranch_execz .LBB9_91
; %bb.89:
	v_lshlrev_b32_e32 v1, 4, v0
	s_mov_b32 s1, 0
	s_lshl_b32 s2, s28, 4
	.p2align	6
.LBB9_90:                               ; =>This Inner Loop Header: Depth=1
	s_delay_alu instid0(VALU_DEP_1) | instskip(NEXT) | instid1(VALU_DEP_1)
	v_add_co_u32 v2, s3, s24, v1
	v_add_co_ci_u32_e64 v3, null, s25, 0, s3
	v_add_nc_u32_e32 v0, s28, v0
	v_add_co_u32 v6, s3, s26, v1
	global_load_b128 v[2:5], v[2:3], off
	s_add_u32 s26, s26, s2
	v_cmp_le_i32_e32 vcc_lo, s0, v0
	v_add_co_ci_u32_e64 v7, null, s27, 0, s3
	s_addc_u32 s27, s27, 0
	s_add_u32 s24, s24, s2
	s_addc_u32 s25, s25, 0
	s_or_b32 s1, vcc_lo, s1
	s_waitcnt vmcnt(0)
	global_store_b128 v[6:7], v[2:5], off
	s_and_not1_b32 exec_lo, exec_lo, s1
	s_cbranch_execnz .LBB9_90
.LBB9_91:
	s_nop 0
	s_sendmsg sendmsg(MSG_DEALLOC_VGPRS)
	s_endpgm
.LBB9_92:
                                        ; implicit-def: $sgpr26_sgpr27
	s_branch .LBB9_3
	.section	.rodata,"a",@progbits
	.p2align	6, 0x0
	.amdhsa_kernel _ZN4vllm30reshape_and_cache_flash_kernelI14__hip_bfloat16S1_LNS_18Fp8KVCacheDataTypeE0EEEvPKT_S5_PT0_S7_PKlllllliiiPKfSB_i
		.amdhsa_group_segment_fixed_size 0
		.amdhsa_private_segment_fixed_size 0
		.amdhsa_kernarg_size 376
		.amdhsa_user_sgpr_count 15
		.amdhsa_user_sgpr_dispatch_ptr 0
		.amdhsa_user_sgpr_queue_ptr 0
		.amdhsa_user_sgpr_kernarg_segment_ptr 1
		.amdhsa_user_sgpr_dispatch_id 0
		.amdhsa_user_sgpr_private_segment_size 0
		.amdhsa_wavefront_size32 1
		.amdhsa_uses_dynamic_stack 0
		.amdhsa_enable_private_segment 0
		.amdhsa_system_sgpr_workgroup_id_x 1
		.amdhsa_system_sgpr_workgroup_id_y 0
		.amdhsa_system_sgpr_workgroup_id_z 0
		.amdhsa_system_sgpr_workgroup_info 0
		.amdhsa_system_vgpr_workitem_id 0
		.amdhsa_next_free_vgpr 48
		.amdhsa_next_free_sgpr 48
		.amdhsa_reserve_vcc 1
		.amdhsa_float_round_mode_32 0
		.amdhsa_float_round_mode_16_64 0
		.amdhsa_float_denorm_mode_32 3
		.amdhsa_float_denorm_mode_16_64 3
		.amdhsa_dx10_clamp 1
		.amdhsa_ieee_mode 1
		.amdhsa_fp16_overflow 0
		.amdhsa_workgroup_processor_mode 1
		.amdhsa_memory_ordered 1
		.amdhsa_forward_progress 0
		.amdhsa_shared_vgpr_count 0
		.amdhsa_exception_fp_ieee_invalid_op 0
		.amdhsa_exception_fp_denorm_src 0
		.amdhsa_exception_fp_ieee_div_zero 0
		.amdhsa_exception_fp_ieee_overflow 0
		.amdhsa_exception_fp_ieee_underflow 0
		.amdhsa_exception_fp_ieee_inexact 0
		.amdhsa_exception_int_div_zero 0
	.end_amdhsa_kernel
	.section	.text._ZN4vllm30reshape_and_cache_flash_kernelI14__hip_bfloat16S1_LNS_18Fp8KVCacheDataTypeE0EEEvPKT_S5_PT0_S7_PKlllllliiiPKfSB_i,"axG",@progbits,_ZN4vllm30reshape_and_cache_flash_kernelI14__hip_bfloat16S1_LNS_18Fp8KVCacheDataTypeE0EEEvPKT_S5_PT0_S7_PKlllllliiiPKfSB_i,comdat
.Lfunc_end9:
	.size	_ZN4vllm30reshape_and_cache_flash_kernelI14__hip_bfloat16S1_LNS_18Fp8KVCacheDataTypeE0EEEvPKT_S5_PT0_S7_PKlllllliiiPKfSB_i, .Lfunc_end9-_ZN4vllm30reshape_and_cache_flash_kernelI14__hip_bfloat16S1_LNS_18Fp8KVCacheDataTypeE0EEEvPKT_S5_PT0_S7_PKlllllliiiPKfSB_i
                                        ; -- End function
	.section	.AMDGPU.csdata,"",@progbits
; Kernel info:
; codeLenInByte = 6284
; NumSgprs: 50
; NumVgprs: 48
; ScratchSize: 0
; MemoryBound: 0
; FloatMode: 240
; IeeeMode: 1
; LDSByteSize: 0 bytes/workgroup (compile time only)
; SGPRBlocks: 6
; VGPRBlocks: 5
; NumSGPRsForWavesPerEU: 50
; NumVGPRsForWavesPerEU: 48
; Occupancy: 16
; WaveLimiterHint : 1
; COMPUTE_PGM_RSRC2:SCRATCH_EN: 0
; COMPUTE_PGM_RSRC2:USER_SGPR: 15
; COMPUTE_PGM_RSRC2:TRAP_HANDLER: 0
; COMPUTE_PGM_RSRC2:TGID_X_EN: 1
; COMPUTE_PGM_RSRC2:TGID_Y_EN: 0
; COMPUTE_PGM_RSRC2:TGID_Z_EN: 0
; COMPUTE_PGM_RSRC2:TIDIG_COMP_CNT: 0
	.section	.text._ZN4vllm30reshape_and_cache_flash_kernelIfhLNS_18Fp8KVCacheDataTypeE1EEEvPKT_S4_PT0_S6_PKlllllliiiPKfSA_i,"axG",@progbits,_ZN4vllm30reshape_and_cache_flash_kernelIfhLNS_18Fp8KVCacheDataTypeE1EEEvPKT_S4_PT0_S6_PKlllllliiiPKfSA_i,comdat
	.protected	_ZN4vllm30reshape_and_cache_flash_kernelIfhLNS_18Fp8KVCacheDataTypeE1EEEvPKT_S4_PT0_S6_PKlllllliiiPKfSA_i ; -- Begin function _ZN4vllm30reshape_and_cache_flash_kernelIfhLNS_18Fp8KVCacheDataTypeE1EEEvPKT_S4_PT0_S6_PKlllllliiiPKfSA_i
	.globl	_ZN4vllm30reshape_and_cache_flash_kernelIfhLNS_18Fp8KVCacheDataTypeE1EEEvPKT_S4_PT0_S6_PKlllllliiiPKfSA_i
	.p2align	8
	.type	_ZN4vllm30reshape_and_cache_flash_kernelIfhLNS_18Fp8KVCacheDataTypeE1EEEvPKT_S4_PT0_S6_PKlllllliiiPKfSA_i,@function
_ZN4vllm30reshape_and_cache_flash_kernelIfhLNS_18Fp8KVCacheDataTypeE1EEEvPKT_S4_PT0_S6_PKlllllliiiPKfSA_i: ; @_ZN4vllm30reshape_and_cache_flash_kernelIfhLNS_18Fp8KVCacheDataTypeE1EEEvPKT_S4_PT0_S6_PKlllllliiiPKfSA_i
; %bb.0:
	s_load_b64 s[4:5], s[0:1], 0x20
	s_mov_b32 s2, s15
	s_mov_b32 s3, 0
	s_delay_alu instid0(SALU_CYCLE_1)
	s_lshl_b64 s[6:7], s[2:3], 3
	s_waitcnt lgkmcnt(0)
	s_add_u32 s4, s4, s6
	s_addc_u32 s5, s5, s7
	s_load_b64 s[28:29], s[4:5], 0x0
	s_waitcnt lgkmcnt(0)
	v_cmp_lt_i64_e64 s4, s[28:29], 0
	s_delay_alu instid0(VALU_DEP_1)
	s_and_b32 vcc_lo, exec_lo, s4
	s_cbranch_vccnz .LBB10_664
; %bb.1:
	s_clause 0x1
	s_load_b128 s[20:23], s[0:1], 0x50
	s_load_b256 s[4:11], s[0:1], 0x0
	s_waitcnt lgkmcnt(0)
	s_ashr_i32 s23, s22, 31
	s_delay_alu instid0(SALU_CYCLE_1) | instskip(SKIP_1) | instid1(SALU_CYCLE_1)
	s_or_b64 s[12:13], s[28:29], s[22:23]
	s_mov_b32 s12, s3
	s_cmp_lg_u64 s[12:13], 0
	s_cbranch_scc0 .LBB10_358
; %bb.2:
	s_add_u32 s14, s22, s23
	s_mov_b32 s12, s23
	s_mov_b32 s13, s23
	s_addc_u32 s15, s23, s23
	s_delay_alu instid0(SALU_CYCLE_1) | instskip(NEXT) | instid1(SALU_CYCLE_1)
	s_xor_b64 s[14:15], s[14:15], s[12:13]
	v_cvt_f32_u32_e32 v1, s14
	v_cvt_f32_u32_e32 v2, s15
	s_sub_u32 s17, 0, s14
	s_subb_u32 s18, 0, s15
	s_delay_alu instid0(VALU_DEP_1) | instskip(NEXT) | instid1(VALU_DEP_1)
	v_fmamk_f32 v1, v2, 0x4f800000, v1
	v_rcp_f32_e32 v1, v1
	s_waitcnt_depctr 0xfff
	v_mul_f32_e32 v1, 0x5f7ffffc, v1
	s_delay_alu instid0(VALU_DEP_1) | instskip(NEXT) | instid1(VALU_DEP_1)
	v_mul_f32_e32 v2, 0x2f800000, v1
	v_trunc_f32_e32 v2, v2
	s_delay_alu instid0(VALU_DEP_1) | instskip(SKIP_1) | instid1(VALU_DEP_2)
	v_fmamk_f32 v1, v2, 0xcf800000, v1
	v_cvt_u32_f32_e32 v2, v2
	v_cvt_u32_f32_e32 v1, v1
	s_delay_alu instid0(VALU_DEP_2) | instskip(NEXT) | instid1(VALU_DEP_2)
	v_readfirstlane_b32 s3, v2
	v_readfirstlane_b32 s16, v1
	s_delay_alu instid0(VALU_DEP_2) | instskip(NEXT) | instid1(VALU_DEP_1)
	s_mul_i32 s19, s17, s3
	s_mul_hi_u32 s25, s17, s16
	s_mul_i32 s24, s18, s16
	s_add_i32 s19, s25, s19
	s_mul_i32 s26, s17, s16
	s_add_i32 s19, s19, s24
	s_mul_hi_u32 s25, s16, s26
	s_mul_hi_u32 s27, s3, s26
	s_mul_i32 s24, s3, s26
	s_mul_hi_u32 s26, s16, s19
	s_mul_i32 s16, s16, s19
	s_mul_hi_u32 s30, s3, s19
	s_add_u32 s16, s25, s16
	s_addc_u32 s25, 0, s26
	s_add_u32 s16, s16, s24
	s_mul_i32 s19, s3, s19
	s_addc_u32 s16, s25, s27
	s_addc_u32 s24, s30, 0
	s_add_u32 s16, s16, s19
	s_addc_u32 s19, 0, s24
	v_add_co_u32 v1, s16, v1, s16
	s_delay_alu instid0(VALU_DEP_1) | instskip(SKIP_1) | instid1(VALU_DEP_1)
	s_cmp_lg_u32 s16, 0
	s_addc_u32 s3, s3, s19
	v_readfirstlane_b32 s16, v1
	s_mul_i32 s19, s17, s3
	s_delay_alu instid0(VALU_DEP_1)
	s_mul_hi_u32 s24, s17, s16
	s_mul_i32 s18, s18, s16
	s_add_i32 s19, s24, s19
	s_mul_i32 s17, s17, s16
	s_add_i32 s19, s19, s18
	s_mul_hi_u32 s24, s3, s17
	s_mul_i32 s25, s3, s17
	s_mul_hi_u32 s17, s16, s17
	s_mul_hi_u32 s26, s16, s19
	s_mul_i32 s16, s16, s19
	s_mul_hi_u32 s18, s3, s19
	s_add_u32 s16, s17, s16
	s_addc_u32 s17, 0, s26
	s_add_u32 s16, s16, s25
	s_mul_i32 s19, s3, s19
	s_addc_u32 s16, s17, s24
	s_addc_u32 s17, s18, 0
	s_add_u32 s16, s16, s19
	s_addc_u32 s17, 0, s17
	v_add_co_u32 v1, s16, v1, s16
	s_delay_alu instid0(VALU_DEP_1) | instskip(SKIP_2) | instid1(VALU_DEP_1)
	s_cmp_lg_u32 s16, 0
	s_addc_u32 s3, s3, s17
	s_ashr_i32 s16, s29, 31
	v_readfirstlane_b32 s24, v1
	s_add_u32 s18, s28, s16
	s_mov_b32 s17, s16
	s_addc_u32 s19, s29, s16
	s_delay_alu instid0(SALU_CYCLE_1) | instskip(NEXT) | instid1(SALU_CYCLE_1)
	s_xor_b64 s[18:19], s[18:19], s[16:17]
	s_mul_i32 s26, s18, s3
	s_mul_hi_u32 s27, s18, s24
	s_mul_hi_u32 s25, s18, s3
	;; [unrolled: 1-line block ×3, first 2 shown]
	s_mul_i32 s24, s19, s24
	s_add_u32 s26, s27, s26
	s_addc_u32 s25, 0, s25
	s_mul_hi_u32 s30, s19, s3
	s_add_u32 s24, s26, s24
	s_mul_i32 s3, s19, s3
	s_addc_u32 s24, s25, s31
	s_addc_u32 s25, s30, 0
	s_add_u32 s3, s24, s3
	s_addc_u32 s24, 0, s25
	s_mul_i32 s30, s14, s3
	s_mul_hi_u32 s25, s14, s3
	s_mul_i32 s27, s14, s24
	v_sub_co_u32 v1, s18, s18, s30
	s_mul_i32 s26, s15, s3
	s_add_i32 s25, s25, s27
	s_delay_alu instid0(SALU_CYCLE_1) | instskip(NEXT) | instid1(VALU_DEP_1)
	s_add_i32 s25, s25, s26
	v_sub_co_u32 v2, s27, v1, s14
	s_sub_i32 s26, s19, s25
	s_cmp_lg_u32 s18, 0
	s_subb_u32 s26, s26, s15
	s_cmp_lg_u32 s27, 0
	v_readfirstlane_b32 s27, v2
	s_subb_u32 s26, s26, 0
	s_delay_alu instid0(SALU_CYCLE_1) | instskip(SKIP_1) | instid1(VALU_DEP_1)
	s_cmp_ge_u32 s26, s15
	s_cselect_b32 s30, -1, 0
	s_cmp_ge_u32 s27, s14
	s_cselect_b32 s27, -1, 0
	s_cmp_eq_u32 s26, s15
	s_cselect_b32 s26, s27, s30
	s_add_u32 s27, s3, 1
	s_addc_u32 s30, s24, 0
	s_add_u32 s31, s3, 2
	s_addc_u32 s33, s24, 0
	s_cmp_lg_u32 s26, 0
	s_cselect_b32 s26, s31, s27
	s_cselect_b32 s27, s33, s30
	s_cmp_lg_u32 s18, 0
	v_readfirstlane_b32 s18, v1
	s_subb_u32 s19, s19, s25
	s_delay_alu instid0(SALU_CYCLE_1) | instskip(SKIP_1) | instid1(VALU_DEP_1)
	s_cmp_ge_u32 s19, s15
	s_cselect_b32 s25, -1, 0
	s_cmp_ge_u32 s18, s14
	s_cselect_b32 s14, -1, 0
	s_cmp_eq_u32 s19, s15
	s_cselect_b32 s14, s14, s25
	s_delay_alu instid0(SALU_CYCLE_1) | instskip(SKIP_3) | instid1(SALU_CYCLE_1)
	s_cmp_lg_u32 s14, 0
	s_cselect_b32 s15, s27, s24
	s_cselect_b32 s14, s26, s3
	s_xor_b64 s[12:13], s[16:17], s[12:13]
	s_xor_b64 s[14:15], s[14:15], s[12:13]
	s_delay_alu instid0(SALU_CYCLE_1)
	s_sub_u32 s30, s14, s12
	s_subb_u32 s31, s15, s13
	s_cbranch_execnz .LBB10_4
.LBB10_3:
	v_cvt_f32_u32_e32 v1, s22
	s_sub_i32 s12, 0, s22
	s_mov_b32 s31, 0
	s_delay_alu instid0(VALU_DEP_1) | instskip(SKIP_2) | instid1(VALU_DEP_1)
	v_rcp_iflag_f32_e32 v1, v1
	s_waitcnt_depctr 0xfff
	v_mul_f32_e32 v1, 0x4f7ffffe, v1
	v_cvt_u32_f32_e32 v1, v1
	s_delay_alu instid0(VALU_DEP_1) | instskip(NEXT) | instid1(VALU_DEP_1)
	v_readfirstlane_b32 s3, v1
	s_mul_i32 s12, s12, s3
	s_delay_alu instid0(SALU_CYCLE_1) | instskip(NEXT) | instid1(SALU_CYCLE_1)
	s_mul_hi_u32 s12, s3, s12
	s_add_i32 s3, s3, s12
	s_delay_alu instid0(SALU_CYCLE_1) | instskip(NEXT) | instid1(SALU_CYCLE_1)
	s_mul_hi_u32 s3, s28, s3
	s_mul_i32 s12, s3, s22
	s_add_i32 s13, s3, 1
	s_sub_i32 s12, s28, s12
	s_delay_alu instid0(SALU_CYCLE_1)
	s_sub_i32 s14, s12, s22
	s_cmp_ge_u32 s12, s22
	s_cselect_b32 s3, s13, s3
	s_cselect_b32 s12, s14, s12
	s_add_i32 s13, s3, 1
	s_cmp_ge_u32 s12, s22
	s_cselect_b32 s30, s13, s3
.LBB10_4:
	s_clause 0x3
	s_load_b256 s[12:19], s[0:1], 0x28
	s_load_b64 s[36:37], s[0:1], 0x48
	s_load_b128 s[24:27], s[0:1], 0x60
	s_load_b32 s35, s[0:1], 0x70
	s_mul_i32 s3, s30, s23
	s_mul_hi_u32 s23, s30, s22
	s_mul_i32 s33, s31, s22
	s_add_i32 s3, s23, s3
	s_mul_i32 s22, s30, s22
	s_add_i32 s3, s3, s33
	s_sub_u32 s23, s28, s22
	s_subb_u32 s28, s29, s3
	s_waitcnt lgkmcnt(0)
	s_mul_i32 s3, s2, s19
	s_mul_hi_u32 s19, s2, s18
	s_mul_i32 s18, s2, s18
	s_add_i32 s19, s19, s3
	s_mul_i32 s22, s2, s37
	s_lshl_b64 s[18:19], s[18:19], 2
	s_mul_hi_u32 s29, s2, s36
	s_add_u32 s34, s4, s18
	s_mul_i32 s2, s2, s36
	s_addc_u32 s36, s5, s19
	s_add_i32 s3, s29, s22
	s_mul_i32 s33, s30, s13
	s_mul_hi_u32 s38, s30, s12
	s_mul_i32 s31, s31, s12
	s_mul_i32 s22, s30, s12
	s_lshl_b64 s[12:13], s[2:3], 2
	s_mul_i32 s2, s23, s15
	s_add_u32 s30, s6, s12
	s_addc_u32 s37, s7, s13
	s_add_i32 s3, s38, s33
	s_mul_hi_u32 s29, s23, s14
	s_add_i32 s15, s3, s31
	s_add_u32 s3, s8, s22
	s_addc_u32 s33, s9, s15
	s_add_i32 s2, s29, s2
	s_mul_i32 s28, s28, s14
	s_mul_i32 s14, s23, s14
	s_add_i32 s23, s2, s28
	s_add_u32 s31, s3, s14
	s_addc_u32 s33, s33, s23
	s_add_u32 s2, s10, s22
	s_addc_u32 s3, s11, s15
	;; [unrolled: 2-line block ×3, first 2 shown]
	s_ashr_i32 s3, s21, 31
	s_mov_b32 s2, s21
	s_delay_alu instid0(SALU_CYCLE_1) | instskip(SKIP_3) | instid1(SALU_CYCLE_1)
	s_cmp_lg_u64 s[2:3], s[16:17]
	s_cselect_b32 s2, -1, 0
	s_cmp_lg_u32 s35, 0
	s_cselect_b32 s3, -1, 0
	s_or_b32 s2, s2, s3
	s_delay_alu instid0(SALU_CYCLE_1)
	s_and_b32 vcc_lo, exec_lo, s2
	s_mov_b32 s2, -1
	s_cbranch_vccz .LBB10_335
; %bb.5:
	v_lshrrev_b32_e32 v31, 5, v0
	s_mov_b32 s38, exec_lo
	s_delay_alu instid0(VALU_DEP_1)
	v_cmpx_gt_i32_e64 s20, v31
	s_cbranch_execz .LBB10_334
; %bb.6:
	s_load_b32 s2, s[0:1], 0x84
	s_and_b32 s3, s21, 3
	v_and_b32_e32 v32, 31, v0
	v_mov_b32_e32 v6, 0
	v_mul_lo_u32 v7, s21, v31
	s_mov_b32 s39, 0
	s_delay_alu instid0(VALU_DEP_3)
	v_lshlrev_b32_e32 v5, 2, v32
	v_lshlrev_b32_e32 v8, 4, v32
	;; [unrolled: 1-line block ×3, first 2 shown]
	s_waitcnt lgkmcnt(0)
	s_bfe_u32 s40, s2, 0xb0005
	s_cmp_eq_u32 s3, 0
	s_mul_hi_u32 s42, s16, s40
	s_cselect_b32 s49, -1, 0
	s_ashr_i32 s41, s21, 2
	s_add_u32 s2, s14, s22
	s_addc_u32 s3, s23, s15
	s_mul_i32 s47, s16, s40
	v_mad_u64_u32 v[1:2], null, s16, v31, s[2:3]
	s_mul_i32 s3, s17, s40
	v_cmp_gt_i32_e64 s2, s41, v32
	s_add_i32 s42, s42, s3
	s_add_u32 s43, s4, s18
	s_addc_u32 s44, s5, s19
	v_add_co_u32 v33, s3, s43, v8
	s_delay_alu instid0(VALU_DEP_3) | instskip(SKIP_1) | instid1(VALU_DEP_3)
	v_mad_u64_u32 v[3:4], null, s17, v31, v[2:3]
	v_add_co_ci_u32_e64 v34, null, s44, 0, s3
	v_add_co_u32 v37, vcc_lo, v33, 8
	s_add_u32 s45, s6, s12
	s_delay_alu instid0(VALU_DEP_2) | instskip(NEXT) | instid1(VALU_DEP_4)
	v_add_co_ci_u32_e32 v38, vcc_lo, 0, v34, vcc_lo
	v_mov_b32_e32 v2, v3
	v_add_co_u32 v3, vcc_lo, v1, v5
	s_addc_u32 s46, s7, s13
	v_add_co_u32 v35, s3, s45, v8
	s_delay_alu instid0(VALU_DEP_3) | instskip(SKIP_3) | instid1(VALU_DEP_4)
	v_add_co_ci_u32_e32 v4, vcc_lo, 0, v2, vcc_lo
	v_add_co_u32 v39, vcc_lo, s8, v1
	v_add_co_ci_u32_e32 v40, vcc_lo, s9, v2, vcc_lo
	v_add_co_u32 v9, vcc_lo, s8, v3
	v_add_co_ci_u32_e32 v10, vcc_lo, s9, v4, vcc_lo
	v_add_co_u32 v11, vcc_lo, s10, v3
	v_add_co_ci_u32_e32 v12, vcc_lo, s11, v4, vcc_lo
	v_add_co_ci_u32_e64 v36, null, s46, 0, s3
	v_add_co_u32 v41, vcc_lo, s10, v1
	v_add_co_ci_u32_e32 v42, vcc_lo, s11, v2, vcc_lo
	v_add_co_u32 v43, vcc_lo, v35, 8
	s_delay_alu instid0(VALU_DEP_4)
	v_add_co_ci_u32_e32 v44, vcc_lo, 0, v36, vcc_lo
	s_mul_i32 s48, s21, s40
	s_xor_b32 s49, s49, -1
	s_branch .LBB10_9
.LBB10_7:                               ;   in Loop: Header=BB10_9 Depth=1
	s_or_b32 exec_lo, exec_lo, s51
.LBB10_8:                               ;   in Loop: Header=BB10_9 Depth=1
	s_delay_alu instid0(SALU_CYCLE_1)
	s_or_b32 exec_lo, exec_lo, s50
	v_add_co_u32 v9, vcc_lo, v9, s47
	v_add_co_ci_u32_e32 v10, vcc_lo, s42, v10, vcc_lo
	v_add_co_u32 v39, vcc_lo, v39, s47
	v_add_nc_u32_e32 v31, s40, v31
	v_add_co_ci_u32_e32 v40, vcc_lo, s42, v40, vcc_lo
	v_add_co_u32 v11, vcc_lo, v11, s47
	v_add_co_ci_u32_e32 v12, vcc_lo, s42, v12, vcc_lo
	s_delay_alu instid0(VALU_DEP_4) | instskip(SKIP_4) | instid1(SALU_CYCLE_1)
	v_cmp_le_i32_e32 vcc_lo, s20, v31
	v_add_co_u32 v41, s3, v41, s47
	v_add_nc_u32_e32 v7, s48, v7
	v_add_co_ci_u32_e64 v42, s3, s42, v42, s3
	s_or_b32 s39, vcc_lo, s39
	s_and_not1_b32 exec_lo, exec_lo, s39
	s_cbranch_execz .LBB10_334
.LBB10_9:                               ; =>This Loop Header: Depth=1
                                        ;     Child Loop BB10_33 Depth 2
                                        ;     Child Loop BB10_92 Depth 2
	;; [unrolled: 1-line block ×6, first 2 shown]
	v_mul_lo_u32 v1, v31, s35
	v_mad_u64_u32 v[15:16], null, v31, s16, 0
	v_ashrrev_i32_e32 v8, 31, v7
	s_delay_alu instid0(VALU_DEP_1) | instskip(NEXT) | instid1(VALU_DEP_4)
	v_lshlrev_b64 v[13:14], 2, v[7:8]
	v_ashrrev_i32_e32 v2, 31, v1
	s_delay_alu instid0(VALU_DEP_1) | instskip(NEXT) | instid1(VALU_DEP_1)
	v_lshlrev_b64 v[1:2], 2, v[1:2]
	v_add_co_u32 v3, vcc_lo, s24, v1
	s_delay_alu instid0(VALU_DEP_2)
	v_add_co_ci_u32_e32 v4, vcc_lo, s25, v2, vcc_lo
	v_add_co_u32 v1, vcc_lo, s26, v1
	v_add_co_ci_u32_e32 v2, vcc_lo, s27, v2, vcc_lo
	global_load_b32 v47, v[3:4], off
	global_load_b32 v46, v[1:2], off
	v_mul_lo_u32 v1, v31, s21
	v_mov_b32_e32 v3, v16
	s_delay_alu instid0(VALU_DEP_1) | instskip(NEXT) | instid1(VALU_DEP_3)
	v_mad_u64_u32 v[4:5], null, v31, s17, v[3:4]
	v_ashrrev_i32_e32 v2, 31, v1
	s_delay_alu instid0(VALU_DEP_1) | instskip(NEXT) | instid1(VALU_DEP_3)
	v_lshlrev_b64 v[17:18], 2, v[1:2]
	v_mov_b32_e32 v8, v4
	s_delay_alu instid0(VALU_DEP_2) | instskip(NEXT) | instid1(VALU_DEP_3)
	v_add_co_u32 v1, vcc_lo, s34, v17
	v_add_co_ci_u32_e32 v2, vcc_lo, s36, v18, vcc_lo
	s_delay_alu instid0(VALU_DEP_2) | instskip(NEXT) | instid1(VALU_DEP_1)
	v_and_b32_e32 v5, 15, v1
	v_cmp_ne_u64_e32 vcc_lo, 0, v[5:6]
	s_or_b32 s3, s49, vcc_lo
	s_delay_alu instid0(SALU_CYCLE_1) | instskip(NEXT) | instid1(SALU_CYCLE_1)
	s_and_saveexec_b32 s50, s3
	s_xor_b32 s50, exec_lo, s50
	s_cbranch_execz .LBB10_111
; %bb.10:                               ;   in Loop: Header=BB10_9 Depth=1
	v_sub_nc_u32_e32 v3, 0, v1
	s_mov_b32 s51, exec_lo
	s_delay_alu instid0(VALU_DEP_1) | instskip(NEXT) | instid1(VALU_DEP_1)
	v_bfe_u32 v3, v3, 2, 2
	v_min_i32_e32 v19, s21, v3
	s_delay_alu instid0(VALU_DEP_1)
	v_cmpx_gt_i32_e64 v19, v32
	s_cbranch_execz .LBB10_30
; %bb.11:                               ;   in Loop: Header=BB10_9 Depth=1
	v_add_co_u32 v1, vcc_lo, v1, v45
	v_add_co_ci_u32_e32 v2, vcc_lo, 0, v2, vcc_lo
	s_mov_b32 s3, exec_lo
	global_load_b32 v1, v[1:2], off
	s_waitcnt vmcnt(0)
	v_div_scale_f32 v2, null, v47, v47, v1
	s_delay_alu instid0(VALU_DEP_1) | instskip(SKIP_2) | instid1(VALU_DEP_1)
	v_rcp_f32_e32 v3, v2
	s_waitcnt_depctr 0xfff
	v_fma_f32 v4, -v2, v3, 1.0
	v_fmac_f32_e32 v3, v4, v3
	v_div_scale_f32 v4, vcc_lo, v1, v47, v1
	s_delay_alu instid0(VALU_DEP_1) | instskip(NEXT) | instid1(VALU_DEP_1)
	v_mul_f32_e32 v5, v4, v3
	v_fma_f32 v16, -v2, v5, v4
	s_delay_alu instid0(VALU_DEP_1) | instskip(NEXT) | instid1(VALU_DEP_1)
	v_fmac_f32_e32 v5, v16, v3
	v_fma_f32 v2, -v2, v5, v4
	s_delay_alu instid0(VALU_DEP_1) | instskip(NEXT) | instid1(VALU_DEP_1)
	v_div_fmas_f32 v2, v2, v3, v5
	v_div_fixup_f32 v1, v2, v47, v1
	s_delay_alu instid0(VALU_DEP_1) | instskip(SKIP_3) | instid1(VALU_DEP_3)
	v_and_b32_e32 v20, 0x7f800000, v1
	v_lshrrev_b32_e32 v3, 24, v1
	v_mov_b32_e32 v21, v6
	v_and_b32_e32 v5, 0x7fffff, v1
	v_and_b32_e32 v16, 0x80, v3
	s_delay_alu instid0(VALU_DEP_1) | instskip(NEXT) | instid1(VALU_DEP_4)
	v_or_b32_e32 v2, 0x7e, v16
	v_cmpx_ne_u64_e32 0x7f800000, v[20:21]
	s_xor_b32 s52, exec_lo, s3
	s_cbranch_execz .LBB10_27
; %bb.12:                               ;   in Loop: Header=BB10_9 Depth=1
	v_dual_mov_b32 v4, v6 :: v_dual_and_b32 v3, 0x7fffffff, v1
	s_mov_b32 s3, exec_lo
	s_delay_alu instid0(VALU_DEP_1)
	v_cmpx_gt_u64_e32 0x43e00001, v[3:4]
	s_xor_b32 s53, exec_lo, s3
	s_cbranch_execz .LBB10_26
; %bb.13:                               ;   in Loop: Header=BB10_9 Depth=1
	v_mov_b32_e32 v2, 0
	s_mov_b32 s54, exec_lo
	v_cmpx_ne_u32_e32 0, v1
	s_cbranch_execz .LBB10_25
; %bb.14:                               ;   in Loop: Header=BB10_9 Depth=1
	v_bfe_u32 v20, v1, 23, 8
	v_or_b32_e32 v3, 0x800000, v5
	s_delay_alu instid0(VALU_DEP_2) | instskip(SKIP_1) | instid1(VALU_DEP_2)
	v_sub_nc_u32_e32 v1, 0x79, v20
	v_cmp_gt_u32_e32 vcc_lo, 0x7a, v20
	v_cndmask_b32_e32 v1, 0, v1, vcc_lo
	v_cmp_eq_u32_e32 vcc_lo, 0, v20
	s_delay_alu instid0(VALU_DEP_2) | instskip(SKIP_1) | instid1(VALU_DEP_2)
	v_cndmask_b32_e64 v21, v1, 0x78, vcc_lo
	v_cndmask_b32_e32 v5, v3, v5, vcc_lo
	v_add_nc_u32_e32 v1, 20, v21
	v_add_nc_u32_e32 v3, 19, v21
	s_delay_alu instid0(VALU_DEP_2) | instskip(NEXT) | instid1(VALU_DEP_2)
	v_lshlrev_b64 v[1:2], v1, -1
	v_lshlrev_b64 v[3:4], v3, 1
	s_delay_alu instid0(VALU_DEP_2) | instskip(NEXT) | instid1(VALU_DEP_3)
	v_not_b32_e32 v2, v2
	v_not_b32_e32 v1, v1
	s_delay_alu instid0(VALU_DEP_2) | instskip(NEXT) | instid1(VALU_DEP_2)
	v_and_b32_e32 v23, 0, v2
	v_and_b32_e32 v22, v5, v1
	v_lshrrev_b64 v[1:2], v21, v[5:6]
	s_delay_alu instid0(VALU_DEP_2) | instskip(NEXT) | instid1(VALU_DEP_2)
	v_cmp_eq_u64_e64 s3, v[22:23], v[3:4]
	v_dual_mov_b32 v4, v2 :: v_dual_mov_b32 v3, v1
	s_delay_alu instid0(VALU_DEP_2)
	s_and_saveexec_b32 s55, s3
; %bb.15:                               ;   in Loop: Header=BB10_9 Depth=1
	v_bfe_u32 v3, v1, 20, 1
	s_delay_alu instid0(VALU_DEP_1) | instskip(NEXT) | instid1(VALU_DEP_1)
	v_add_co_u32 v3, s3, v1, v3
	v_add_co_u32 v3, s3, v3, -1
; %bb.16:                               ;   in Loop: Header=BB10_9 Depth=1
	s_or_b32 exec_lo, exec_lo, s55
	v_add_nc_u32_e32 v4, 0xffffff81, v20
	v_lshrrev_b32_e32 v5, 23, v1
	s_delay_alu instid0(VALU_DEP_3) | instskip(SKIP_1) | instid1(VALU_DEP_3)
	v_and_b32_e32 v3, 0xfffff, v3
	s_mov_b32 s3, exec_lo
	v_cndmask_b32_e64 v4, v4, 0xffffff82, vcc_lo
	s_delay_alu instid0(VALU_DEP_2) | instskip(SKIP_1) | instid1(VALU_DEP_3)
	v_add_co_u32 v1, vcc_lo, v3, v1
	v_add_co_ci_u32_e32 v2, vcc_lo, 0, v2, vcc_lo
	v_add3_u32 v4, v21, v4, v5
                                        ; implicit-def: $vgpr3
	s_delay_alu instid0(VALU_DEP_1) | instskip(NEXT) | instid1(VALU_DEP_1)
	v_add_nc_u32_e32 v5, 6, v4
	v_cmpx_ne_u32_e32 0, v5
	s_xor_b32 s3, exec_lo, s3
; %bb.17:                               ;   in Loop: Header=BB10_9 Depth=1
	v_cmp_lt_u64_e32 vcc_lo, 0xffffff, v[1:2]
	v_add_nc_u32_e32 v3, 7, v4
	v_cndmask_b32_e64 v4, 0, 1, vcc_lo
	s_delay_alu instid0(VALU_DEP_2) | instskip(NEXT) | instid1(VALU_DEP_2)
	v_cndmask_b32_e32 v3, v5, v3, vcc_lo
	v_lshrrev_b64 v[1:2], v4, v[1:2]
; %bb.18:                               ;   in Loop: Header=BB10_9 Depth=1
	s_and_not1_saveexec_b32 s3, s3
; %bb.19:                               ;   in Loop: Header=BB10_9 Depth=1
	s_delay_alu instid0(VALU_DEP_1)
	v_bfe_u32 v3, v1, 23, 1
; %bb.20:                               ;   in Loop: Header=BB10_9 Depth=1
	s_or_b32 exec_lo, exec_lo, s3
	s_delay_alu instid0(VALU_DEP_2) | instskip(NEXT) | instid1(VALU_DEP_2)
	v_lshrrev_b64 v[1:2], 20, v[1:2]
	v_cmp_gt_i32_e32 vcc_lo, 16, v3
	v_cmp_ne_u32_e64 s3, 0, v3
	s_delay_alu instid0(VALU_DEP_3) | instskip(NEXT) | instid1(VALU_DEP_1)
	v_dual_cndmask_b32 v2, 0, v2 :: v_dual_cndmask_b32 v1, 7, v1
	v_cmp_ne_u64_e32 vcc_lo, 0, v[1:2]
                                        ; implicit-def: $vgpr2
	s_delay_alu instid0(VALU_DEP_3) | instskip(NEXT) | instid1(SALU_CYCLE_1)
	s_or_b32 s3, s3, vcc_lo
	s_and_saveexec_b32 s55, s3
	s_delay_alu instid0(SALU_CYCLE_1)
	s_xor_b32 s3, exec_lo, s55
; %bb.21:                               ;   in Loop: Header=BB10_9 Depth=1
	v_min_i32_e32 v2, 15, v3
	s_delay_alu instid0(VALU_DEP_1) | instskip(NEXT) | instid1(VALU_DEP_1)
	v_lshl_or_b32 v2, v2, 3, v16
                                        ; implicit-def: $vgpr16
	v_and_or_b32 v2, v1, 7, v2
; %bb.22:                               ;   in Loop: Header=BB10_9 Depth=1
	s_and_not1_saveexec_b32 s3, s3
; %bb.23:                               ;   in Loop: Header=BB10_9 Depth=1
	v_mov_b32_e32 v2, v16
; %bb.24:                               ;   in Loop: Header=BB10_9 Depth=1
	s_or_b32 exec_lo, exec_lo, s3
.LBB10_25:                              ;   in Loop: Header=BB10_9 Depth=1
	s_delay_alu instid0(SALU_CYCLE_1)
	s_or_b32 exec_lo, exec_lo, s54
.LBB10_26:                              ;   in Loop: Header=BB10_9 Depth=1
	s_and_not1_saveexec_b32 s3, s53
	s_delay_alu instid0(SALU_CYCLE_1)
	s_or_b32 exec_lo, exec_lo, s3
                                        ; implicit-def: $vgpr3
.LBB10_27:                              ;   in Loop: Header=BB10_9 Depth=1
	s_and_not1_saveexec_b32 s3, s52
; %bb.28:                               ;   in Loop: Header=BB10_9 Depth=1
	v_cmp_eq_u64_e32 vcc_lo, 0, v[5:6]
	v_or_b32_e32 v1, 0x7f, v3
	s_delay_alu instid0(VALU_DEP_1)
	v_cndmask_b32_e32 v2, v1, v2, vcc_lo
; %bb.29:                               ;   in Loop: Header=BB10_9 Depth=1
	s_or_b32 exec_lo, exec_lo, s3
	v_add_co_u32 v1, vcc_lo, s31, v15
	v_add_co_ci_u32_e32 v4, vcc_lo, s33, v8, vcc_lo
	s_delay_alu instid0(VALU_DEP_2) | instskip(NEXT) | instid1(VALU_DEP_2)
	v_add_co_u32 v3, vcc_lo, v1, v32
	v_add_co_ci_u32_e32 v4, vcc_lo, 0, v4, vcc_lo
	global_store_b8 v[3:4], v2, off
.LBB10_30:                              ;   in Loop: Header=BB10_9 Depth=1
	s_or_b32 exec_lo, exec_lo, s51
	v_sub_nc_u32_e32 v16, s21, v19
	v_ashrrev_i32_e32 v20, 31, v19
	s_mov_b32 s51, exec_lo
	s_delay_alu instid0(VALU_DEP_2) | instskip(NEXT) | instid1(VALU_DEP_2)
	v_ashrrev_i32_e32 v1, 31, v16
	v_lshlrev_b64 v[21:22], 2, v[19:20]
	s_delay_alu instid0(VALU_DEP_2) | instskip(NEXT) | instid1(VALU_DEP_1)
	v_lshrrev_b32_e32 v1, 30, v1
	v_add_nc_u32_e32 v1, v16, v1
	s_delay_alu instid0(VALU_DEP_1) | instskip(NEXT) | instid1(VALU_DEP_1)
	v_ashrrev_i32_e32 v48, 2, v1
	v_cmpx_gt_i32_e64 v48, v32
	s_cbranch_execz .LBB10_89
; %bb.31:                               ;   in Loop: Header=BB10_9 Depth=1
	v_add_co_u32 v1, vcc_lo, v21, v13
	v_add_co_ci_u32_e32 v2, vcc_lo, v22, v14, vcc_lo
	v_add_co_u32 v23, vcc_lo, v9, v19
	v_add_co_ci_u32_e32 v24, vcc_lo, v10, v20, vcc_lo
	s_delay_alu instid0(VALU_DEP_4) | instskip(NEXT) | instid1(VALU_DEP_4)
	v_add_co_u32 v25, vcc_lo, v33, v1
	v_add_co_ci_u32_e32 v26, vcc_lo, v34, v2, vcc_lo
	v_mov_b32_e32 v49, v32
	s_mov_b32 s52, 0
	s_branch .LBB10_33
.LBB10_32:                              ;   in Loop: Header=BB10_33 Depth=2
	s_or_b32 exec_lo, exec_lo, s3
	v_lshlrev_b32_e32 v2, 16, v27
	v_lshlrev_b32_e32 v3, 8, v30
	v_and_b32_e32 v4, 0xff, v29
	v_add_nc_u32_e32 v49, 32, v49
	s_delay_alu instid0(VALU_DEP_4) | instskip(NEXT) | instid1(VALU_DEP_4)
	v_perm_b32 v1, v1, v2, 0x4020c0c
	v_and_b32_e32 v2, 0xff00, v3
	s_delay_alu instid0(VALU_DEP_3) | instskip(NEXT) | instid1(VALU_DEP_2)
	v_cmp_ge_i32_e32 vcc_lo, v49, v48
	v_or3_b32 v1, v1, v2, v4
	s_or_b32 s52, vcc_lo, s52
	global_store_b32 v[23:24], v1, off
	v_add_co_u32 v23, s3, 0x80, v23
	s_delay_alu instid0(VALU_DEP_1) | instskip(SKIP_1) | instid1(VALU_DEP_1)
	v_add_co_ci_u32_e64 v24, s3, 0, v24, s3
	v_add_co_u32 v25, s3, 0x200, v25
	v_add_co_ci_u32_e64 v26, s3, 0, v26, s3
	s_and_not1_b32 exec_lo, exec_lo, s52
	s_cbranch_execz .LBB10_89
.LBB10_33:                              ;   Parent Loop BB10_9 Depth=1
                                        ; =>  This Inner Loop Header: Depth=2
	global_load_b128 v[1:4], v[25:26], off
	s_waitcnt vmcnt(0)
	v_div_scale_f32 v5, null, v47, v47, v1
	s_delay_alu instid0(VALU_DEP_1) | instskip(SKIP_2) | instid1(VALU_DEP_1)
	v_rcp_f32_e32 v27, v5
	s_waitcnt_depctr 0xfff
	v_fma_f32 v28, -v5, v27, 1.0
	v_fmac_f32_e32 v27, v28, v27
	v_div_scale_f32 v28, vcc_lo, v1, v47, v1
	s_delay_alu instid0(VALU_DEP_1) | instskip(NEXT) | instid1(VALU_DEP_1)
	v_mul_f32_e32 v29, v28, v27
	v_fma_f32 v30, -v5, v29, v28
	s_delay_alu instid0(VALU_DEP_1) | instskip(SKIP_1) | instid1(VALU_DEP_2)
	v_fmac_f32_e32 v29, v30, v27
	v_mov_b32_e32 v30, v6
	v_fma_f32 v5, -v5, v29, v28
	s_delay_alu instid0(VALU_DEP_1) | instskip(NEXT) | instid1(VALU_DEP_1)
	v_div_fmas_f32 v5, v5, v27, v29
	v_div_fixup_f32 v27, v5, v47, v1
	s_delay_alu instid0(VALU_DEP_1) | instskip(SKIP_2) | instid1(VALU_DEP_3)
	v_lshrrev_b32_e32 v28, 24, v27
	v_and_b32_e32 v29, 0x7f800000, v27
	v_and_b32_e32 v5, 0x7fffff, v27
	;; [unrolled: 1-line block ×3, first 2 shown]
	s_delay_alu instid0(VALU_DEP_3) | instskip(NEXT) | instid1(VALU_DEP_2)
	v_cmp_ne_u64_e32 vcc_lo, 0x7f800000, v[29:30]
	v_or_b32_e32 v29, 0x7e, v1
	s_and_saveexec_b32 s3, vcc_lo
	s_delay_alu instid0(SALU_CYCLE_1)
	s_xor_b32 s53, exec_lo, s3
	s_cbranch_execz .LBB10_45
; %bb.34:                               ;   in Loop: Header=BB10_33 Depth=2
	v_dual_mov_b32 v51, v6 :: v_dual_and_b32 v50, 0x7fffffff, v27
	s_mov_b32 s54, exec_lo
	s_delay_alu instid0(VALU_DEP_1)
	v_cmpx_gt_u64_e32 0x43e00001, v[50:51]
	s_cbranch_execz .LBB10_44
; %bb.35:                               ;   in Loop: Header=BB10_33 Depth=2
	v_mov_b32_e32 v29, 0
	s_mov_b32 s55, exec_lo
	v_cmpx_ne_u32_e32 0, v27
	s_cbranch_execz .LBB10_43
; %bb.36:                               ;   in Loop: Header=BB10_33 Depth=2
	v_bfe_u32 v50, v27, 23, 8
	v_or_b32_e32 v29, 0x800000, v5
	s_delay_alu instid0(VALU_DEP_2) | instskip(SKIP_1) | instid1(VALU_DEP_2)
	v_sub_nc_u32_e32 v27, 0x79, v50
	v_cmp_gt_u32_e32 vcc_lo, 0x7a, v50
	v_cndmask_b32_e32 v27, 0, v27, vcc_lo
	v_cmp_eq_u32_e32 vcc_lo, 0, v50
	s_delay_alu instid0(VALU_DEP_2) | instskip(SKIP_1) | instid1(VALU_DEP_2)
	v_cndmask_b32_e64 v51, v27, 0x78, vcc_lo
	v_cndmask_b32_e32 v5, v29, v5, vcc_lo
	v_add_nc_u32_e32 v27, 20, v51
	v_add_nc_u32_e32 v29, 19, v51
	s_delay_alu instid0(VALU_DEP_2) | instskip(NEXT) | instid1(VALU_DEP_2)
	v_lshlrev_b64 v[27:28], v27, -1
	v_lshlrev_b64 v[29:30], v29, 1
	s_delay_alu instid0(VALU_DEP_2) | instskip(NEXT) | instid1(VALU_DEP_3)
	v_not_b32_e32 v28, v28
	v_not_b32_e32 v27, v27
	s_delay_alu instid0(VALU_DEP_2) | instskip(NEXT) | instid1(VALU_DEP_2)
	v_and_b32_e32 v53, 0, v28
	v_and_b32_e32 v52, v5, v27
	v_lshrrev_b64 v[27:28], v51, v[5:6]
	s_delay_alu instid0(VALU_DEP_2) | instskip(NEXT) | instid1(VALU_DEP_2)
	v_cmp_eq_u64_e64 s3, v[52:53], v[29:30]
	v_dual_mov_b32 v30, v28 :: v_dual_mov_b32 v29, v27
	s_delay_alu instid0(VALU_DEP_2)
	s_and_saveexec_b32 s56, s3
; %bb.37:                               ;   in Loop: Header=BB10_33 Depth=2
	v_bfe_u32 v5, v27, 20, 1
	s_delay_alu instid0(VALU_DEP_1) | instskip(NEXT) | instid1(VALU_DEP_1)
	v_add_co_u32 v5, s3, v27, v5
	v_add_co_u32 v29, s3, v5, -1
; %bb.38:                               ;   in Loop: Header=BB10_33 Depth=2
	s_or_b32 exec_lo, exec_lo, s56
	v_add_nc_u32_e32 v5, 0xffffff81, v50
	v_lshrrev_b32_e32 v30, 23, v27
	s_mov_b32 s3, exec_lo
	s_delay_alu instid0(VALU_DEP_2) | instskip(NEXT) | instid1(VALU_DEP_1)
	v_cndmask_b32_e64 v5, v5, 0xffffff82, vcc_lo
	v_add3_u32 v30, v51, v5, v30
	v_and_b32_e32 v5, 0xfffff, v29
	s_delay_alu instid0(VALU_DEP_2) | instskip(NEXT) | instid1(VALU_DEP_2)
	v_add_nc_u32_e32 v29, 6, v30
	v_add_co_u32 v27, vcc_lo, v5, v27
	v_add_co_ci_u32_e32 v28, vcc_lo, 0, v28, vcc_lo
                                        ; implicit-def: $vgpr5
	s_delay_alu instid0(VALU_DEP_3)
	v_cmpx_ne_u32_e32 0, v29
	s_xor_b32 s3, exec_lo, s3
; %bb.39:                               ;   in Loop: Header=BB10_33 Depth=2
	s_delay_alu instid0(VALU_DEP_2) | instskip(SKIP_1) | instid1(VALU_DEP_1)
	v_cmp_lt_u64_e32 vcc_lo, 0xffffff, v[27:28]
	v_add_nc_u32_e32 v5, 7, v30
	v_cndmask_b32_e32 v5, v29, v5, vcc_lo
	v_cndmask_b32_e64 v29, 0, 1, vcc_lo
	s_delay_alu instid0(VALU_DEP_1)
	v_lshrrev_b64 v[27:28], v29, v[27:28]
; %bb.40:                               ;   in Loop: Header=BB10_33 Depth=2
	s_and_not1_saveexec_b32 s3, s3
; %bb.41:                               ;   in Loop: Header=BB10_33 Depth=2
	s_delay_alu instid0(VALU_DEP_1)
	v_bfe_u32 v5, v27, 23, 1
; %bb.42:                               ;   in Loop: Header=BB10_33 Depth=2
	s_or_b32 exec_lo, exec_lo, s3
	s_delay_alu instid0(VALU_DEP_2) | instskip(NEXT) | instid1(VALU_DEP_2)
	v_lshrrev_b64 v[27:28], 20, v[27:28]
	v_cmp_gt_i32_e32 vcc_lo, 16, v5
	v_min_i32_e32 v29, 15, v5
	v_cmp_eq_u32_e64 s3, 0, v5
	s_delay_alu instid0(VALU_DEP_4) | instskip(NEXT) | instid1(VALU_DEP_3)
	v_dual_cndmask_b32 v28, 0, v28 :: v_dual_cndmask_b32 v27, 7, v27
	v_lshlrev_b32_e32 v29, 3, v29
	s_delay_alu instid0(VALU_DEP_2) | instskip(NEXT) | instid1(VALU_DEP_2)
	v_cmp_eq_u64_e32 vcc_lo, 0, v[27:28]
	v_and_or_b32 v5, v27, 7, v29
	s_and_b32 s3, s3, vcc_lo
	s_delay_alu instid0(VALU_DEP_1) | instid1(SALU_CYCLE_1)
	v_cndmask_b32_e64 v5, v5, 0, s3
	s_delay_alu instid0(VALU_DEP_1)
	v_or_b32_e32 v29, v5, v1
.LBB10_43:                              ;   in Loop: Header=BB10_33 Depth=2
	s_or_b32 exec_lo, exec_lo, s55
.LBB10_44:                              ;   in Loop: Header=BB10_33 Depth=2
	s_delay_alu instid0(SALU_CYCLE_1)
	s_or_b32 exec_lo, exec_lo, s54
                                        ; implicit-def: $vgpr28
.LBB10_45:                              ;   in Loop: Header=BB10_33 Depth=2
	s_and_not1_saveexec_b32 s3, s53
; %bb.46:                               ;   in Loop: Header=BB10_33 Depth=2
	v_cmp_eq_u64_e32 vcc_lo, 0, v[5:6]
	v_or_b32_e32 v1, 0x7f, v28
	s_delay_alu instid0(VALU_DEP_1)
	v_cndmask_b32_e32 v29, v1, v29, vcc_lo
; %bb.47:                               ;   in Loop: Header=BB10_33 Depth=2
	s_or_b32 exec_lo, exec_lo, s3
	v_div_scale_f32 v1, null, v47, v47, v2
	s_mov_b32 s3, exec_lo
	s_delay_alu instid0(VALU_DEP_1) | instskip(SKIP_2) | instid1(VALU_DEP_1)
	v_rcp_f32_e32 v5, v1
	s_waitcnt_depctr 0xfff
	v_fma_f32 v27, -v1, v5, 1.0
	v_fmac_f32_e32 v5, v27, v5
	v_div_scale_f32 v27, vcc_lo, v2, v47, v2
	s_delay_alu instid0(VALU_DEP_1) | instskip(NEXT) | instid1(VALU_DEP_1)
	v_mul_f32_e32 v28, v27, v5
	v_fma_f32 v30, -v1, v28, v27
	s_delay_alu instid0(VALU_DEP_1) | instskip(NEXT) | instid1(VALU_DEP_1)
	v_fmac_f32_e32 v28, v30, v5
	v_fma_f32 v1, -v1, v28, v27
	s_delay_alu instid0(VALU_DEP_1) | instskip(SKIP_1) | instid1(VALU_DEP_2)
	v_div_fmas_f32 v1, v1, v5, v28
	v_mov_b32_e32 v28, v6
	v_div_fixup_f32 v1, v1, v47, v2
	s_delay_alu instid0(VALU_DEP_1) | instskip(SKIP_2) | instid1(VALU_DEP_3)
	v_lshrrev_b32_e32 v2, 24, v1
	v_and_b32_e32 v27, 0x7f800000, v1
	v_and_b32_e32 v5, 0x7fffff, v1
	;; [unrolled: 1-line block ×3, first 2 shown]
	s_delay_alu instid0(VALU_DEP_1) | instskip(NEXT) | instid1(VALU_DEP_4)
	v_or_b32_e32 v30, 0x7e, v50
	v_cmpx_ne_u64_e32 0x7f800000, v[27:28]
	s_xor_b32 s53, exec_lo, s3
	s_cbranch_execz .LBB10_59
; %bb.48:                               ;   in Loop: Header=BB10_33 Depth=2
	v_dual_mov_b32 v28, v6 :: v_dual_and_b32 v27, 0x7fffffff, v1
	s_mov_b32 s54, exec_lo
	s_delay_alu instid0(VALU_DEP_1)
	v_cmpx_gt_u64_e32 0x43e00001, v[27:28]
	s_cbranch_execz .LBB10_58
; %bb.49:                               ;   in Loop: Header=BB10_33 Depth=2
	v_mov_b32_e32 v30, 0
	s_mov_b32 s55, exec_lo
	v_cmpx_ne_u32_e32 0, v1
	s_cbranch_execz .LBB10_57
; %bb.50:                               ;   in Loop: Header=BB10_33 Depth=2
	v_bfe_u32 v30, v1, 23, 8
	v_or_b32_e32 v27, 0x800000, v5
	s_delay_alu instid0(VALU_DEP_2) | instskip(SKIP_1) | instid1(VALU_DEP_2)
	v_sub_nc_u32_e32 v1, 0x79, v30
	v_cmp_gt_u32_e32 vcc_lo, 0x7a, v30
	v_cndmask_b32_e32 v1, 0, v1, vcc_lo
	v_cmp_eq_u32_e32 vcc_lo, 0, v30
	s_delay_alu instid0(VALU_DEP_2) | instskip(SKIP_1) | instid1(VALU_DEP_2)
	v_cndmask_b32_e64 v51, v1, 0x78, vcc_lo
	v_cndmask_b32_e32 v5, v27, v5, vcc_lo
	v_add_nc_u32_e32 v1, 20, v51
	v_add_nc_u32_e32 v27, 19, v51
	s_delay_alu instid0(VALU_DEP_2) | instskip(NEXT) | instid1(VALU_DEP_2)
	v_lshlrev_b64 v[1:2], v1, -1
	v_lshlrev_b64 v[27:28], v27, 1
	s_delay_alu instid0(VALU_DEP_2) | instskip(NEXT) | instid1(VALU_DEP_3)
	v_not_b32_e32 v2, v2
	v_not_b32_e32 v1, v1
	s_delay_alu instid0(VALU_DEP_2) | instskip(NEXT) | instid1(VALU_DEP_2)
	v_and_b32_e32 v53, 0, v2
	v_and_b32_e32 v52, v5, v1
	v_lshrrev_b64 v[1:2], v51, v[5:6]
	s_delay_alu instid0(VALU_DEP_2) | instskip(NEXT) | instid1(VALU_DEP_2)
	v_cmp_eq_u64_e64 s3, v[52:53], v[27:28]
	v_dual_mov_b32 v28, v2 :: v_dual_mov_b32 v27, v1
	s_delay_alu instid0(VALU_DEP_2)
	s_and_saveexec_b32 s56, s3
; %bb.51:                               ;   in Loop: Header=BB10_33 Depth=2
	v_bfe_u32 v5, v1, 20, 1
	s_delay_alu instid0(VALU_DEP_1) | instskip(NEXT) | instid1(VALU_DEP_1)
	v_add_co_u32 v5, s3, v1, v5
	v_add_co_u32 v27, s3, v5, -1
; %bb.52:                               ;   in Loop: Header=BB10_33 Depth=2
	s_or_b32 exec_lo, exec_lo, s56
	v_add_nc_u32_e32 v5, 0xffffff81, v30
	v_lshrrev_b32_e32 v28, 23, v1
	s_mov_b32 s3, exec_lo
	s_delay_alu instid0(VALU_DEP_2) | instskip(NEXT) | instid1(VALU_DEP_1)
	v_cndmask_b32_e64 v5, v5, 0xffffff82, vcc_lo
	v_add3_u32 v28, v51, v5, v28
	v_and_b32_e32 v5, 0xfffff, v27
	s_delay_alu instid0(VALU_DEP_2) | instskip(NEXT) | instid1(VALU_DEP_2)
	v_add_nc_u32_e32 v27, 6, v28
	v_add_co_u32 v1, vcc_lo, v5, v1
	v_add_co_ci_u32_e32 v2, vcc_lo, 0, v2, vcc_lo
                                        ; implicit-def: $vgpr5
	s_delay_alu instid0(VALU_DEP_3)
	v_cmpx_ne_u32_e32 0, v27
	s_xor_b32 s3, exec_lo, s3
; %bb.53:                               ;   in Loop: Header=BB10_33 Depth=2
	s_delay_alu instid0(VALU_DEP_2) | instskip(SKIP_1) | instid1(VALU_DEP_1)
	v_cmp_lt_u64_e32 vcc_lo, 0xffffff, v[1:2]
	v_add_nc_u32_e32 v5, 7, v28
	v_cndmask_b32_e32 v5, v27, v5, vcc_lo
	v_cndmask_b32_e64 v27, 0, 1, vcc_lo
	s_delay_alu instid0(VALU_DEP_1)
	v_lshrrev_b64 v[1:2], v27, v[1:2]
; %bb.54:                               ;   in Loop: Header=BB10_33 Depth=2
	s_and_not1_saveexec_b32 s3, s3
; %bb.55:                               ;   in Loop: Header=BB10_33 Depth=2
	s_delay_alu instid0(VALU_DEP_1)
	v_bfe_u32 v5, v1, 23, 1
; %bb.56:                               ;   in Loop: Header=BB10_33 Depth=2
	s_or_b32 exec_lo, exec_lo, s3
	s_delay_alu instid0(VALU_DEP_2) | instskip(NEXT) | instid1(VALU_DEP_2)
	v_lshrrev_b64 v[1:2], 20, v[1:2]
	v_cmp_gt_i32_e32 vcc_lo, 16, v5
	v_min_i32_e32 v27, 15, v5
	v_cmp_eq_u32_e64 s3, 0, v5
	s_delay_alu instid0(VALU_DEP_4) | instskip(NEXT) | instid1(VALU_DEP_3)
	v_dual_cndmask_b32 v2, 0, v2 :: v_dual_cndmask_b32 v1, 7, v1
	v_lshlrev_b32_e32 v27, 3, v27
	s_delay_alu instid0(VALU_DEP_2) | instskip(NEXT) | instid1(VALU_DEP_2)
	v_cmp_eq_u64_e32 vcc_lo, 0, v[1:2]
	v_and_or_b32 v1, v1, 7, v27
	s_and_b32 s3, s3, vcc_lo
	s_delay_alu instid0(VALU_DEP_1) | instid1(SALU_CYCLE_1)
	v_cndmask_b32_e64 v1, v1, 0, s3
	s_delay_alu instid0(VALU_DEP_1)
	v_or_b32_e32 v30, v1, v50
.LBB10_57:                              ;   in Loop: Header=BB10_33 Depth=2
	s_or_b32 exec_lo, exec_lo, s55
.LBB10_58:                              ;   in Loop: Header=BB10_33 Depth=2
	s_delay_alu instid0(SALU_CYCLE_1)
	s_or_b32 exec_lo, exec_lo, s54
                                        ; implicit-def: $vgpr2
.LBB10_59:                              ;   in Loop: Header=BB10_33 Depth=2
	s_and_not1_saveexec_b32 s3, s53
; %bb.60:                               ;   in Loop: Header=BB10_33 Depth=2
	v_cmp_eq_u64_e32 vcc_lo, 0, v[5:6]
	v_or_b32_e32 v1, 0x7f, v2
	s_delay_alu instid0(VALU_DEP_1)
	v_cndmask_b32_e32 v30, v1, v30, vcc_lo
; %bb.61:                               ;   in Loop: Header=BB10_33 Depth=2
	s_or_b32 exec_lo, exec_lo, s3
	v_div_scale_f32 v1, null, v47, v47, v3
	s_delay_alu instid0(VALU_DEP_1) | instskip(SKIP_2) | instid1(VALU_DEP_1)
	v_rcp_f32_e32 v2, v1
	s_waitcnt_depctr 0xfff
	v_fma_f32 v5, -v1, v2, 1.0
	v_fmac_f32_e32 v2, v5, v2
	v_div_scale_f32 v5, vcc_lo, v3, v47, v3
	s_delay_alu instid0(VALU_DEP_1) | instskip(NEXT) | instid1(VALU_DEP_1)
	v_mul_f32_e32 v27, v5, v2
	v_fma_f32 v28, -v1, v27, v5
	s_delay_alu instid0(VALU_DEP_1) | instskip(NEXT) | instid1(VALU_DEP_1)
	v_dual_fmac_f32 v27, v28, v2 :: v_dual_mov_b32 v28, v6
	v_fma_f32 v1, -v1, v27, v5
	s_delay_alu instid0(VALU_DEP_1) | instskip(NEXT) | instid1(VALU_DEP_1)
	v_div_fmas_f32 v1, v1, v2, v27
	v_div_fixup_f32 v1, v1, v47, v3
	s_delay_alu instid0(VALU_DEP_1) | instskip(SKIP_2) | instid1(VALU_DEP_3)
	v_lshrrev_b32_e32 v2, 24, v1
	v_and_b32_e32 v27, 0x7f800000, v1
	v_and_b32_e32 v5, 0x7fffff, v1
	;; [unrolled: 1-line block ×3, first 2 shown]
	s_delay_alu instid0(VALU_DEP_3) | instskip(NEXT) | instid1(VALU_DEP_2)
	v_cmp_ne_u64_e32 vcc_lo, 0x7f800000, v[27:28]
	v_or_b32_e32 v27, 0x7e, v3
	s_and_saveexec_b32 s3, vcc_lo
	s_delay_alu instid0(SALU_CYCLE_1)
	s_xor_b32 s53, exec_lo, s3
	s_cbranch_execz .LBB10_73
; %bb.62:                               ;   in Loop: Header=BB10_33 Depth=2
	v_dual_mov_b32 v51, v6 :: v_dual_and_b32 v50, 0x7fffffff, v1
	s_mov_b32 s54, exec_lo
	s_delay_alu instid0(VALU_DEP_1)
	v_cmpx_gt_u64_e32 0x43e00001, v[50:51]
	s_cbranch_execz .LBB10_72
; %bb.63:                               ;   in Loop: Header=BB10_33 Depth=2
	v_mov_b32_e32 v27, 0
	s_mov_b32 s55, exec_lo
	v_cmpx_ne_u32_e32 0, v1
	s_cbranch_execz .LBB10_71
; %bb.64:                               ;   in Loop: Header=BB10_33 Depth=2
	v_bfe_u32 v50, v1, 23, 8
	v_or_b32_e32 v27, 0x800000, v5
	s_delay_alu instid0(VALU_DEP_2) | instskip(SKIP_1) | instid1(VALU_DEP_2)
	v_sub_nc_u32_e32 v1, 0x79, v50
	v_cmp_gt_u32_e32 vcc_lo, 0x7a, v50
	v_cndmask_b32_e32 v1, 0, v1, vcc_lo
	v_cmp_eq_u32_e32 vcc_lo, 0, v50
	s_delay_alu instid0(VALU_DEP_2) | instskip(SKIP_1) | instid1(VALU_DEP_2)
	v_cndmask_b32_e64 v51, v1, 0x78, vcc_lo
	v_cndmask_b32_e32 v5, v27, v5, vcc_lo
	v_add_nc_u32_e32 v1, 20, v51
	v_add_nc_u32_e32 v27, 19, v51
	s_delay_alu instid0(VALU_DEP_2) | instskip(NEXT) | instid1(VALU_DEP_2)
	v_lshlrev_b64 v[1:2], v1, -1
	v_lshlrev_b64 v[27:28], v27, 1
	s_delay_alu instid0(VALU_DEP_2) | instskip(NEXT) | instid1(VALU_DEP_3)
	v_not_b32_e32 v2, v2
	v_not_b32_e32 v1, v1
	s_delay_alu instid0(VALU_DEP_2) | instskip(NEXT) | instid1(VALU_DEP_2)
	v_and_b32_e32 v53, 0, v2
	v_and_b32_e32 v52, v5, v1
	v_lshrrev_b64 v[1:2], v51, v[5:6]
	s_delay_alu instid0(VALU_DEP_2) | instskip(NEXT) | instid1(VALU_DEP_2)
	v_cmp_eq_u64_e64 s3, v[52:53], v[27:28]
	v_dual_mov_b32 v28, v2 :: v_dual_mov_b32 v27, v1
	s_delay_alu instid0(VALU_DEP_2)
	s_and_saveexec_b32 s56, s3
; %bb.65:                               ;   in Loop: Header=BB10_33 Depth=2
	v_bfe_u32 v5, v1, 20, 1
	s_delay_alu instid0(VALU_DEP_1) | instskip(NEXT) | instid1(VALU_DEP_1)
	v_add_co_u32 v5, s3, v1, v5
	v_add_co_u32 v27, s3, v5, -1
; %bb.66:                               ;   in Loop: Header=BB10_33 Depth=2
	s_or_b32 exec_lo, exec_lo, s56
	v_add_nc_u32_e32 v5, 0xffffff81, v50
	v_lshrrev_b32_e32 v28, 23, v1
	s_mov_b32 s3, exec_lo
	s_delay_alu instid0(VALU_DEP_2) | instskip(NEXT) | instid1(VALU_DEP_1)
	v_cndmask_b32_e64 v5, v5, 0xffffff82, vcc_lo
	v_add3_u32 v28, v51, v5, v28
	v_and_b32_e32 v5, 0xfffff, v27
	s_delay_alu instid0(VALU_DEP_2) | instskip(NEXT) | instid1(VALU_DEP_2)
	v_add_nc_u32_e32 v27, 6, v28
	v_add_co_u32 v1, vcc_lo, v5, v1
	v_add_co_ci_u32_e32 v2, vcc_lo, 0, v2, vcc_lo
                                        ; implicit-def: $vgpr5
	s_delay_alu instid0(VALU_DEP_3)
	v_cmpx_ne_u32_e32 0, v27
	s_xor_b32 s3, exec_lo, s3
; %bb.67:                               ;   in Loop: Header=BB10_33 Depth=2
	s_delay_alu instid0(VALU_DEP_2) | instskip(SKIP_1) | instid1(VALU_DEP_1)
	v_cmp_lt_u64_e32 vcc_lo, 0xffffff, v[1:2]
	v_add_nc_u32_e32 v5, 7, v28
	v_cndmask_b32_e32 v5, v27, v5, vcc_lo
	v_cndmask_b32_e64 v27, 0, 1, vcc_lo
	s_delay_alu instid0(VALU_DEP_1)
	v_lshrrev_b64 v[1:2], v27, v[1:2]
; %bb.68:                               ;   in Loop: Header=BB10_33 Depth=2
	s_and_not1_saveexec_b32 s3, s3
; %bb.69:                               ;   in Loop: Header=BB10_33 Depth=2
	s_delay_alu instid0(VALU_DEP_1)
	v_bfe_u32 v5, v1, 23, 1
; %bb.70:                               ;   in Loop: Header=BB10_33 Depth=2
	s_or_b32 exec_lo, exec_lo, s3
	s_delay_alu instid0(VALU_DEP_2) | instskip(NEXT) | instid1(VALU_DEP_2)
	v_lshrrev_b64 v[1:2], 20, v[1:2]
	v_cmp_gt_i32_e32 vcc_lo, 16, v5
	v_min_i32_e32 v27, 15, v5
	v_cmp_eq_u32_e64 s3, 0, v5
	s_delay_alu instid0(VALU_DEP_4) | instskip(NEXT) | instid1(VALU_DEP_3)
	v_dual_cndmask_b32 v2, 0, v2 :: v_dual_cndmask_b32 v1, 7, v1
	v_lshlrev_b32_e32 v27, 3, v27
	s_delay_alu instid0(VALU_DEP_2) | instskip(NEXT) | instid1(VALU_DEP_2)
	v_cmp_eq_u64_e32 vcc_lo, 0, v[1:2]
	v_and_or_b32 v1, v1, 7, v27
	s_and_b32 s3, s3, vcc_lo
	s_delay_alu instid0(VALU_DEP_1) | instid1(SALU_CYCLE_1)
	v_cndmask_b32_e64 v1, v1, 0, s3
	s_delay_alu instid0(VALU_DEP_1)
	v_or_b32_e32 v27, v1, v3
.LBB10_71:                              ;   in Loop: Header=BB10_33 Depth=2
	s_or_b32 exec_lo, exec_lo, s55
.LBB10_72:                              ;   in Loop: Header=BB10_33 Depth=2
	s_delay_alu instid0(SALU_CYCLE_1)
	s_or_b32 exec_lo, exec_lo, s54
                                        ; implicit-def: $vgpr2
.LBB10_73:                              ;   in Loop: Header=BB10_33 Depth=2
	s_and_not1_saveexec_b32 s3, s53
; %bb.74:                               ;   in Loop: Header=BB10_33 Depth=2
	v_cmp_eq_u64_e32 vcc_lo, 0, v[5:6]
	v_or_b32_e32 v1, 0x7f, v2
	s_delay_alu instid0(VALU_DEP_1)
	v_cndmask_b32_e32 v27, v1, v27, vcc_lo
; %bb.75:                               ;   in Loop: Header=BB10_33 Depth=2
	s_or_b32 exec_lo, exec_lo, s3
	v_div_scale_f32 v1, null, v47, v47, v4
	s_mov_b32 s3, exec_lo
	v_mov_b32_e32 v51, v6
	s_delay_alu instid0(VALU_DEP_2) | instskip(SKIP_2) | instid1(VALU_DEP_1)
	v_rcp_f32_e32 v2, v1
	s_waitcnt_depctr 0xfff
	v_fma_f32 v3, -v1, v2, 1.0
	v_fmac_f32_e32 v2, v3, v2
	v_div_scale_f32 v3, vcc_lo, v4, v47, v4
	s_delay_alu instid0(VALU_DEP_1) | instskip(NEXT) | instid1(VALU_DEP_1)
	v_mul_f32_e32 v5, v3, v2
	v_fma_f32 v28, -v1, v5, v3
	s_delay_alu instid0(VALU_DEP_1) | instskip(NEXT) | instid1(VALU_DEP_1)
	v_fmac_f32_e32 v5, v28, v2
	v_fma_f32 v1, -v1, v5, v3
	s_delay_alu instid0(VALU_DEP_1) | instskip(NEXT) | instid1(VALU_DEP_1)
	v_div_fmas_f32 v1, v1, v2, v5
	v_div_fixup_f32 v2, v1, v47, v4
	s_delay_alu instid0(VALU_DEP_1) | instskip(SKIP_2) | instid1(VALU_DEP_3)
	v_lshrrev_b32_e32 v3, 24, v2
	v_and_b32_e32 v50, 0x7f800000, v2
	v_and_b32_e32 v5, 0x7fffff, v2
	;; [unrolled: 1-line block ×3, first 2 shown]
	s_delay_alu instid0(VALU_DEP_1) | instskip(NEXT) | instid1(VALU_DEP_4)
	v_or_b32_e32 v1, 0x7e, v28
	v_cmpx_ne_u64_e32 0x7f800000, v[50:51]
	s_xor_b32 s53, exec_lo, s3
	s_cbranch_execz .LBB10_87
; %bb.76:                               ;   in Loop: Header=BB10_33 Depth=2
	v_dual_mov_b32 v4, v6 :: v_dual_and_b32 v3, 0x7fffffff, v2
	s_mov_b32 s54, exec_lo
	s_delay_alu instid0(VALU_DEP_1)
	v_cmpx_gt_u64_e32 0x43e00001, v[3:4]
	s_cbranch_execz .LBB10_86
; %bb.77:                               ;   in Loop: Header=BB10_33 Depth=2
	v_mov_b32_e32 v1, 0
	s_mov_b32 s55, exec_lo
	v_cmpx_ne_u32_e32 0, v2
	s_cbranch_execz .LBB10_85
; %bb.78:                               ;   in Loop: Header=BB10_33 Depth=2
	v_bfe_u32 v50, v2, 23, 8
	v_or_b32_e32 v3, 0x800000, v5
	s_delay_alu instid0(VALU_DEP_2) | instskip(SKIP_1) | instid1(VALU_DEP_2)
	v_sub_nc_u32_e32 v1, 0x79, v50
	v_cmp_gt_u32_e32 vcc_lo, 0x7a, v50
	v_cndmask_b32_e32 v1, 0, v1, vcc_lo
	v_cmp_eq_u32_e32 vcc_lo, 0, v50
	s_delay_alu instid0(VALU_DEP_2) | instskip(SKIP_1) | instid1(VALU_DEP_2)
	v_cndmask_b32_e64 v51, v1, 0x78, vcc_lo
	v_cndmask_b32_e32 v5, v3, v5, vcc_lo
	v_add_nc_u32_e32 v1, 20, v51
	v_add_nc_u32_e32 v3, 19, v51
	s_delay_alu instid0(VALU_DEP_2) | instskip(NEXT) | instid1(VALU_DEP_2)
	v_lshlrev_b64 v[1:2], v1, -1
	v_lshlrev_b64 v[3:4], v3, 1
	s_delay_alu instid0(VALU_DEP_2) | instskip(NEXT) | instid1(VALU_DEP_3)
	v_not_b32_e32 v2, v2
	v_not_b32_e32 v1, v1
	s_delay_alu instid0(VALU_DEP_2) | instskip(NEXT) | instid1(VALU_DEP_2)
	v_and_b32_e32 v53, 0, v2
	v_and_b32_e32 v52, v5, v1
	v_lshrrev_b64 v[1:2], v51, v[5:6]
	s_delay_alu instid0(VALU_DEP_2) | instskip(NEXT) | instid1(VALU_DEP_2)
	v_cmp_eq_u64_e64 s3, v[52:53], v[3:4]
	v_dual_mov_b32 v4, v2 :: v_dual_mov_b32 v3, v1
	s_delay_alu instid0(VALU_DEP_2)
	s_and_saveexec_b32 s56, s3
; %bb.79:                               ;   in Loop: Header=BB10_33 Depth=2
	v_bfe_u32 v3, v1, 20, 1
	s_delay_alu instid0(VALU_DEP_1) | instskip(NEXT) | instid1(VALU_DEP_1)
	v_add_co_u32 v3, s3, v1, v3
	v_add_co_u32 v3, s3, v3, -1
; %bb.80:                               ;   in Loop: Header=BB10_33 Depth=2
	s_or_b32 exec_lo, exec_lo, s56
	v_add_nc_u32_e32 v4, 0xffffff81, v50
	v_lshrrev_b32_e32 v5, 23, v1
	s_delay_alu instid0(VALU_DEP_3) | instskip(SKIP_1) | instid1(VALU_DEP_3)
	v_and_b32_e32 v3, 0xfffff, v3
	s_mov_b32 s3, exec_lo
	v_cndmask_b32_e64 v4, v4, 0xffffff82, vcc_lo
	s_delay_alu instid0(VALU_DEP_2) | instskip(SKIP_1) | instid1(VALU_DEP_3)
	v_add_co_u32 v1, vcc_lo, v3, v1
	v_add_co_ci_u32_e32 v2, vcc_lo, 0, v2, vcc_lo
	v_add3_u32 v4, v51, v4, v5
                                        ; implicit-def: $vgpr3
	s_delay_alu instid0(VALU_DEP_1) | instskip(NEXT) | instid1(VALU_DEP_1)
	v_add_nc_u32_e32 v5, 6, v4
	v_cmpx_ne_u32_e32 0, v5
	s_xor_b32 s3, exec_lo, s3
; %bb.81:                               ;   in Loop: Header=BB10_33 Depth=2
	v_cmp_lt_u64_e32 vcc_lo, 0xffffff, v[1:2]
	v_add_nc_u32_e32 v3, 7, v4
	v_cndmask_b32_e64 v4, 0, 1, vcc_lo
	s_delay_alu instid0(VALU_DEP_2) | instskip(NEXT) | instid1(VALU_DEP_2)
	v_cndmask_b32_e32 v3, v5, v3, vcc_lo
	v_lshrrev_b64 v[1:2], v4, v[1:2]
; %bb.82:                               ;   in Loop: Header=BB10_33 Depth=2
	s_and_not1_saveexec_b32 s3, s3
; %bb.83:                               ;   in Loop: Header=BB10_33 Depth=2
	s_delay_alu instid0(VALU_DEP_1)
	v_bfe_u32 v3, v1, 23, 1
; %bb.84:                               ;   in Loop: Header=BB10_33 Depth=2
	s_or_b32 exec_lo, exec_lo, s3
	s_delay_alu instid0(VALU_DEP_2) | instskip(NEXT) | instid1(VALU_DEP_2)
	v_lshrrev_b64 v[1:2], 20, v[1:2]
	v_cmp_gt_i32_e32 vcc_lo, 16, v3
	v_min_i32_e32 v4, 15, v3
	v_cmp_eq_u32_e64 s3, 0, v3
	s_delay_alu instid0(VALU_DEP_4) | instskip(NEXT) | instid1(VALU_DEP_3)
	v_dual_cndmask_b32 v2, 0, v2 :: v_dual_cndmask_b32 v1, 7, v1
	v_lshlrev_b32_e32 v4, 3, v4
	s_delay_alu instid0(VALU_DEP_2) | instskip(NEXT) | instid1(VALU_DEP_2)
	v_cmp_eq_u64_e32 vcc_lo, 0, v[1:2]
	v_and_or_b32 v1, v1, 7, v4
	s_and_b32 s3, s3, vcc_lo
	s_delay_alu instid0(VALU_DEP_1) | instid1(SALU_CYCLE_1)
	v_cndmask_b32_e64 v1, v1, 0, s3
	s_delay_alu instid0(VALU_DEP_1)
	v_or_b32_e32 v1, v1, v28
.LBB10_85:                              ;   in Loop: Header=BB10_33 Depth=2
	s_or_b32 exec_lo, exec_lo, s55
.LBB10_86:                              ;   in Loop: Header=BB10_33 Depth=2
	s_delay_alu instid0(SALU_CYCLE_1)
	s_or_b32 exec_lo, exec_lo, s54
                                        ; implicit-def: $vgpr3
.LBB10_87:                              ;   in Loop: Header=BB10_33 Depth=2
	s_and_not1_saveexec_b32 s3, s53
	s_cbranch_execz .LBB10_32
; %bb.88:                               ;   in Loop: Header=BB10_33 Depth=2
	v_cmp_eq_u64_e32 vcc_lo, 0, v[5:6]
	v_or_b32_e32 v2, 0x7f, v3
	s_delay_alu instid0(VALU_DEP_1)
	v_cndmask_b32_e32 v1, v2, v1, vcc_lo
	s_branch .LBB10_32
.LBB10_89:                              ;   in Loop: Header=BB10_9 Depth=1
	s_or_b32 exec_lo, exec_lo, s51
	v_lshl_add_u32 v1, v48, 2, v32
	s_mov_b32 s51, exec_lo
	s_delay_alu instid0(VALU_DEP_1)
	v_cmpx_lt_i32_e64 v1, v16
	s_cbranch_execz .LBB10_110
; %bb.90:                               ;   in Loop: Header=BB10_9 Depth=1
	v_ashrrev_i32_e32 v2, 31, v1
	v_add_co_u32 v5, vcc_lo, v21, v13
	v_add_co_ci_u32_e32 v21, vcc_lo, v22, v14, vcc_lo
	s_delay_alu instid0(VALU_DEP_3) | instskip(SKIP_1) | instid1(VALU_DEP_1)
	v_lshlrev_b64 v[3:4], 2, v[1:2]
	s_mov_b32 s52, 0
	v_add_co_u32 v3, vcc_lo, v5, v3
	s_delay_alu instid0(VALU_DEP_2) | instskip(SKIP_2) | instid1(VALU_DEP_4)
	v_add_co_ci_u32_e32 v4, vcc_lo, v21, v4, vcc_lo
	v_add_co_u32 v5, vcc_lo, v19, v1
	v_add_co_ci_u32_e32 v20, vcc_lo, v20, v2, vcc_lo
	v_add_co_u32 v2, vcc_lo, s43, v3
	s_delay_alu instid0(VALU_DEP_4) | instskip(NEXT) | instid1(VALU_DEP_4)
	v_add_co_ci_u32_e32 v3, vcc_lo, s44, v4, vcc_lo
	v_add_co_u32 v19, vcc_lo, v39, v5
	s_delay_alu instid0(VALU_DEP_4)
	v_add_co_ci_u32_e32 v20, vcc_lo, v40, v20, vcc_lo
	s_branch .LBB10_92
.LBB10_91:                              ;   in Loop: Header=BB10_92 Depth=2
	s_or_b32 exec_lo, exec_lo, s3
	v_add_nc_u32_e32 v1, 32, v1
	v_add_co_u32 v2, vcc_lo, 0x80, v2
	v_add_co_ci_u32_e32 v3, vcc_lo, 0, v3, vcc_lo
	global_store_b8 v[19:20], v21, off
	v_cmp_ge_i32_e32 vcc_lo, v1, v16
	v_add_co_u32 v19, s3, v19, 32
	s_delay_alu instid0(VALU_DEP_1) | instskip(SKIP_1) | instid1(SALU_CYCLE_1)
	v_add_co_ci_u32_e64 v20, s3, 0, v20, s3
	s_or_b32 s52, vcc_lo, s52
	s_and_not1_b32 exec_lo, exec_lo, s52
	s_cbranch_execz .LBB10_110
.LBB10_92:                              ;   Parent Loop BB10_9 Depth=1
                                        ; =>  This Inner Loop Header: Depth=2
	global_load_b32 v4, v[2:3], off
	v_mov_b32_e32 v25, v6
	s_mov_b32 s3, exec_lo
	s_waitcnt vmcnt(0)
	v_div_scale_f32 v5, null, v47, v47, v4
	s_delay_alu instid0(VALU_DEP_1) | instskip(SKIP_2) | instid1(VALU_DEP_1)
	v_rcp_f32_e32 v21, v5
	s_waitcnt_depctr 0xfff
	v_fma_f32 v22, -v5, v21, 1.0
	v_fmac_f32_e32 v21, v22, v21
	v_div_scale_f32 v22, vcc_lo, v4, v47, v4
	s_delay_alu instid0(VALU_DEP_1) | instskip(NEXT) | instid1(VALU_DEP_1)
	v_mul_f32_e32 v23, v22, v21
	v_fma_f32 v24, -v5, v23, v22
	s_delay_alu instid0(VALU_DEP_1) | instskip(NEXT) | instid1(VALU_DEP_1)
	v_fmac_f32_e32 v23, v24, v21
	v_fma_f32 v5, -v5, v23, v22
	s_delay_alu instid0(VALU_DEP_1) | instskip(NEXT) | instid1(VALU_DEP_1)
	v_div_fmas_f32 v5, v5, v21, v23
	v_div_fixup_f32 v4, v5, v47, v4
	s_delay_alu instid0(VALU_DEP_1) | instskip(SKIP_2) | instid1(VALU_DEP_2)
	v_and_b32_e32 v24, 0x7f800000, v4
	v_lshrrev_b32_e32 v22, 24, v4
	v_and_b32_e32 v5, 0x7fffff, v4
	v_and_b32_e32 v23, 0x80, v22
	s_delay_alu instid0(VALU_DEP_1)
	v_or_b32_e32 v21, 0x7e, v23
	v_cmpx_ne_u64_e32 0x7f800000, v[24:25]
	s_xor_b32 s53, exec_lo, s3
	s_cbranch_execz .LBB10_108
; %bb.93:                               ;   in Loop: Header=BB10_92 Depth=2
	v_dual_mov_b32 v25, v6 :: v_dual_and_b32 v24, 0x7fffffff, v4
	s_mov_b32 s3, exec_lo
	s_delay_alu instid0(VALU_DEP_1)
	v_cmpx_gt_u64_e32 0x43e00001, v[24:25]
	s_xor_b32 s54, exec_lo, s3
	s_cbranch_execz .LBB10_107
; %bb.94:                               ;   in Loop: Header=BB10_92 Depth=2
	v_mov_b32_e32 v21, 0
	s_mov_b32 s55, exec_lo
	v_cmpx_ne_u32_e32 0, v4
	s_cbranch_execz .LBB10_106
; %bb.95:                               ;   in Loop: Header=BB10_92 Depth=2
	v_bfe_u32 v24, v4, 23, 8
	v_or_b32_e32 v26, 0x800000, v5
	s_delay_alu instid0(VALU_DEP_2) | instskip(SKIP_1) | instid1(VALU_DEP_2)
	v_sub_nc_u32_e32 v4, 0x79, v24
	v_cmp_gt_u32_e32 vcc_lo, 0x7a, v24
	v_cndmask_b32_e32 v4, 0, v4, vcc_lo
	v_cmp_eq_u32_e32 vcc_lo, 0, v24
	v_cndmask_b32_e32 v5, v26, v5, vcc_lo
	s_delay_alu instid0(VALU_DEP_3) | instskip(NEXT) | instid1(VALU_DEP_1)
	v_cndmask_b32_e64 v25, v4, 0x78, vcc_lo
	v_add_nc_u32_e32 v4, 20, v25
	s_delay_alu instid0(VALU_DEP_1) | instskip(SKIP_1) | instid1(VALU_DEP_2)
	v_lshlrev_b64 v[21:22], v4, -1
	v_add_nc_u32_e32 v4, 19, v25
	v_not_b32_e32 v26, v22
	s_delay_alu instid0(VALU_DEP_3) | instskip(NEXT) | instid1(VALU_DEP_3)
	v_not_b32_e32 v28, v21
	v_lshlrev_b64 v[21:22], v4, 1
	s_delay_alu instid0(VALU_DEP_3) | instskip(NEXT) | instid1(VALU_DEP_3)
	v_and_b32_e32 v27, 0, v26
	v_and_b32_e32 v26, v5, v28
	v_lshrrev_b64 v[4:5], v25, v[5:6]
	s_delay_alu instid0(VALU_DEP_2) | instskip(NEXT) | instid1(VALU_DEP_2)
	v_cmp_eq_u64_e64 s3, v[26:27], v[21:22]
	v_dual_mov_b32 v22, v5 :: v_dual_mov_b32 v21, v4
	s_delay_alu instid0(VALU_DEP_2)
	s_and_saveexec_b32 s56, s3
; %bb.96:                               ;   in Loop: Header=BB10_92 Depth=2
	v_bfe_u32 v21, v4, 20, 1
	s_delay_alu instid0(VALU_DEP_1) | instskip(NEXT) | instid1(VALU_DEP_1)
	v_add_co_u32 v21, s3, v4, v21
	v_add_co_u32 v21, s3, v21, -1
; %bb.97:                               ;   in Loop: Header=BB10_92 Depth=2
	s_or_b32 exec_lo, exec_lo, s56
	v_add_nc_u32_e32 v22, 0xffffff81, v24
	v_lshrrev_b32_e32 v24, 23, v4
	s_mov_b32 s3, exec_lo
	s_delay_alu instid0(VALU_DEP_2) | instskip(NEXT) | instid1(VALU_DEP_1)
	v_cndmask_b32_e64 v22, v22, 0xffffff82, vcc_lo
	v_add3_u32 v24, v25, v22, v24
	v_and_b32_e32 v22, 0xfffff, v21
	s_delay_alu instid0(VALU_DEP_2) | instskip(NEXT) | instid1(VALU_DEP_2)
	v_add_nc_u32_e32 v21, 6, v24
	v_add_co_u32 v4, vcc_lo, v22, v4
	v_add_co_ci_u32_e32 v5, vcc_lo, 0, v5, vcc_lo
                                        ; implicit-def: $vgpr22
	s_delay_alu instid0(VALU_DEP_3)
	v_cmpx_ne_u32_e32 0, v21
	s_xor_b32 s3, exec_lo, s3
; %bb.98:                               ;   in Loop: Header=BB10_92 Depth=2
	s_delay_alu instid0(VALU_DEP_2) | instskip(SKIP_1) | instid1(VALU_DEP_1)
	v_cmp_lt_u64_e32 vcc_lo, 0xffffff, v[4:5]
	v_add_nc_u32_e32 v22, 7, v24
	v_cndmask_b32_e32 v22, v21, v22, vcc_lo
	v_cndmask_b32_e64 v21, 0, 1, vcc_lo
	s_delay_alu instid0(VALU_DEP_1)
	v_lshrrev_b64 v[4:5], v21, v[4:5]
; %bb.99:                               ;   in Loop: Header=BB10_92 Depth=2
	s_and_not1_saveexec_b32 s3, s3
; %bb.100:                              ;   in Loop: Header=BB10_92 Depth=2
	s_delay_alu instid0(VALU_DEP_1)
	v_bfe_u32 v22, v4, 23, 1
; %bb.101:                              ;   in Loop: Header=BB10_92 Depth=2
	s_or_b32 exec_lo, exec_lo, s3
	s_delay_alu instid0(VALU_DEP_2) | instskip(NEXT) | instid1(VALU_DEP_2)
	v_lshrrev_b64 v[4:5], 20, v[4:5]
	v_cmp_gt_i32_e32 vcc_lo, 16, v22
	v_cmp_ne_u32_e64 s3, 0, v22
                                        ; implicit-def: $vgpr21
	s_delay_alu instid0(VALU_DEP_3) | instskip(NEXT) | instid1(VALU_DEP_1)
	v_dual_cndmask_b32 v5, 0, v5 :: v_dual_cndmask_b32 v4, 7, v4
	v_cmp_ne_u64_e32 vcc_lo, 0, v[4:5]
	s_delay_alu instid0(VALU_DEP_3) | instskip(NEXT) | instid1(SALU_CYCLE_1)
	s_or_b32 s3, s3, vcc_lo
	s_and_saveexec_b32 s56, s3
	s_delay_alu instid0(SALU_CYCLE_1)
	s_xor_b32 s3, exec_lo, s56
; %bb.102:                              ;   in Loop: Header=BB10_92 Depth=2
	v_min_i32_e32 v5, 15, v22
	s_delay_alu instid0(VALU_DEP_1) | instskip(NEXT) | instid1(VALU_DEP_1)
	v_lshl_or_b32 v5, v5, 3, v23
                                        ; implicit-def: $vgpr23
	v_and_or_b32 v21, v4, 7, v5
; %bb.103:                              ;   in Loop: Header=BB10_92 Depth=2
	s_and_not1_saveexec_b32 s3, s3
; %bb.104:                              ;   in Loop: Header=BB10_92 Depth=2
	v_mov_b32_e32 v21, v23
; %bb.105:                              ;   in Loop: Header=BB10_92 Depth=2
	s_or_b32 exec_lo, exec_lo, s3
.LBB10_106:                             ;   in Loop: Header=BB10_92 Depth=2
	s_delay_alu instid0(SALU_CYCLE_1)
	s_or_b32 exec_lo, exec_lo, s55
.LBB10_107:                             ;   in Loop: Header=BB10_92 Depth=2
	s_and_not1_saveexec_b32 s3, s54
	s_delay_alu instid0(SALU_CYCLE_1)
	s_or_b32 exec_lo, exec_lo, s3
                                        ; implicit-def: $vgpr22
.LBB10_108:                             ;   in Loop: Header=BB10_92 Depth=2
	s_and_not1_saveexec_b32 s3, s53
	s_cbranch_execz .LBB10_91
; %bb.109:                              ;   in Loop: Header=BB10_92 Depth=2
	v_cmp_eq_u64_e32 vcc_lo, 0, v[5:6]
	v_or_b32_e32 v4, 0x7f, v22
	s_delay_alu instid0(VALU_DEP_1)
	v_cndmask_b32_e32 v21, v4, v21, vcc_lo
	s_branch .LBB10_91
.LBB10_110:                             ;   in Loop: Header=BB10_9 Depth=1
	s_or_b32 exec_lo, exec_lo, s51
                                        ; implicit-def: $vgpr47
.LBB10_111:                             ;   in Loop: Header=BB10_9 Depth=1
	s_and_not1_saveexec_b32 s50, s50
	s_cbranch_execz .LBB10_172
; %bb.112:                              ;   in Loop: Header=BB10_9 Depth=1
	s_and_saveexec_b32 s51, s2
	s_cbranch_execz .LBB10_171
; %bb.113:                              ;   in Loop: Header=BB10_9 Depth=1
	v_add_co_u32 v19, vcc_lo, v37, v13
	v_add_co_ci_u32_e32 v20, vcc_lo, v38, v14, vcc_lo
	v_dual_mov_b32 v22, v10 :: v_dual_mov_b32 v21, v9
	v_mov_b32_e32 v16, v32
	s_mov_b32 s52, 0
	s_branch .LBB10_115
.LBB10_114:                             ;   in Loop: Header=BB10_115 Depth=2
	s_or_b32 exec_lo, exec_lo, s3
	v_lshlrev_b32_e32 v2, 16, v23
	v_lshlrev_b32_e32 v3, 8, v26
	v_and_b32_e32 v4, 0xff, v25
	v_add_nc_u32_e32 v16, 32, v16
	s_delay_alu instid0(VALU_DEP_4) | instskip(NEXT) | instid1(VALU_DEP_4)
	v_perm_b32 v1, v1, v2, 0x4020c0c
	v_and_b32_e32 v2, 0xff00, v3
	s_delay_alu instid0(VALU_DEP_3) | instskip(NEXT) | instid1(VALU_DEP_2)
	v_cmp_le_i32_e32 vcc_lo, s41, v16
	v_or3_b32 v1, v1, v2, v4
	s_or_b32 s52, vcc_lo, s52
	global_store_b32 v[21:22], v1, off
	v_add_co_u32 v21, s3, 0x80, v21
	s_delay_alu instid0(VALU_DEP_1) | instskip(SKIP_1) | instid1(VALU_DEP_1)
	v_add_co_ci_u32_e64 v22, s3, 0, v22, s3
	v_add_co_u32 v19, s3, 0x200, v19
	v_add_co_ci_u32_e64 v20, s3, 0, v20, s3
	s_and_not1_b32 exec_lo, exec_lo, s52
	s_cbranch_execz .LBB10_171
.LBB10_115:                             ;   Parent Loop BB10_9 Depth=1
                                        ; =>  This Inner Loop Header: Depth=2
	global_load_b128 v[1:4], v[19:20], off offset:-8
	s_waitcnt vmcnt(0)
	v_div_scale_f32 v5, null, v47, v47, v1
	s_delay_alu instid0(VALU_DEP_1) | instskip(SKIP_2) | instid1(VALU_DEP_1)
	v_rcp_f32_e32 v23, v5
	s_waitcnt_depctr 0xfff
	v_fma_f32 v24, -v5, v23, 1.0
	v_fmac_f32_e32 v23, v24, v23
	v_div_scale_f32 v24, vcc_lo, v1, v47, v1
	s_delay_alu instid0(VALU_DEP_1) | instskip(NEXT) | instid1(VALU_DEP_1)
	v_mul_f32_e32 v25, v24, v23
	v_fma_f32 v26, -v5, v25, v24
	s_delay_alu instid0(VALU_DEP_1) | instskip(SKIP_1) | instid1(VALU_DEP_2)
	v_fmac_f32_e32 v25, v26, v23
	v_mov_b32_e32 v26, v6
	v_fma_f32 v5, -v5, v25, v24
	s_delay_alu instid0(VALU_DEP_1) | instskip(NEXT) | instid1(VALU_DEP_1)
	v_div_fmas_f32 v5, v5, v23, v25
	v_div_fixup_f32 v23, v5, v47, v1
	s_delay_alu instid0(VALU_DEP_1) | instskip(SKIP_2) | instid1(VALU_DEP_3)
	v_lshrrev_b32_e32 v24, 24, v23
	v_and_b32_e32 v25, 0x7f800000, v23
	v_and_b32_e32 v5, 0x7fffff, v23
	;; [unrolled: 1-line block ×3, first 2 shown]
	s_delay_alu instid0(VALU_DEP_3) | instskip(NEXT) | instid1(VALU_DEP_2)
	v_cmp_ne_u64_e32 vcc_lo, 0x7f800000, v[25:26]
	v_or_b32_e32 v25, 0x7e, v1
	s_and_saveexec_b32 s3, vcc_lo
	s_delay_alu instid0(SALU_CYCLE_1)
	s_xor_b32 s53, exec_lo, s3
	s_cbranch_execz .LBB10_127
; %bb.116:                              ;   in Loop: Header=BB10_115 Depth=2
	v_dual_mov_b32 v27, v6 :: v_dual_and_b32 v26, 0x7fffffff, v23
	s_mov_b32 s54, exec_lo
	s_delay_alu instid0(VALU_DEP_1)
	v_cmpx_gt_u64_e32 0x43e00001, v[26:27]
	s_cbranch_execz .LBB10_126
; %bb.117:                              ;   in Loop: Header=BB10_115 Depth=2
	v_mov_b32_e32 v25, 0
	s_mov_b32 s55, exec_lo
	v_cmpx_ne_u32_e32 0, v23
	s_cbranch_execz .LBB10_125
; %bb.118:                              ;   in Loop: Header=BB10_115 Depth=2
	v_bfe_u32 v27, v23, 23, 8
	v_or_b32_e32 v25, 0x800000, v5
	s_delay_alu instid0(VALU_DEP_2) | instskip(SKIP_1) | instid1(VALU_DEP_2)
	v_sub_nc_u32_e32 v23, 0x79, v27
	v_cmp_gt_u32_e32 vcc_lo, 0x7a, v27
	v_cndmask_b32_e32 v23, 0, v23, vcc_lo
	v_cmp_eq_u32_e32 vcc_lo, 0, v27
	s_delay_alu instid0(VALU_DEP_2) | instskip(SKIP_1) | instid1(VALU_DEP_2)
	v_cndmask_b32_e64 v28, v23, 0x78, vcc_lo
	v_cndmask_b32_e32 v5, v25, v5, vcc_lo
	v_add_nc_u32_e32 v23, 20, v28
	v_add_nc_u32_e32 v25, 19, v28
	s_delay_alu instid0(VALU_DEP_2) | instskip(NEXT) | instid1(VALU_DEP_2)
	v_lshlrev_b64 v[23:24], v23, -1
	v_lshlrev_b64 v[25:26], v25, 1
	s_delay_alu instid0(VALU_DEP_2) | instskip(NEXT) | instid1(VALU_DEP_3)
	v_not_b32_e32 v24, v24
	v_not_b32_e32 v23, v23
	s_delay_alu instid0(VALU_DEP_2) | instskip(NEXT) | instid1(VALU_DEP_2)
	v_and_b32_e32 v30, 0, v24
	v_and_b32_e32 v29, v5, v23
	v_lshrrev_b64 v[23:24], v28, v[5:6]
	s_delay_alu instid0(VALU_DEP_2) | instskip(NEXT) | instid1(VALU_DEP_2)
	v_cmp_eq_u64_e64 s3, v[29:30], v[25:26]
	v_dual_mov_b32 v26, v24 :: v_dual_mov_b32 v25, v23
	s_delay_alu instid0(VALU_DEP_2)
	s_and_saveexec_b32 s56, s3
; %bb.119:                              ;   in Loop: Header=BB10_115 Depth=2
	v_bfe_u32 v5, v23, 20, 1
	s_delay_alu instid0(VALU_DEP_1) | instskip(NEXT) | instid1(VALU_DEP_1)
	v_add_co_u32 v5, s3, v23, v5
	v_add_co_u32 v25, s3, v5, -1
; %bb.120:                              ;   in Loop: Header=BB10_115 Depth=2
	s_or_b32 exec_lo, exec_lo, s56
	v_add_nc_u32_e32 v5, 0xffffff81, v27
	v_lshrrev_b32_e32 v26, 23, v23
	s_mov_b32 s3, exec_lo
	s_delay_alu instid0(VALU_DEP_2) | instskip(NEXT) | instid1(VALU_DEP_1)
	v_cndmask_b32_e64 v5, v5, 0xffffff82, vcc_lo
	v_add3_u32 v26, v28, v5, v26
	v_and_b32_e32 v5, 0xfffff, v25
	s_delay_alu instid0(VALU_DEP_2) | instskip(NEXT) | instid1(VALU_DEP_2)
	v_add_nc_u32_e32 v25, 6, v26
	v_add_co_u32 v23, vcc_lo, v5, v23
	v_add_co_ci_u32_e32 v24, vcc_lo, 0, v24, vcc_lo
                                        ; implicit-def: $vgpr5
	s_delay_alu instid0(VALU_DEP_3)
	v_cmpx_ne_u32_e32 0, v25
	s_xor_b32 s3, exec_lo, s3
; %bb.121:                              ;   in Loop: Header=BB10_115 Depth=2
	s_delay_alu instid0(VALU_DEP_2) | instskip(SKIP_1) | instid1(VALU_DEP_1)
	v_cmp_lt_u64_e32 vcc_lo, 0xffffff, v[23:24]
	v_add_nc_u32_e32 v5, 7, v26
	v_cndmask_b32_e32 v5, v25, v5, vcc_lo
	v_cndmask_b32_e64 v25, 0, 1, vcc_lo
	s_delay_alu instid0(VALU_DEP_1)
	v_lshrrev_b64 v[23:24], v25, v[23:24]
; %bb.122:                              ;   in Loop: Header=BB10_115 Depth=2
	s_and_not1_saveexec_b32 s3, s3
; %bb.123:                              ;   in Loop: Header=BB10_115 Depth=2
	s_delay_alu instid0(VALU_DEP_1)
	v_bfe_u32 v5, v23, 23, 1
; %bb.124:                              ;   in Loop: Header=BB10_115 Depth=2
	s_or_b32 exec_lo, exec_lo, s3
	s_delay_alu instid0(VALU_DEP_2) | instskip(NEXT) | instid1(VALU_DEP_2)
	v_lshrrev_b64 v[23:24], 20, v[23:24]
	v_cmp_gt_i32_e32 vcc_lo, 16, v5
	v_min_i32_e32 v25, 15, v5
	v_cmp_eq_u32_e64 s3, 0, v5
	s_delay_alu instid0(VALU_DEP_4) | instskip(NEXT) | instid1(VALU_DEP_3)
	v_dual_cndmask_b32 v24, 0, v24 :: v_dual_cndmask_b32 v23, 7, v23
	v_lshlrev_b32_e32 v25, 3, v25
	s_delay_alu instid0(VALU_DEP_2) | instskip(NEXT) | instid1(VALU_DEP_2)
	v_cmp_eq_u64_e32 vcc_lo, 0, v[23:24]
	v_and_or_b32 v5, v23, 7, v25
	s_and_b32 s3, s3, vcc_lo
	s_delay_alu instid0(VALU_DEP_1) | instid1(SALU_CYCLE_1)
	v_cndmask_b32_e64 v5, v5, 0, s3
	s_delay_alu instid0(VALU_DEP_1)
	v_or_b32_e32 v25, v5, v1
.LBB10_125:                             ;   in Loop: Header=BB10_115 Depth=2
	s_or_b32 exec_lo, exec_lo, s55
.LBB10_126:                             ;   in Loop: Header=BB10_115 Depth=2
	s_delay_alu instid0(SALU_CYCLE_1)
	s_or_b32 exec_lo, exec_lo, s54
                                        ; implicit-def: $vgpr24
.LBB10_127:                             ;   in Loop: Header=BB10_115 Depth=2
	s_and_not1_saveexec_b32 s3, s53
; %bb.128:                              ;   in Loop: Header=BB10_115 Depth=2
	v_cmp_eq_u64_e32 vcc_lo, 0, v[5:6]
	v_or_b32_e32 v1, 0x7f, v24
	s_delay_alu instid0(VALU_DEP_1)
	v_cndmask_b32_e32 v25, v1, v25, vcc_lo
; %bb.129:                              ;   in Loop: Header=BB10_115 Depth=2
	s_or_b32 exec_lo, exec_lo, s3
	v_div_scale_f32 v1, null, v47, v47, v2
	s_mov_b32 s3, exec_lo
	s_delay_alu instid0(VALU_DEP_1) | instskip(SKIP_2) | instid1(VALU_DEP_1)
	v_rcp_f32_e32 v5, v1
	s_waitcnt_depctr 0xfff
	v_fma_f32 v23, -v1, v5, 1.0
	v_fmac_f32_e32 v5, v23, v5
	v_div_scale_f32 v23, vcc_lo, v2, v47, v2
	s_delay_alu instid0(VALU_DEP_1) | instskip(NEXT) | instid1(VALU_DEP_1)
	v_mul_f32_e32 v24, v23, v5
	v_fma_f32 v26, -v1, v24, v23
	s_delay_alu instid0(VALU_DEP_1) | instskip(NEXT) | instid1(VALU_DEP_1)
	v_fmac_f32_e32 v24, v26, v5
	v_fma_f32 v1, -v1, v24, v23
	s_delay_alu instid0(VALU_DEP_1) | instskip(SKIP_1) | instid1(VALU_DEP_2)
	v_div_fmas_f32 v1, v1, v5, v24
	v_mov_b32_e32 v24, v6
	v_div_fixup_f32 v1, v1, v47, v2
	s_delay_alu instid0(VALU_DEP_1) | instskip(SKIP_2) | instid1(VALU_DEP_3)
	v_lshrrev_b32_e32 v2, 24, v1
	v_and_b32_e32 v23, 0x7f800000, v1
	v_and_b32_e32 v5, 0x7fffff, v1
	;; [unrolled: 1-line block ×3, first 2 shown]
	s_delay_alu instid0(VALU_DEP_1) | instskip(NEXT) | instid1(VALU_DEP_4)
	v_or_b32_e32 v26, 0x7e, v27
	v_cmpx_ne_u64_e32 0x7f800000, v[23:24]
	s_xor_b32 s53, exec_lo, s3
	s_cbranch_execz .LBB10_141
; %bb.130:                              ;   in Loop: Header=BB10_115 Depth=2
	v_dual_mov_b32 v24, v6 :: v_dual_and_b32 v23, 0x7fffffff, v1
	s_mov_b32 s54, exec_lo
	s_delay_alu instid0(VALU_DEP_1)
	v_cmpx_gt_u64_e32 0x43e00001, v[23:24]
	s_cbranch_execz .LBB10_140
; %bb.131:                              ;   in Loop: Header=BB10_115 Depth=2
	v_mov_b32_e32 v26, 0
	s_mov_b32 s55, exec_lo
	v_cmpx_ne_u32_e32 0, v1
	s_cbranch_execz .LBB10_139
; %bb.132:                              ;   in Loop: Header=BB10_115 Depth=2
	v_bfe_u32 v26, v1, 23, 8
	v_or_b32_e32 v23, 0x800000, v5
	s_delay_alu instid0(VALU_DEP_2) | instskip(SKIP_1) | instid1(VALU_DEP_2)
	v_sub_nc_u32_e32 v1, 0x79, v26
	v_cmp_gt_u32_e32 vcc_lo, 0x7a, v26
	v_cndmask_b32_e32 v1, 0, v1, vcc_lo
	v_cmp_eq_u32_e32 vcc_lo, 0, v26
	s_delay_alu instid0(VALU_DEP_2) | instskip(SKIP_1) | instid1(VALU_DEP_2)
	v_cndmask_b32_e64 v28, v1, 0x78, vcc_lo
	v_cndmask_b32_e32 v5, v23, v5, vcc_lo
	v_add_nc_u32_e32 v1, 20, v28
	v_add_nc_u32_e32 v23, 19, v28
	s_delay_alu instid0(VALU_DEP_2) | instskip(NEXT) | instid1(VALU_DEP_2)
	v_lshlrev_b64 v[1:2], v1, -1
	v_lshlrev_b64 v[23:24], v23, 1
	s_delay_alu instid0(VALU_DEP_2) | instskip(NEXT) | instid1(VALU_DEP_3)
	v_not_b32_e32 v2, v2
	v_not_b32_e32 v1, v1
	s_delay_alu instid0(VALU_DEP_2) | instskip(NEXT) | instid1(VALU_DEP_2)
	v_and_b32_e32 v30, 0, v2
	v_and_b32_e32 v29, v5, v1
	v_lshrrev_b64 v[1:2], v28, v[5:6]
	s_delay_alu instid0(VALU_DEP_2) | instskip(NEXT) | instid1(VALU_DEP_2)
	v_cmp_eq_u64_e64 s3, v[29:30], v[23:24]
	v_dual_mov_b32 v24, v2 :: v_dual_mov_b32 v23, v1
	s_delay_alu instid0(VALU_DEP_2)
	s_and_saveexec_b32 s56, s3
; %bb.133:                              ;   in Loop: Header=BB10_115 Depth=2
	v_bfe_u32 v5, v1, 20, 1
	s_delay_alu instid0(VALU_DEP_1) | instskip(NEXT) | instid1(VALU_DEP_1)
	v_add_co_u32 v5, s3, v1, v5
	v_add_co_u32 v23, s3, v5, -1
; %bb.134:                              ;   in Loop: Header=BB10_115 Depth=2
	s_or_b32 exec_lo, exec_lo, s56
	v_add_nc_u32_e32 v5, 0xffffff81, v26
	v_lshrrev_b32_e32 v24, 23, v1
	s_mov_b32 s3, exec_lo
	s_delay_alu instid0(VALU_DEP_2) | instskip(NEXT) | instid1(VALU_DEP_1)
	v_cndmask_b32_e64 v5, v5, 0xffffff82, vcc_lo
	v_add3_u32 v24, v28, v5, v24
	v_and_b32_e32 v5, 0xfffff, v23
	s_delay_alu instid0(VALU_DEP_2) | instskip(NEXT) | instid1(VALU_DEP_2)
	v_add_nc_u32_e32 v23, 6, v24
	v_add_co_u32 v1, vcc_lo, v5, v1
	v_add_co_ci_u32_e32 v2, vcc_lo, 0, v2, vcc_lo
                                        ; implicit-def: $vgpr5
	s_delay_alu instid0(VALU_DEP_3)
	v_cmpx_ne_u32_e32 0, v23
	s_xor_b32 s3, exec_lo, s3
; %bb.135:                              ;   in Loop: Header=BB10_115 Depth=2
	s_delay_alu instid0(VALU_DEP_2) | instskip(SKIP_1) | instid1(VALU_DEP_1)
	v_cmp_lt_u64_e32 vcc_lo, 0xffffff, v[1:2]
	v_add_nc_u32_e32 v5, 7, v24
	v_cndmask_b32_e32 v5, v23, v5, vcc_lo
	v_cndmask_b32_e64 v23, 0, 1, vcc_lo
	s_delay_alu instid0(VALU_DEP_1)
	v_lshrrev_b64 v[1:2], v23, v[1:2]
; %bb.136:                              ;   in Loop: Header=BB10_115 Depth=2
	s_and_not1_saveexec_b32 s3, s3
; %bb.137:                              ;   in Loop: Header=BB10_115 Depth=2
	s_delay_alu instid0(VALU_DEP_1)
	v_bfe_u32 v5, v1, 23, 1
; %bb.138:                              ;   in Loop: Header=BB10_115 Depth=2
	s_or_b32 exec_lo, exec_lo, s3
	s_delay_alu instid0(VALU_DEP_2) | instskip(NEXT) | instid1(VALU_DEP_2)
	v_lshrrev_b64 v[1:2], 20, v[1:2]
	v_cmp_gt_i32_e32 vcc_lo, 16, v5
	v_min_i32_e32 v23, 15, v5
	v_cmp_eq_u32_e64 s3, 0, v5
	s_delay_alu instid0(VALU_DEP_4) | instskip(NEXT) | instid1(VALU_DEP_3)
	v_dual_cndmask_b32 v2, 0, v2 :: v_dual_cndmask_b32 v1, 7, v1
	v_lshlrev_b32_e32 v23, 3, v23
	s_delay_alu instid0(VALU_DEP_2) | instskip(NEXT) | instid1(VALU_DEP_2)
	v_cmp_eq_u64_e32 vcc_lo, 0, v[1:2]
	v_and_or_b32 v1, v1, 7, v23
	s_and_b32 s3, s3, vcc_lo
	s_delay_alu instid0(VALU_DEP_1) | instid1(SALU_CYCLE_1)
	v_cndmask_b32_e64 v1, v1, 0, s3
	s_delay_alu instid0(VALU_DEP_1)
	v_or_b32_e32 v26, v1, v27
.LBB10_139:                             ;   in Loop: Header=BB10_115 Depth=2
	s_or_b32 exec_lo, exec_lo, s55
.LBB10_140:                             ;   in Loop: Header=BB10_115 Depth=2
	s_delay_alu instid0(SALU_CYCLE_1)
	s_or_b32 exec_lo, exec_lo, s54
                                        ; implicit-def: $vgpr2
.LBB10_141:                             ;   in Loop: Header=BB10_115 Depth=2
	s_and_not1_saveexec_b32 s3, s53
; %bb.142:                              ;   in Loop: Header=BB10_115 Depth=2
	v_cmp_eq_u64_e32 vcc_lo, 0, v[5:6]
	v_or_b32_e32 v1, 0x7f, v2
	s_delay_alu instid0(VALU_DEP_1)
	v_cndmask_b32_e32 v26, v1, v26, vcc_lo
; %bb.143:                              ;   in Loop: Header=BB10_115 Depth=2
	s_or_b32 exec_lo, exec_lo, s3
	v_div_scale_f32 v1, null, v47, v47, v3
	s_delay_alu instid0(VALU_DEP_1) | instskip(SKIP_2) | instid1(VALU_DEP_1)
	v_rcp_f32_e32 v2, v1
	s_waitcnt_depctr 0xfff
	v_fma_f32 v5, -v1, v2, 1.0
	v_fmac_f32_e32 v2, v5, v2
	v_div_scale_f32 v5, vcc_lo, v3, v47, v3
	s_delay_alu instid0(VALU_DEP_1) | instskip(NEXT) | instid1(VALU_DEP_1)
	v_mul_f32_e32 v23, v5, v2
	v_fma_f32 v24, -v1, v23, v5
	s_delay_alu instid0(VALU_DEP_1) | instskip(NEXT) | instid1(VALU_DEP_1)
	v_dual_fmac_f32 v23, v24, v2 :: v_dual_mov_b32 v24, v6
	v_fma_f32 v1, -v1, v23, v5
	s_delay_alu instid0(VALU_DEP_1) | instskip(NEXT) | instid1(VALU_DEP_1)
	v_div_fmas_f32 v1, v1, v2, v23
	v_div_fixup_f32 v1, v1, v47, v3
	s_delay_alu instid0(VALU_DEP_1) | instskip(SKIP_2) | instid1(VALU_DEP_3)
	v_lshrrev_b32_e32 v2, 24, v1
	v_and_b32_e32 v23, 0x7f800000, v1
	v_and_b32_e32 v5, 0x7fffff, v1
	;; [unrolled: 1-line block ×3, first 2 shown]
	s_delay_alu instid0(VALU_DEP_3) | instskip(NEXT) | instid1(VALU_DEP_2)
	v_cmp_ne_u64_e32 vcc_lo, 0x7f800000, v[23:24]
	v_or_b32_e32 v23, 0x7e, v3
	s_and_saveexec_b32 s3, vcc_lo
	s_delay_alu instid0(SALU_CYCLE_1)
	s_xor_b32 s53, exec_lo, s3
	s_cbranch_execz .LBB10_155
; %bb.144:                              ;   in Loop: Header=BB10_115 Depth=2
	v_dual_mov_b32 v28, v6 :: v_dual_and_b32 v27, 0x7fffffff, v1
	s_mov_b32 s54, exec_lo
	s_delay_alu instid0(VALU_DEP_1)
	v_cmpx_gt_u64_e32 0x43e00001, v[27:28]
	s_cbranch_execz .LBB10_154
; %bb.145:                              ;   in Loop: Header=BB10_115 Depth=2
	v_mov_b32_e32 v23, 0
	s_mov_b32 s55, exec_lo
	v_cmpx_ne_u32_e32 0, v1
	s_cbranch_execz .LBB10_153
; %bb.146:                              ;   in Loop: Header=BB10_115 Depth=2
	v_bfe_u32 v27, v1, 23, 8
	v_or_b32_e32 v23, 0x800000, v5
	s_delay_alu instid0(VALU_DEP_2) | instskip(SKIP_1) | instid1(VALU_DEP_2)
	v_sub_nc_u32_e32 v1, 0x79, v27
	v_cmp_gt_u32_e32 vcc_lo, 0x7a, v27
	v_cndmask_b32_e32 v1, 0, v1, vcc_lo
	v_cmp_eq_u32_e32 vcc_lo, 0, v27
	s_delay_alu instid0(VALU_DEP_2) | instskip(SKIP_1) | instid1(VALU_DEP_2)
	v_cndmask_b32_e64 v28, v1, 0x78, vcc_lo
	v_cndmask_b32_e32 v5, v23, v5, vcc_lo
	v_add_nc_u32_e32 v1, 20, v28
	v_add_nc_u32_e32 v23, 19, v28
	s_delay_alu instid0(VALU_DEP_2) | instskip(NEXT) | instid1(VALU_DEP_2)
	v_lshlrev_b64 v[1:2], v1, -1
	v_lshlrev_b64 v[23:24], v23, 1
	s_delay_alu instid0(VALU_DEP_2) | instskip(NEXT) | instid1(VALU_DEP_3)
	v_not_b32_e32 v2, v2
	v_not_b32_e32 v1, v1
	s_delay_alu instid0(VALU_DEP_2) | instskip(NEXT) | instid1(VALU_DEP_2)
	v_and_b32_e32 v30, 0, v2
	v_and_b32_e32 v29, v5, v1
	v_lshrrev_b64 v[1:2], v28, v[5:6]
	s_delay_alu instid0(VALU_DEP_2) | instskip(NEXT) | instid1(VALU_DEP_2)
	v_cmp_eq_u64_e64 s3, v[29:30], v[23:24]
	v_dual_mov_b32 v24, v2 :: v_dual_mov_b32 v23, v1
	s_delay_alu instid0(VALU_DEP_2)
	s_and_saveexec_b32 s56, s3
; %bb.147:                              ;   in Loop: Header=BB10_115 Depth=2
	v_bfe_u32 v5, v1, 20, 1
	s_delay_alu instid0(VALU_DEP_1) | instskip(NEXT) | instid1(VALU_DEP_1)
	v_add_co_u32 v5, s3, v1, v5
	v_add_co_u32 v23, s3, v5, -1
; %bb.148:                              ;   in Loop: Header=BB10_115 Depth=2
	s_or_b32 exec_lo, exec_lo, s56
	v_add_nc_u32_e32 v5, 0xffffff81, v27
	v_lshrrev_b32_e32 v24, 23, v1
	s_mov_b32 s3, exec_lo
	s_delay_alu instid0(VALU_DEP_2) | instskip(NEXT) | instid1(VALU_DEP_1)
	v_cndmask_b32_e64 v5, v5, 0xffffff82, vcc_lo
	v_add3_u32 v24, v28, v5, v24
	v_and_b32_e32 v5, 0xfffff, v23
	s_delay_alu instid0(VALU_DEP_2) | instskip(NEXT) | instid1(VALU_DEP_2)
	v_add_nc_u32_e32 v23, 6, v24
	v_add_co_u32 v1, vcc_lo, v5, v1
	v_add_co_ci_u32_e32 v2, vcc_lo, 0, v2, vcc_lo
                                        ; implicit-def: $vgpr5
	s_delay_alu instid0(VALU_DEP_3)
	v_cmpx_ne_u32_e32 0, v23
	s_xor_b32 s3, exec_lo, s3
; %bb.149:                              ;   in Loop: Header=BB10_115 Depth=2
	s_delay_alu instid0(VALU_DEP_2) | instskip(SKIP_1) | instid1(VALU_DEP_1)
	v_cmp_lt_u64_e32 vcc_lo, 0xffffff, v[1:2]
	v_add_nc_u32_e32 v5, 7, v24
	v_cndmask_b32_e32 v5, v23, v5, vcc_lo
	v_cndmask_b32_e64 v23, 0, 1, vcc_lo
	s_delay_alu instid0(VALU_DEP_1)
	v_lshrrev_b64 v[1:2], v23, v[1:2]
; %bb.150:                              ;   in Loop: Header=BB10_115 Depth=2
	s_and_not1_saveexec_b32 s3, s3
; %bb.151:                              ;   in Loop: Header=BB10_115 Depth=2
	s_delay_alu instid0(VALU_DEP_1)
	v_bfe_u32 v5, v1, 23, 1
; %bb.152:                              ;   in Loop: Header=BB10_115 Depth=2
	s_or_b32 exec_lo, exec_lo, s3
	s_delay_alu instid0(VALU_DEP_2) | instskip(NEXT) | instid1(VALU_DEP_2)
	v_lshrrev_b64 v[1:2], 20, v[1:2]
	v_cmp_gt_i32_e32 vcc_lo, 16, v5
	v_min_i32_e32 v23, 15, v5
	v_cmp_eq_u32_e64 s3, 0, v5
	s_delay_alu instid0(VALU_DEP_4) | instskip(NEXT) | instid1(VALU_DEP_3)
	v_dual_cndmask_b32 v2, 0, v2 :: v_dual_cndmask_b32 v1, 7, v1
	v_lshlrev_b32_e32 v23, 3, v23
	s_delay_alu instid0(VALU_DEP_2) | instskip(NEXT) | instid1(VALU_DEP_2)
	v_cmp_eq_u64_e32 vcc_lo, 0, v[1:2]
	v_and_or_b32 v1, v1, 7, v23
	s_and_b32 s3, s3, vcc_lo
	s_delay_alu instid0(VALU_DEP_1) | instid1(SALU_CYCLE_1)
	v_cndmask_b32_e64 v1, v1, 0, s3
	s_delay_alu instid0(VALU_DEP_1)
	v_or_b32_e32 v23, v1, v3
.LBB10_153:                             ;   in Loop: Header=BB10_115 Depth=2
	s_or_b32 exec_lo, exec_lo, s55
.LBB10_154:                             ;   in Loop: Header=BB10_115 Depth=2
	s_delay_alu instid0(SALU_CYCLE_1)
	s_or_b32 exec_lo, exec_lo, s54
                                        ; implicit-def: $vgpr2
.LBB10_155:                             ;   in Loop: Header=BB10_115 Depth=2
	s_and_not1_saveexec_b32 s3, s53
; %bb.156:                              ;   in Loop: Header=BB10_115 Depth=2
	v_cmp_eq_u64_e32 vcc_lo, 0, v[5:6]
	v_or_b32_e32 v1, 0x7f, v2
	s_delay_alu instid0(VALU_DEP_1)
	v_cndmask_b32_e32 v23, v1, v23, vcc_lo
; %bb.157:                              ;   in Loop: Header=BB10_115 Depth=2
	s_or_b32 exec_lo, exec_lo, s3
	v_div_scale_f32 v1, null, v47, v47, v4
	s_mov_b32 s3, exec_lo
	v_mov_b32_e32 v28, v6
	s_delay_alu instid0(VALU_DEP_2) | instskip(SKIP_2) | instid1(VALU_DEP_1)
	v_rcp_f32_e32 v2, v1
	s_waitcnt_depctr 0xfff
	v_fma_f32 v3, -v1, v2, 1.0
	v_fmac_f32_e32 v2, v3, v2
	v_div_scale_f32 v3, vcc_lo, v4, v47, v4
	s_delay_alu instid0(VALU_DEP_1) | instskip(NEXT) | instid1(VALU_DEP_1)
	v_mul_f32_e32 v5, v3, v2
	v_fma_f32 v24, -v1, v5, v3
	s_delay_alu instid0(VALU_DEP_1) | instskip(NEXT) | instid1(VALU_DEP_1)
	v_fmac_f32_e32 v5, v24, v2
	v_fma_f32 v1, -v1, v5, v3
	s_delay_alu instid0(VALU_DEP_1) | instskip(NEXT) | instid1(VALU_DEP_1)
	v_div_fmas_f32 v1, v1, v2, v5
	v_div_fixup_f32 v2, v1, v47, v4
	s_delay_alu instid0(VALU_DEP_1) | instskip(SKIP_2) | instid1(VALU_DEP_3)
	v_lshrrev_b32_e32 v3, 24, v2
	v_and_b32_e32 v27, 0x7f800000, v2
	v_and_b32_e32 v5, 0x7fffff, v2
	;; [unrolled: 1-line block ×3, first 2 shown]
	s_delay_alu instid0(VALU_DEP_1) | instskip(NEXT) | instid1(VALU_DEP_4)
	v_or_b32_e32 v1, 0x7e, v24
	v_cmpx_ne_u64_e32 0x7f800000, v[27:28]
	s_xor_b32 s53, exec_lo, s3
	s_cbranch_execz .LBB10_169
; %bb.158:                              ;   in Loop: Header=BB10_115 Depth=2
	v_dual_mov_b32 v4, v6 :: v_dual_and_b32 v3, 0x7fffffff, v2
	s_mov_b32 s54, exec_lo
	s_delay_alu instid0(VALU_DEP_1)
	v_cmpx_gt_u64_e32 0x43e00001, v[3:4]
	s_cbranch_execz .LBB10_168
; %bb.159:                              ;   in Loop: Header=BB10_115 Depth=2
	v_mov_b32_e32 v1, 0
	s_mov_b32 s55, exec_lo
	v_cmpx_ne_u32_e32 0, v2
	s_cbranch_execz .LBB10_167
; %bb.160:                              ;   in Loop: Header=BB10_115 Depth=2
	v_bfe_u32 v27, v2, 23, 8
	v_or_b32_e32 v3, 0x800000, v5
	s_delay_alu instid0(VALU_DEP_2) | instskip(SKIP_1) | instid1(VALU_DEP_2)
	v_sub_nc_u32_e32 v1, 0x79, v27
	v_cmp_gt_u32_e32 vcc_lo, 0x7a, v27
	v_cndmask_b32_e32 v1, 0, v1, vcc_lo
	v_cmp_eq_u32_e32 vcc_lo, 0, v27
	s_delay_alu instid0(VALU_DEP_2) | instskip(SKIP_1) | instid1(VALU_DEP_2)
	v_cndmask_b32_e64 v28, v1, 0x78, vcc_lo
	v_cndmask_b32_e32 v5, v3, v5, vcc_lo
	v_add_nc_u32_e32 v1, 20, v28
	v_add_nc_u32_e32 v3, 19, v28
	s_delay_alu instid0(VALU_DEP_2) | instskip(NEXT) | instid1(VALU_DEP_2)
	v_lshlrev_b64 v[1:2], v1, -1
	v_lshlrev_b64 v[3:4], v3, 1
	s_delay_alu instid0(VALU_DEP_2) | instskip(NEXT) | instid1(VALU_DEP_3)
	v_not_b32_e32 v2, v2
	v_not_b32_e32 v1, v1
	s_delay_alu instid0(VALU_DEP_2) | instskip(NEXT) | instid1(VALU_DEP_2)
	v_and_b32_e32 v30, 0, v2
	v_and_b32_e32 v29, v5, v1
	v_lshrrev_b64 v[1:2], v28, v[5:6]
	s_delay_alu instid0(VALU_DEP_2) | instskip(NEXT) | instid1(VALU_DEP_2)
	v_cmp_eq_u64_e64 s3, v[29:30], v[3:4]
	v_dual_mov_b32 v4, v2 :: v_dual_mov_b32 v3, v1
	s_delay_alu instid0(VALU_DEP_2)
	s_and_saveexec_b32 s56, s3
; %bb.161:                              ;   in Loop: Header=BB10_115 Depth=2
	v_bfe_u32 v3, v1, 20, 1
	s_delay_alu instid0(VALU_DEP_1) | instskip(NEXT) | instid1(VALU_DEP_1)
	v_add_co_u32 v3, s3, v1, v3
	v_add_co_u32 v3, s3, v3, -1
; %bb.162:                              ;   in Loop: Header=BB10_115 Depth=2
	s_or_b32 exec_lo, exec_lo, s56
	v_add_nc_u32_e32 v4, 0xffffff81, v27
	v_lshrrev_b32_e32 v5, 23, v1
	s_delay_alu instid0(VALU_DEP_3) | instskip(SKIP_1) | instid1(VALU_DEP_3)
	v_and_b32_e32 v3, 0xfffff, v3
	s_mov_b32 s3, exec_lo
	v_cndmask_b32_e64 v4, v4, 0xffffff82, vcc_lo
	s_delay_alu instid0(VALU_DEP_2) | instskip(SKIP_1) | instid1(VALU_DEP_3)
	v_add_co_u32 v1, vcc_lo, v3, v1
	v_add_co_ci_u32_e32 v2, vcc_lo, 0, v2, vcc_lo
	v_add3_u32 v4, v28, v4, v5
                                        ; implicit-def: $vgpr3
	s_delay_alu instid0(VALU_DEP_1) | instskip(NEXT) | instid1(VALU_DEP_1)
	v_add_nc_u32_e32 v5, 6, v4
	v_cmpx_ne_u32_e32 0, v5
	s_xor_b32 s3, exec_lo, s3
; %bb.163:                              ;   in Loop: Header=BB10_115 Depth=2
	v_cmp_lt_u64_e32 vcc_lo, 0xffffff, v[1:2]
	v_add_nc_u32_e32 v3, 7, v4
	v_cndmask_b32_e64 v4, 0, 1, vcc_lo
	s_delay_alu instid0(VALU_DEP_2) | instskip(NEXT) | instid1(VALU_DEP_2)
	v_cndmask_b32_e32 v3, v5, v3, vcc_lo
	v_lshrrev_b64 v[1:2], v4, v[1:2]
; %bb.164:                              ;   in Loop: Header=BB10_115 Depth=2
	s_and_not1_saveexec_b32 s3, s3
; %bb.165:                              ;   in Loop: Header=BB10_115 Depth=2
	s_delay_alu instid0(VALU_DEP_1)
	v_bfe_u32 v3, v1, 23, 1
; %bb.166:                              ;   in Loop: Header=BB10_115 Depth=2
	s_or_b32 exec_lo, exec_lo, s3
	s_delay_alu instid0(VALU_DEP_2) | instskip(NEXT) | instid1(VALU_DEP_2)
	v_lshrrev_b64 v[1:2], 20, v[1:2]
	v_cmp_gt_i32_e32 vcc_lo, 16, v3
	v_min_i32_e32 v4, 15, v3
	v_cmp_eq_u32_e64 s3, 0, v3
	s_delay_alu instid0(VALU_DEP_4) | instskip(NEXT) | instid1(VALU_DEP_3)
	v_dual_cndmask_b32 v2, 0, v2 :: v_dual_cndmask_b32 v1, 7, v1
	v_lshlrev_b32_e32 v4, 3, v4
	s_delay_alu instid0(VALU_DEP_2) | instskip(NEXT) | instid1(VALU_DEP_2)
	v_cmp_eq_u64_e32 vcc_lo, 0, v[1:2]
	v_and_or_b32 v1, v1, 7, v4
	s_and_b32 s3, s3, vcc_lo
	s_delay_alu instid0(VALU_DEP_1) | instid1(SALU_CYCLE_1)
	v_cndmask_b32_e64 v1, v1, 0, s3
	s_delay_alu instid0(VALU_DEP_1)
	v_or_b32_e32 v1, v1, v24
.LBB10_167:                             ;   in Loop: Header=BB10_115 Depth=2
	s_or_b32 exec_lo, exec_lo, s55
.LBB10_168:                             ;   in Loop: Header=BB10_115 Depth=2
	s_delay_alu instid0(SALU_CYCLE_1)
	s_or_b32 exec_lo, exec_lo, s54
                                        ; implicit-def: $vgpr3
.LBB10_169:                             ;   in Loop: Header=BB10_115 Depth=2
	s_and_not1_saveexec_b32 s3, s53
	s_cbranch_execz .LBB10_114
; %bb.170:                              ;   in Loop: Header=BB10_115 Depth=2
	v_cmp_eq_u64_e32 vcc_lo, 0, v[5:6]
	v_or_b32_e32 v2, 0x7f, v3
	s_delay_alu instid0(VALU_DEP_1)
	v_cndmask_b32_e32 v1, v2, v1, vcc_lo
	s_branch .LBB10_114
.LBB10_171:                             ;   in Loop: Header=BB10_9 Depth=1
	s_or_b32 exec_lo, exec_lo, s51
.LBB10_172:                             ;   in Loop: Header=BB10_9 Depth=1
	s_delay_alu instid0(SALU_CYCLE_1) | instskip(SKIP_2) | instid1(VALU_DEP_2)
	s_or_b32 exec_lo, exec_lo, s50
	v_add_co_u32 v1, vcc_lo, s30, v17
	v_add_co_ci_u32_e32 v2, vcc_lo, s37, v18, vcc_lo
	v_and_b32_e32 v5, 15, v1
	s_delay_alu instid0(VALU_DEP_1) | instskip(SKIP_1) | instid1(SALU_CYCLE_1)
	v_cmp_ne_u64_e32 vcc_lo, 0, v[5:6]
	s_or_b32 s3, s49, vcc_lo
	s_and_saveexec_b32 s50, s3
	s_delay_alu instid0(SALU_CYCLE_1)
	s_xor_b32 s50, exec_lo, s50
	s_cbranch_execz .LBB10_274
; %bb.173:                              ;   in Loop: Header=BB10_9 Depth=1
	v_sub_nc_u32_e32 v3, 0, v1
	s_mov_b32 s51, exec_lo
	s_delay_alu instid0(VALU_DEP_1) | instskip(NEXT) | instid1(VALU_DEP_1)
	v_bfe_u32 v3, v3, 2, 2
	v_min_i32_e32 v16, s21, v3
	s_delay_alu instid0(VALU_DEP_1)
	v_cmpx_gt_i32_e64 v16, v32
	s_cbranch_execz .LBB10_193
; %bb.174:                              ;   in Loop: Header=BB10_9 Depth=1
	v_add_co_u32 v1, vcc_lo, v1, v45
	v_add_co_ci_u32_e32 v2, vcc_lo, 0, v2, vcc_lo
	v_mov_b32_e32 v19, v6
	s_mov_b32 s3, exec_lo
	global_load_b32 v1, v[1:2], off
	s_waitcnt vmcnt(0)
	v_div_scale_f32 v2, null, v46, v46, v1
	s_delay_alu instid0(VALU_DEP_1) | instskip(SKIP_2) | instid1(VALU_DEP_1)
	v_rcp_f32_e32 v3, v2
	s_waitcnt_depctr 0xfff
	v_fma_f32 v4, -v2, v3, 1.0
	v_fmac_f32_e32 v3, v4, v3
	v_div_scale_f32 v4, vcc_lo, v1, v46, v1
	s_delay_alu instid0(VALU_DEP_1) | instskip(NEXT) | instid1(VALU_DEP_1)
	v_mul_f32_e32 v5, v4, v3
	v_fma_f32 v17, -v2, v5, v4
	s_delay_alu instid0(VALU_DEP_1) | instskip(NEXT) | instid1(VALU_DEP_1)
	v_fmac_f32_e32 v5, v17, v3
	v_fma_f32 v2, -v2, v5, v4
	s_delay_alu instid0(VALU_DEP_1) | instskip(NEXT) | instid1(VALU_DEP_1)
	v_div_fmas_f32 v2, v2, v3, v5
	v_div_fixup_f32 v1, v2, v46, v1
	s_delay_alu instid0(VALU_DEP_1) | instskip(SKIP_2) | instid1(VALU_DEP_2)
	v_and_b32_e32 v18, 0x7f800000, v1
	v_lshrrev_b32_e32 v3, 24, v1
	v_and_b32_e32 v5, 0x7fffff, v1
	v_and_b32_e32 v17, 0x80, v3
	s_delay_alu instid0(VALU_DEP_1)
	v_or_b32_e32 v2, 0x7e, v17
	v_cmpx_ne_u64_e32 0x7f800000, v[18:19]
	s_xor_b32 s52, exec_lo, s3
	s_cbranch_execz .LBB10_190
; %bb.175:                              ;   in Loop: Header=BB10_9 Depth=1
	v_dual_mov_b32 v4, v6 :: v_dual_and_b32 v3, 0x7fffffff, v1
	s_mov_b32 s3, exec_lo
	s_delay_alu instid0(VALU_DEP_1)
	v_cmpx_gt_u64_e32 0x43e00001, v[3:4]
	s_xor_b32 s53, exec_lo, s3
	s_cbranch_execz .LBB10_189
; %bb.176:                              ;   in Loop: Header=BB10_9 Depth=1
	v_mov_b32_e32 v2, 0
	s_mov_b32 s54, exec_lo
	v_cmpx_ne_u32_e32 0, v1
	s_cbranch_execz .LBB10_188
; %bb.177:                              ;   in Loop: Header=BB10_9 Depth=1
	v_bfe_u32 v18, v1, 23, 8
	v_or_b32_e32 v3, 0x800000, v5
	s_delay_alu instid0(VALU_DEP_2) | instskip(SKIP_1) | instid1(VALU_DEP_2)
	v_sub_nc_u32_e32 v1, 0x79, v18
	v_cmp_gt_u32_e32 vcc_lo, 0x7a, v18
	v_cndmask_b32_e32 v1, 0, v1, vcc_lo
	v_cmp_eq_u32_e32 vcc_lo, 0, v18
	s_delay_alu instid0(VALU_DEP_2) | instskip(SKIP_1) | instid1(VALU_DEP_2)
	v_cndmask_b32_e64 v19, v1, 0x78, vcc_lo
	v_cndmask_b32_e32 v5, v3, v5, vcc_lo
	v_add_nc_u32_e32 v1, 20, v19
	v_add_nc_u32_e32 v3, 19, v19
	s_delay_alu instid0(VALU_DEP_2) | instskip(NEXT) | instid1(VALU_DEP_2)
	v_lshlrev_b64 v[1:2], v1, -1
	v_lshlrev_b64 v[3:4], v3, 1
	s_delay_alu instid0(VALU_DEP_2) | instskip(NEXT) | instid1(VALU_DEP_3)
	v_not_b32_e32 v2, v2
	v_not_b32_e32 v1, v1
	s_delay_alu instid0(VALU_DEP_2) | instskip(NEXT) | instid1(VALU_DEP_2)
	v_and_b32_e32 v21, 0, v2
	v_and_b32_e32 v20, v5, v1
	v_lshrrev_b64 v[1:2], v19, v[5:6]
	s_delay_alu instid0(VALU_DEP_2) | instskip(NEXT) | instid1(VALU_DEP_2)
	v_cmp_eq_u64_e64 s3, v[20:21], v[3:4]
	v_dual_mov_b32 v4, v2 :: v_dual_mov_b32 v3, v1
	s_delay_alu instid0(VALU_DEP_2)
	s_and_saveexec_b32 s55, s3
; %bb.178:                              ;   in Loop: Header=BB10_9 Depth=1
	v_bfe_u32 v3, v1, 20, 1
	s_delay_alu instid0(VALU_DEP_1) | instskip(NEXT) | instid1(VALU_DEP_1)
	v_add_co_u32 v3, s3, v1, v3
	v_add_co_u32 v3, s3, v3, -1
; %bb.179:                              ;   in Loop: Header=BB10_9 Depth=1
	s_or_b32 exec_lo, exec_lo, s55
	v_add_nc_u32_e32 v4, 0xffffff81, v18
	v_lshrrev_b32_e32 v5, 23, v1
	s_delay_alu instid0(VALU_DEP_3) | instskip(SKIP_1) | instid1(VALU_DEP_3)
	v_and_b32_e32 v3, 0xfffff, v3
	s_mov_b32 s3, exec_lo
	v_cndmask_b32_e64 v4, v4, 0xffffff82, vcc_lo
	s_delay_alu instid0(VALU_DEP_2) | instskip(SKIP_1) | instid1(VALU_DEP_3)
	v_add_co_u32 v1, vcc_lo, v3, v1
	v_add_co_ci_u32_e32 v2, vcc_lo, 0, v2, vcc_lo
	v_add3_u32 v4, v19, v4, v5
                                        ; implicit-def: $vgpr3
	s_delay_alu instid0(VALU_DEP_1) | instskip(NEXT) | instid1(VALU_DEP_1)
	v_add_nc_u32_e32 v5, 6, v4
	v_cmpx_ne_u32_e32 0, v5
	s_xor_b32 s3, exec_lo, s3
; %bb.180:                              ;   in Loop: Header=BB10_9 Depth=1
	v_cmp_lt_u64_e32 vcc_lo, 0xffffff, v[1:2]
	v_add_nc_u32_e32 v3, 7, v4
	v_cndmask_b32_e64 v4, 0, 1, vcc_lo
	s_delay_alu instid0(VALU_DEP_2) | instskip(NEXT) | instid1(VALU_DEP_2)
	v_cndmask_b32_e32 v3, v5, v3, vcc_lo
	v_lshrrev_b64 v[1:2], v4, v[1:2]
; %bb.181:                              ;   in Loop: Header=BB10_9 Depth=1
	s_and_not1_saveexec_b32 s3, s3
; %bb.182:                              ;   in Loop: Header=BB10_9 Depth=1
	s_delay_alu instid0(VALU_DEP_1)
	v_bfe_u32 v3, v1, 23, 1
; %bb.183:                              ;   in Loop: Header=BB10_9 Depth=1
	s_or_b32 exec_lo, exec_lo, s3
	s_delay_alu instid0(VALU_DEP_2) | instskip(NEXT) | instid1(VALU_DEP_2)
	v_lshrrev_b64 v[1:2], 20, v[1:2]
	v_cmp_gt_i32_e32 vcc_lo, 16, v3
	v_cmp_ne_u32_e64 s3, 0, v3
	s_delay_alu instid0(VALU_DEP_3) | instskip(NEXT) | instid1(VALU_DEP_1)
	v_dual_cndmask_b32 v2, 0, v2 :: v_dual_cndmask_b32 v1, 7, v1
	v_cmp_ne_u64_e32 vcc_lo, 0, v[1:2]
                                        ; implicit-def: $vgpr2
	s_delay_alu instid0(VALU_DEP_3) | instskip(NEXT) | instid1(SALU_CYCLE_1)
	s_or_b32 s3, s3, vcc_lo
	s_and_saveexec_b32 s55, s3
	s_delay_alu instid0(SALU_CYCLE_1)
	s_xor_b32 s3, exec_lo, s55
; %bb.184:                              ;   in Loop: Header=BB10_9 Depth=1
	v_min_i32_e32 v2, 15, v3
	s_delay_alu instid0(VALU_DEP_1) | instskip(NEXT) | instid1(VALU_DEP_1)
	v_lshl_or_b32 v2, v2, 3, v17
                                        ; implicit-def: $vgpr17
	v_and_or_b32 v2, v1, 7, v2
; %bb.185:                              ;   in Loop: Header=BB10_9 Depth=1
	s_and_not1_saveexec_b32 s3, s3
; %bb.186:                              ;   in Loop: Header=BB10_9 Depth=1
	v_mov_b32_e32 v2, v17
; %bb.187:                              ;   in Loop: Header=BB10_9 Depth=1
	s_or_b32 exec_lo, exec_lo, s3
.LBB10_188:                             ;   in Loop: Header=BB10_9 Depth=1
	s_delay_alu instid0(SALU_CYCLE_1)
	s_or_b32 exec_lo, exec_lo, s54
.LBB10_189:                             ;   in Loop: Header=BB10_9 Depth=1
	s_and_not1_saveexec_b32 s3, s53
	s_delay_alu instid0(SALU_CYCLE_1)
	s_or_b32 exec_lo, exec_lo, s3
                                        ; implicit-def: $vgpr3
.LBB10_190:                             ;   in Loop: Header=BB10_9 Depth=1
	s_and_not1_saveexec_b32 s3, s52
; %bb.191:                              ;   in Loop: Header=BB10_9 Depth=1
	v_cmp_eq_u64_e32 vcc_lo, 0, v[5:6]
	v_or_b32_e32 v1, 0x7f, v3
	s_delay_alu instid0(VALU_DEP_1)
	v_cndmask_b32_e32 v2, v1, v2, vcc_lo
; %bb.192:                              ;   in Loop: Header=BB10_9 Depth=1
	s_or_b32 exec_lo, exec_lo, s3
	v_add_co_u32 v1, vcc_lo, s28, v15
	v_add_co_ci_u32_e32 v4, vcc_lo, s29, v8, vcc_lo
	s_delay_alu instid0(VALU_DEP_2) | instskip(NEXT) | instid1(VALU_DEP_2)
	v_add_co_u32 v3, vcc_lo, v1, v32
	v_add_co_ci_u32_e32 v4, vcc_lo, 0, v4, vcc_lo
	global_store_b8 v[3:4], v2, off
.LBB10_193:                             ;   in Loop: Header=BB10_9 Depth=1
	s_or_b32 exec_lo, exec_lo, s51
	v_sub_nc_u32_e32 v8, s21, v16
	v_ashrrev_i32_e32 v17, 31, v16
	s_mov_b32 s51, exec_lo
	s_delay_alu instid0(VALU_DEP_2) | instskip(NEXT) | instid1(VALU_DEP_2)
	v_ashrrev_i32_e32 v1, 31, v8
	v_lshlrev_b64 v[18:19], 2, v[16:17]
	s_delay_alu instid0(VALU_DEP_2) | instskip(NEXT) | instid1(VALU_DEP_1)
	v_lshrrev_b32_e32 v1, 30, v1
	v_add_nc_u32_e32 v1, v8, v1
	s_delay_alu instid0(VALU_DEP_1) | instskip(NEXT) | instid1(VALU_DEP_1)
	v_ashrrev_i32_e32 v15, 2, v1
	v_cmpx_gt_i32_e64 v15, v32
	s_cbranch_execz .LBB10_252
; %bb.194:                              ;   in Loop: Header=BB10_9 Depth=1
	v_add_co_u32 v1, vcc_lo, v18, v13
	v_add_co_ci_u32_e32 v2, vcc_lo, v19, v14, vcc_lo
	v_add_co_u32 v20, vcc_lo, v11, v16
	v_add_co_ci_u32_e32 v21, vcc_lo, v12, v17, vcc_lo
	s_delay_alu instid0(VALU_DEP_4) | instskip(NEXT) | instid1(VALU_DEP_4)
	v_add_co_u32 v22, vcc_lo, v35, v1
	v_add_co_ci_u32_e32 v23, vcc_lo, v36, v2, vcc_lo
	v_mov_b32_e32 v28, v32
	s_mov_b32 s52, 0
	s_branch .LBB10_196
.LBB10_195:                             ;   in Loop: Header=BB10_196 Depth=2
	s_or_b32 exec_lo, exec_lo, s3
	v_lshlrev_b32_e32 v2, 16, v24
	v_lshlrev_b32_e32 v3, 8, v27
	v_and_b32_e32 v4, 0xff, v26
	v_add_nc_u32_e32 v28, 32, v28
	s_delay_alu instid0(VALU_DEP_4) | instskip(NEXT) | instid1(VALU_DEP_4)
	v_perm_b32 v1, v1, v2, 0x4020c0c
	v_and_b32_e32 v2, 0xff00, v3
	s_delay_alu instid0(VALU_DEP_3) | instskip(NEXT) | instid1(VALU_DEP_2)
	v_cmp_ge_i32_e32 vcc_lo, v28, v15
	v_or3_b32 v1, v1, v2, v4
	s_or_b32 s52, vcc_lo, s52
	global_store_b32 v[20:21], v1, off
	v_add_co_u32 v20, s3, 0x80, v20
	s_delay_alu instid0(VALU_DEP_1) | instskip(SKIP_1) | instid1(VALU_DEP_1)
	v_add_co_ci_u32_e64 v21, s3, 0, v21, s3
	v_add_co_u32 v22, s3, 0x200, v22
	v_add_co_ci_u32_e64 v23, s3, 0, v23, s3
	s_and_not1_b32 exec_lo, exec_lo, s52
	s_cbranch_execz .LBB10_252
.LBB10_196:                             ;   Parent Loop BB10_9 Depth=1
                                        ; =>  This Inner Loop Header: Depth=2
	global_load_b128 v[1:4], v[22:23], off
	s_waitcnt vmcnt(0)
	v_div_scale_f32 v5, null, v46, v46, v1
	s_delay_alu instid0(VALU_DEP_1) | instskip(SKIP_2) | instid1(VALU_DEP_1)
	v_rcp_f32_e32 v24, v5
	s_waitcnt_depctr 0xfff
	v_fma_f32 v25, -v5, v24, 1.0
	v_fmac_f32_e32 v24, v25, v24
	v_div_scale_f32 v25, vcc_lo, v1, v46, v1
	s_delay_alu instid0(VALU_DEP_1) | instskip(NEXT) | instid1(VALU_DEP_1)
	v_mul_f32_e32 v26, v25, v24
	v_fma_f32 v27, -v5, v26, v25
	s_delay_alu instid0(VALU_DEP_1) | instskip(NEXT) | instid1(VALU_DEP_1)
	v_dual_fmac_f32 v26, v27, v24 :: v_dual_mov_b32 v27, v6
	v_fma_f32 v5, -v5, v26, v25
	s_delay_alu instid0(VALU_DEP_1) | instskip(NEXT) | instid1(VALU_DEP_1)
	v_div_fmas_f32 v5, v5, v24, v26
	v_div_fixup_f32 v24, v5, v46, v1
	s_delay_alu instid0(VALU_DEP_1) | instskip(SKIP_2) | instid1(VALU_DEP_3)
	v_lshrrev_b32_e32 v25, 24, v24
	v_and_b32_e32 v26, 0x7f800000, v24
	v_and_b32_e32 v5, 0x7fffff, v24
	;; [unrolled: 1-line block ×3, first 2 shown]
	s_delay_alu instid0(VALU_DEP_3) | instskip(NEXT) | instid1(VALU_DEP_2)
	v_cmp_ne_u64_e32 vcc_lo, 0x7f800000, v[26:27]
	v_or_b32_e32 v26, 0x7e, v1
	s_and_saveexec_b32 s3, vcc_lo
	s_delay_alu instid0(SALU_CYCLE_1)
	s_xor_b32 s53, exec_lo, s3
	s_cbranch_execz .LBB10_208
; %bb.197:                              ;   in Loop: Header=BB10_196 Depth=2
	v_dual_mov_b32 v30, v6 :: v_dual_and_b32 v29, 0x7fffffff, v24
	s_mov_b32 s54, exec_lo
	s_delay_alu instid0(VALU_DEP_1)
	v_cmpx_gt_u64_e32 0x43e00001, v[29:30]
	s_cbranch_execz .LBB10_207
; %bb.198:                              ;   in Loop: Header=BB10_196 Depth=2
	v_mov_b32_e32 v26, 0
	s_mov_b32 s55, exec_lo
	v_cmpx_ne_u32_e32 0, v24
	s_cbranch_execz .LBB10_206
; %bb.199:                              ;   in Loop: Header=BB10_196 Depth=2
	v_bfe_u32 v29, v24, 23, 8
	v_or_b32_e32 v26, 0x800000, v5
	s_delay_alu instid0(VALU_DEP_2) | instskip(SKIP_1) | instid1(VALU_DEP_2)
	v_sub_nc_u32_e32 v24, 0x79, v29
	v_cmp_gt_u32_e32 vcc_lo, 0x7a, v29
	v_cndmask_b32_e32 v24, 0, v24, vcc_lo
	v_cmp_eq_u32_e32 vcc_lo, 0, v29
	v_cndmask_b32_e32 v5, v26, v5, vcc_lo
	s_delay_alu instid0(VALU_DEP_3) | instskip(NEXT) | instid1(VALU_DEP_1)
	v_cndmask_b32_e64 v30, v24, 0x78, vcc_lo
	v_add_nc_u32_e32 v24, 20, v30
	v_add_nc_u32_e32 v26, 19, v30
	s_delay_alu instid0(VALU_DEP_2) | instskip(NEXT) | instid1(VALU_DEP_2)
	v_lshlrev_b64 v[24:25], v24, -1
	v_lshlrev_b64 v[26:27], v26, 1
	s_delay_alu instid0(VALU_DEP_2) | instskip(NEXT) | instid1(VALU_DEP_3)
	v_not_b32_e32 v25, v25
	v_not_b32_e32 v24, v24
	s_delay_alu instid0(VALU_DEP_2) | instskip(NEXT) | instid1(VALU_DEP_2)
	v_and_b32_e32 v48, 0, v25
	v_and_b32_e32 v47, v5, v24
	v_lshrrev_b64 v[24:25], v30, v[5:6]
	s_delay_alu instid0(VALU_DEP_2) | instskip(NEXT) | instid1(VALU_DEP_2)
	v_cmp_eq_u64_e64 s3, v[47:48], v[26:27]
	v_dual_mov_b32 v27, v25 :: v_dual_mov_b32 v26, v24
	s_delay_alu instid0(VALU_DEP_2)
	s_and_saveexec_b32 s56, s3
; %bb.200:                              ;   in Loop: Header=BB10_196 Depth=2
	v_bfe_u32 v5, v24, 20, 1
	s_delay_alu instid0(VALU_DEP_1) | instskip(NEXT) | instid1(VALU_DEP_1)
	v_add_co_u32 v5, s3, v24, v5
	v_add_co_u32 v26, s3, v5, -1
; %bb.201:                              ;   in Loop: Header=BB10_196 Depth=2
	s_or_b32 exec_lo, exec_lo, s56
	v_add_nc_u32_e32 v5, 0xffffff81, v29
	v_lshrrev_b32_e32 v27, 23, v24
	s_mov_b32 s3, exec_lo
	s_delay_alu instid0(VALU_DEP_2) | instskip(NEXT) | instid1(VALU_DEP_1)
	v_cndmask_b32_e64 v5, v5, 0xffffff82, vcc_lo
	v_add3_u32 v27, v30, v5, v27
	v_and_b32_e32 v5, 0xfffff, v26
	s_delay_alu instid0(VALU_DEP_2) | instskip(NEXT) | instid1(VALU_DEP_2)
	v_add_nc_u32_e32 v26, 6, v27
	v_add_co_u32 v24, vcc_lo, v5, v24
	v_add_co_ci_u32_e32 v25, vcc_lo, 0, v25, vcc_lo
                                        ; implicit-def: $vgpr5
	s_delay_alu instid0(VALU_DEP_3)
	v_cmpx_ne_u32_e32 0, v26
	s_xor_b32 s3, exec_lo, s3
; %bb.202:                              ;   in Loop: Header=BB10_196 Depth=2
	s_delay_alu instid0(VALU_DEP_2) | instskip(SKIP_1) | instid1(VALU_DEP_1)
	v_cmp_lt_u64_e32 vcc_lo, 0xffffff, v[24:25]
	v_add_nc_u32_e32 v5, 7, v27
	v_cndmask_b32_e32 v5, v26, v5, vcc_lo
	v_cndmask_b32_e64 v26, 0, 1, vcc_lo
	s_delay_alu instid0(VALU_DEP_1)
	v_lshrrev_b64 v[24:25], v26, v[24:25]
; %bb.203:                              ;   in Loop: Header=BB10_196 Depth=2
	s_and_not1_saveexec_b32 s3, s3
; %bb.204:                              ;   in Loop: Header=BB10_196 Depth=2
	s_delay_alu instid0(VALU_DEP_1)
	v_bfe_u32 v5, v24, 23, 1
; %bb.205:                              ;   in Loop: Header=BB10_196 Depth=2
	s_or_b32 exec_lo, exec_lo, s3
	s_delay_alu instid0(VALU_DEP_2) | instskip(NEXT) | instid1(VALU_DEP_2)
	v_lshrrev_b64 v[24:25], 20, v[24:25]
	v_cmp_gt_i32_e32 vcc_lo, 16, v5
	v_min_i32_e32 v26, 15, v5
	v_cmp_eq_u32_e64 s3, 0, v5
	s_delay_alu instid0(VALU_DEP_4) | instskip(NEXT) | instid1(VALU_DEP_3)
	v_dual_cndmask_b32 v25, 0, v25 :: v_dual_cndmask_b32 v24, 7, v24
	v_lshlrev_b32_e32 v26, 3, v26
	s_delay_alu instid0(VALU_DEP_2) | instskip(NEXT) | instid1(VALU_DEP_2)
	v_cmp_eq_u64_e32 vcc_lo, 0, v[24:25]
	v_and_or_b32 v5, v24, 7, v26
	s_and_b32 s3, s3, vcc_lo
	s_delay_alu instid0(VALU_DEP_1) | instid1(SALU_CYCLE_1)
	v_cndmask_b32_e64 v5, v5, 0, s3
	s_delay_alu instid0(VALU_DEP_1)
	v_or_b32_e32 v26, v5, v1
.LBB10_206:                             ;   in Loop: Header=BB10_196 Depth=2
	s_or_b32 exec_lo, exec_lo, s55
.LBB10_207:                             ;   in Loop: Header=BB10_196 Depth=2
	s_delay_alu instid0(SALU_CYCLE_1)
	s_or_b32 exec_lo, exec_lo, s54
                                        ; implicit-def: $vgpr25
.LBB10_208:                             ;   in Loop: Header=BB10_196 Depth=2
	s_and_not1_saveexec_b32 s3, s53
; %bb.209:                              ;   in Loop: Header=BB10_196 Depth=2
	v_cmp_eq_u64_e32 vcc_lo, 0, v[5:6]
	v_or_b32_e32 v1, 0x7f, v25
	s_delay_alu instid0(VALU_DEP_1)
	v_cndmask_b32_e32 v26, v1, v26, vcc_lo
; %bb.210:                              ;   in Loop: Header=BB10_196 Depth=2
	s_or_b32 exec_lo, exec_lo, s3
	v_div_scale_f32 v1, null, v46, v46, v2
	s_mov_b32 s3, exec_lo
	s_delay_alu instid0(VALU_DEP_1) | instskip(SKIP_2) | instid1(VALU_DEP_1)
	v_rcp_f32_e32 v5, v1
	s_waitcnt_depctr 0xfff
	v_fma_f32 v24, -v1, v5, 1.0
	v_fmac_f32_e32 v5, v24, v5
	v_div_scale_f32 v24, vcc_lo, v2, v46, v2
	s_delay_alu instid0(VALU_DEP_1) | instskip(NEXT) | instid1(VALU_DEP_1)
	v_mul_f32_e32 v25, v24, v5
	v_fma_f32 v27, -v1, v25, v24
	s_delay_alu instid0(VALU_DEP_1) | instskip(NEXT) | instid1(VALU_DEP_1)
	v_fmac_f32_e32 v25, v27, v5
	v_fma_f32 v1, -v1, v25, v24
	s_delay_alu instid0(VALU_DEP_1) | instskip(SKIP_1) | instid1(VALU_DEP_2)
	v_div_fmas_f32 v1, v1, v5, v25
	v_mov_b32_e32 v25, v6
	v_div_fixup_f32 v1, v1, v46, v2
	s_delay_alu instid0(VALU_DEP_1) | instskip(SKIP_2) | instid1(VALU_DEP_3)
	v_lshrrev_b32_e32 v2, 24, v1
	v_and_b32_e32 v24, 0x7f800000, v1
	v_and_b32_e32 v5, 0x7fffff, v1
	;; [unrolled: 1-line block ×3, first 2 shown]
	s_delay_alu instid0(VALU_DEP_1) | instskip(NEXT) | instid1(VALU_DEP_4)
	v_or_b32_e32 v27, 0x7e, v29
	v_cmpx_ne_u64_e32 0x7f800000, v[24:25]
	s_xor_b32 s53, exec_lo, s3
	s_cbranch_execz .LBB10_222
; %bb.211:                              ;   in Loop: Header=BB10_196 Depth=2
	v_dual_mov_b32 v25, v6 :: v_dual_and_b32 v24, 0x7fffffff, v1
	s_mov_b32 s54, exec_lo
	s_delay_alu instid0(VALU_DEP_1)
	v_cmpx_gt_u64_e32 0x43e00001, v[24:25]
	s_cbranch_execz .LBB10_221
; %bb.212:                              ;   in Loop: Header=BB10_196 Depth=2
	v_mov_b32_e32 v27, 0
	s_mov_b32 s55, exec_lo
	v_cmpx_ne_u32_e32 0, v1
	s_cbranch_execz .LBB10_220
; %bb.213:                              ;   in Loop: Header=BB10_196 Depth=2
	v_bfe_u32 v27, v1, 23, 8
	v_or_b32_e32 v24, 0x800000, v5
	s_delay_alu instid0(VALU_DEP_2) | instskip(SKIP_1) | instid1(VALU_DEP_2)
	v_sub_nc_u32_e32 v1, 0x79, v27
	v_cmp_gt_u32_e32 vcc_lo, 0x7a, v27
	v_cndmask_b32_e32 v1, 0, v1, vcc_lo
	v_cmp_eq_u32_e32 vcc_lo, 0, v27
	s_delay_alu instid0(VALU_DEP_2) | instskip(NEXT) | instid1(VALU_DEP_1)
	v_cndmask_b32_e64 v30, v1, 0x78, vcc_lo
	v_add_nc_u32_e32 v1, 20, v30
	s_delay_alu instid0(VALU_DEP_1) | instskip(NEXT) | instid1(VALU_DEP_1)
	v_lshlrev_b64 v[1:2], v1, -1
	v_not_b32_e32 v2, v2
	v_dual_cndmask_b32 v5, v24, v5 :: v_dual_add_nc_u32 v24, 19, v30
	s_delay_alu instid0(VALU_DEP_3) | instskip(NEXT) | instid1(VALU_DEP_3)
	v_not_b32_e32 v1, v1
	v_and_b32_e32 v48, 0, v2
	s_delay_alu instid0(VALU_DEP_3) | instskip(NEXT) | instid1(VALU_DEP_3)
	v_lshlrev_b64 v[24:25], v24, 1
	v_and_b32_e32 v47, v5, v1
	v_lshrrev_b64 v[1:2], v30, v[5:6]
	s_delay_alu instid0(VALU_DEP_2) | instskip(NEXT) | instid1(VALU_DEP_2)
	v_cmp_eq_u64_e64 s3, v[47:48], v[24:25]
	v_dual_mov_b32 v25, v2 :: v_dual_mov_b32 v24, v1
	s_delay_alu instid0(VALU_DEP_2)
	s_and_saveexec_b32 s56, s3
; %bb.214:                              ;   in Loop: Header=BB10_196 Depth=2
	v_bfe_u32 v5, v1, 20, 1
	s_delay_alu instid0(VALU_DEP_1) | instskip(NEXT) | instid1(VALU_DEP_1)
	v_add_co_u32 v5, s3, v1, v5
	v_add_co_u32 v24, s3, v5, -1
; %bb.215:                              ;   in Loop: Header=BB10_196 Depth=2
	s_or_b32 exec_lo, exec_lo, s56
	v_add_nc_u32_e32 v5, 0xffffff81, v27
	v_lshrrev_b32_e32 v25, 23, v1
	s_mov_b32 s3, exec_lo
	s_delay_alu instid0(VALU_DEP_2) | instskip(NEXT) | instid1(VALU_DEP_1)
	v_cndmask_b32_e64 v5, v5, 0xffffff82, vcc_lo
	v_add3_u32 v25, v30, v5, v25
	v_and_b32_e32 v5, 0xfffff, v24
	s_delay_alu instid0(VALU_DEP_2) | instskip(NEXT) | instid1(VALU_DEP_2)
	v_add_nc_u32_e32 v24, 6, v25
	v_add_co_u32 v1, vcc_lo, v5, v1
	v_add_co_ci_u32_e32 v2, vcc_lo, 0, v2, vcc_lo
                                        ; implicit-def: $vgpr5
	s_delay_alu instid0(VALU_DEP_3)
	v_cmpx_ne_u32_e32 0, v24
	s_xor_b32 s3, exec_lo, s3
; %bb.216:                              ;   in Loop: Header=BB10_196 Depth=2
	s_delay_alu instid0(VALU_DEP_2) | instskip(SKIP_1) | instid1(VALU_DEP_1)
	v_cmp_lt_u64_e32 vcc_lo, 0xffffff, v[1:2]
	v_add_nc_u32_e32 v5, 7, v25
	v_cndmask_b32_e32 v5, v24, v5, vcc_lo
	v_cndmask_b32_e64 v24, 0, 1, vcc_lo
	s_delay_alu instid0(VALU_DEP_1)
	v_lshrrev_b64 v[1:2], v24, v[1:2]
; %bb.217:                              ;   in Loop: Header=BB10_196 Depth=2
	s_and_not1_saveexec_b32 s3, s3
; %bb.218:                              ;   in Loop: Header=BB10_196 Depth=2
	s_delay_alu instid0(VALU_DEP_1)
	v_bfe_u32 v5, v1, 23, 1
; %bb.219:                              ;   in Loop: Header=BB10_196 Depth=2
	s_or_b32 exec_lo, exec_lo, s3
	s_delay_alu instid0(VALU_DEP_2) | instskip(NEXT) | instid1(VALU_DEP_2)
	v_lshrrev_b64 v[1:2], 20, v[1:2]
	v_cmp_gt_i32_e32 vcc_lo, 16, v5
	v_min_i32_e32 v24, 15, v5
	v_cmp_eq_u32_e64 s3, 0, v5
	s_delay_alu instid0(VALU_DEP_4) | instskip(NEXT) | instid1(VALU_DEP_3)
	v_dual_cndmask_b32 v2, 0, v2 :: v_dual_cndmask_b32 v1, 7, v1
	v_lshlrev_b32_e32 v24, 3, v24
	s_delay_alu instid0(VALU_DEP_2) | instskip(NEXT) | instid1(VALU_DEP_2)
	v_cmp_eq_u64_e32 vcc_lo, 0, v[1:2]
	v_and_or_b32 v1, v1, 7, v24
	s_and_b32 s3, s3, vcc_lo
	s_delay_alu instid0(VALU_DEP_1) | instid1(SALU_CYCLE_1)
	v_cndmask_b32_e64 v1, v1, 0, s3
	s_delay_alu instid0(VALU_DEP_1)
	v_or_b32_e32 v27, v1, v29
.LBB10_220:                             ;   in Loop: Header=BB10_196 Depth=2
	s_or_b32 exec_lo, exec_lo, s55
.LBB10_221:                             ;   in Loop: Header=BB10_196 Depth=2
	s_delay_alu instid0(SALU_CYCLE_1)
	s_or_b32 exec_lo, exec_lo, s54
                                        ; implicit-def: $vgpr2
.LBB10_222:                             ;   in Loop: Header=BB10_196 Depth=2
	s_and_not1_saveexec_b32 s3, s53
; %bb.223:                              ;   in Loop: Header=BB10_196 Depth=2
	v_cmp_eq_u64_e32 vcc_lo, 0, v[5:6]
	v_or_b32_e32 v1, 0x7f, v2
	s_delay_alu instid0(VALU_DEP_1)
	v_cndmask_b32_e32 v27, v1, v27, vcc_lo
; %bb.224:                              ;   in Loop: Header=BB10_196 Depth=2
	s_or_b32 exec_lo, exec_lo, s3
	v_div_scale_f32 v1, null, v46, v46, v3
	s_delay_alu instid0(VALU_DEP_1) | instskip(SKIP_2) | instid1(VALU_DEP_1)
	v_rcp_f32_e32 v2, v1
	s_waitcnt_depctr 0xfff
	v_fma_f32 v5, -v1, v2, 1.0
	v_fmac_f32_e32 v2, v5, v2
	v_div_scale_f32 v5, vcc_lo, v3, v46, v3
	s_delay_alu instid0(VALU_DEP_1) | instskip(NEXT) | instid1(VALU_DEP_1)
	v_mul_f32_e32 v24, v5, v2
	v_fma_f32 v25, -v1, v24, v5
	s_delay_alu instid0(VALU_DEP_1) | instskip(NEXT) | instid1(VALU_DEP_1)
	v_dual_fmac_f32 v24, v25, v2 :: v_dual_mov_b32 v25, v6
	v_fma_f32 v1, -v1, v24, v5
	s_delay_alu instid0(VALU_DEP_1) | instskip(NEXT) | instid1(VALU_DEP_1)
	v_div_fmas_f32 v1, v1, v2, v24
	v_div_fixup_f32 v1, v1, v46, v3
	s_delay_alu instid0(VALU_DEP_1) | instskip(SKIP_2) | instid1(VALU_DEP_2)
	v_and_b32_e32 v5, 0x7fffff, v1
	v_lshrrev_b32_e32 v2, 24, v1
	v_and_b32_e32 v24, 0x7f800000, v1
	v_and_b32_e32 v3, 0x80, v2
	s_delay_alu instid0(VALU_DEP_2) | instskip(NEXT) | instid1(VALU_DEP_2)
	v_cmp_ne_u64_e32 vcc_lo, 0x7f800000, v[24:25]
	v_or_b32_e32 v24, 0x7e, v3
	s_and_saveexec_b32 s3, vcc_lo
	s_delay_alu instid0(SALU_CYCLE_1)
	s_xor_b32 s53, exec_lo, s3
	s_cbranch_execz .LBB10_236
; %bb.225:                              ;   in Loop: Header=BB10_196 Depth=2
	v_dual_mov_b32 v30, v6 :: v_dual_and_b32 v29, 0x7fffffff, v1
	s_mov_b32 s54, exec_lo
	s_delay_alu instid0(VALU_DEP_1)
	v_cmpx_gt_u64_e32 0x43e00001, v[29:30]
	s_cbranch_execz .LBB10_235
; %bb.226:                              ;   in Loop: Header=BB10_196 Depth=2
	v_mov_b32_e32 v24, 0
	s_mov_b32 s55, exec_lo
	v_cmpx_ne_u32_e32 0, v1
	s_cbranch_execz .LBB10_234
; %bb.227:                              ;   in Loop: Header=BB10_196 Depth=2
	v_bfe_u32 v29, v1, 23, 8
	v_or_b32_e32 v24, 0x800000, v5
	s_delay_alu instid0(VALU_DEP_2) | instskip(SKIP_1) | instid1(VALU_DEP_2)
	v_sub_nc_u32_e32 v1, 0x79, v29
	v_cmp_gt_u32_e32 vcc_lo, 0x7a, v29
	v_cndmask_b32_e32 v1, 0, v1, vcc_lo
	v_cmp_eq_u32_e32 vcc_lo, 0, v29
	s_delay_alu instid0(VALU_DEP_2) | instskip(NEXT) | instid1(VALU_DEP_1)
	v_cndmask_b32_e64 v30, v1, 0x78, vcc_lo
	v_add_nc_u32_e32 v1, 20, v30
	s_delay_alu instid0(VALU_DEP_1) | instskip(NEXT) | instid1(VALU_DEP_1)
	v_lshlrev_b64 v[1:2], v1, -1
	v_not_b32_e32 v2, v2
	v_dual_cndmask_b32 v5, v24, v5 :: v_dual_add_nc_u32 v24, 19, v30
	s_delay_alu instid0(VALU_DEP_3) | instskip(NEXT) | instid1(VALU_DEP_3)
	v_not_b32_e32 v1, v1
	v_and_b32_e32 v48, 0, v2
	s_delay_alu instid0(VALU_DEP_3) | instskip(NEXT) | instid1(VALU_DEP_3)
	v_lshlrev_b64 v[24:25], v24, 1
	v_and_b32_e32 v47, v5, v1
	v_lshrrev_b64 v[1:2], v30, v[5:6]
	s_delay_alu instid0(VALU_DEP_2) | instskip(NEXT) | instid1(VALU_DEP_2)
	v_cmp_eq_u64_e64 s3, v[47:48], v[24:25]
	v_dual_mov_b32 v25, v2 :: v_dual_mov_b32 v24, v1
	s_delay_alu instid0(VALU_DEP_2)
	s_and_saveexec_b32 s56, s3
; %bb.228:                              ;   in Loop: Header=BB10_196 Depth=2
	v_bfe_u32 v5, v1, 20, 1
	s_delay_alu instid0(VALU_DEP_1) | instskip(NEXT) | instid1(VALU_DEP_1)
	v_add_co_u32 v5, s3, v1, v5
	v_add_co_u32 v24, s3, v5, -1
; %bb.229:                              ;   in Loop: Header=BB10_196 Depth=2
	s_or_b32 exec_lo, exec_lo, s56
	v_add_nc_u32_e32 v5, 0xffffff81, v29
	v_lshrrev_b32_e32 v25, 23, v1
	s_mov_b32 s3, exec_lo
	s_delay_alu instid0(VALU_DEP_2) | instskip(NEXT) | instid1(VALU_DEP_1)
	v_cndmask_b32_e64 v5, v5, 0xffffff82, vcc_lo
	v_add3_u32 v25, v30, v5, v25
	v_and_b32_e32 v5, 0xfffff, v24
	s_delay_alu instid0(VALU_DEP_2) | instskip(NEXT) | instid1(VALU_DEP_2)
	v_add_nc_u32_e32 v24, 6, v25
	v_add_co_u32 v1, vcc_lo, v5, v1
	v_add_co_ci_u32_e32 v2, vcc_lo, 0, v2, vcc_lo
                                        ; implicit-def: $vgpr5
	s_delay_alu instid0(VALU_DEP_3)
	v_cmpx_ne_u32_e32 0, v24
	s_xor_b32 s3, exec_lo, s3
; %bb.230:                              ;   in Loop: Header=BB10_196 Depth=2
	s_delay_alu instid0(VALU_DEP_2) | instskip(SKIP_1) | instid1(VALU_DEP_1)
	v_cmp_lt_u64_e32 vcc_lo, 0xffffff, v[1:2]
	v_add_nc_u32_e32 v5, 7, v25
	v_cndmask_b32_e32 v5, v24, v5, vcc_lo
	v_cndmask_b32_e64 v24, 0, 1, vcc_lo
	s_delay_alu instid0(VALU_DEP_1)
	v_lshrrev_b64 v[1:2], v24, v[1:2]
; %bb.231:                              ;   in Loop: Header=BB10_196 Depth=2
	s_and_not1_saveexec_b32 s3, s3
; %bb.232:                              ;   in Loop: Header=BB10_196 Depth=2
	s_delay_alu instid0(VALU_DEP_1)
	v_bfe_u32 v5, v1, 23, 1
; %bb.233:                              ;   in Loop: Header=BB10_196 Depth=2
	s_or_b32 exec_lo, exec_lo, s3
	s_delay_alu instid0(VALU_DEP_2) | instskip(NEXT) | instid1(VALU_DEP_2)
	v_lshrrev_b64 v[1:2], 20, v[1:2]
	v_cmp_gt_i32_e32 vcc_lo, 16, v5
	v_min_i32_e32 v24, 15, v5
	v_cmp_eq_u32_e64 s3, 0, v5
	s_delay_alu instid0(VALU_DEP_4) | instskip(NEXT) | instid1(VALU_DEP_3)
	v_dual_cndmask_b32 v2, 0, v2 :: v_dual_cndmask_b32 v1, 7, v1
	v_lshlrev_b32_e32 v24, 3, v24
	s_delay_alu instid0(VALU_DEP_2) | instskip(NEXT) | instid1(VALU_DEP_2)
	v_cmp_eq_u64_e32 vcc_lo, 0, v[1:2]
	v_and_or_b32 v1, v1, 7, v24
	s_and_b32 s3, s3, vcc_lo
	s_delay_alu instid0(VALU_DEP_1) | instid1(SALU_CYCLE_1)
	v_cndmask_b32_e64 v1, v1, 0, s3
	s_delay_alu instid0(VALU_DEP_1)
	v_or_b32_e32 v24, v1, v3
.LBB10_234:                             ;   in Loop: Header=BB10_196 Depth=2
	s_or_b32 exec_lo, exec_lo, s55
.LBB10_235:                             ;   in Loop: Header=BB10_196 Depth=2
	s_delay_alu instid0(SALU_CYCLE_1)
	s_or_b32 exec_lo, exec_lo, s54
                                        ; implicit-def: $vgpr2
.LBB10_236:                             ;   in Loop: Header=BB10_196 Depth=2
	s_and_not1_saveexec_b32 s3, s53
; %bb.237:                              ;   in Loop: Header=BB10_196 Depth=2
	v_cmp_eq_u64_e32 vcc_lo, 0, v[5:6]
	v_or_b32_e32 v1, 0x7f, v2
	s_delay_alu instid0(VALU_DEP_1)
	v_cndmask_b32_e32 v24, v1, v24, vcc_lo
; %bb.238:                              ;   in Loop: Header=BB10_196 Depth=2
	s_or_b32 exec_lo, exec_lo, s3
	v_div_scale_f32 v1, null, v46, v46, v4
	s_mov_b32 s3, exec_lo
	v_mov_b32_e32 v30, v6
	s_delay_alu instid0(VALU_DEP_2) | instskip(SKIP_2) | instid1(VALU_DEP_1)
	v_rcp_f32_e32 v2, v1
	s_waitcnt_depctr 0xfff
	v_fma_f32 v3, -v1, v2, 1.0
	v_fmac_f32_e32 v2, v3, v2
	v_div_scale_f32 v3, vcc_lo, v4, v46, v4
	s_delay_alu instid0(VALU_DEP_1) | instskip(NEXT) | instid1(VALU_DEP_1)
	v_mul_f32_e32 v5, v3, v2
	v_fma_f32 v25, -v1, v5, v3
	s_delay_alu instid0(VALU_DEP_1) | instskip(NEXT) | instid1(VALU_DEP_1)
	v_fmac_f32_e32 v5, v25, v2
	v_fma_f32 v1, -v1, v5, v3
	s_delay_alu instid0(VALU_DEP_1) | instskip(NEXT) | instid1(VALU_DEP_1)
	v_div_fmas_f32 v1, v1, v2, v5
	v_div_fixup_f32 v2, v1, v46, v4
	s_delay_alu instid0(VALU_DEP_1) | instskip(SKIP_2) | instid1(VALU_DEP_3)
	v_lshrrev_b32_e32 v3, 24, v2
	v_and_b32_e32 v29, 0x7f800000, v2
	v_and_b32_e32 v5, 0x7fffff, v2
	;; [unrolled: 1-line block ×3, first 2 shown]
	s_delay_alu instid0(VALU_DEP_1) | instskip(NEXT) | instid1(VALU_DEP_4)
	v_or_b32_e32 v1, 0x7e, v25
	v_cmpx_ne_u64_e32 0x7f800000, v[29:30]
	s_xor_b32 s53, exec_lo, s3
	s_cbranch_execz .LBB10_250
; %bb.239:                              ;   in Loop: Header=BB10_196 Depth=2
	v_dual_mov_b32 v4, v6 :: v_dual_and_b32 v3, 0x7fffffff, v2
	s_mov_b32 s54, exec_lo
	s_delay_alu instid0(VALU_DEP_1)
	v_cmpx_gt_u64_e32 0x43e00001, v[3:4]
	s_cbranch_execz .LBB10_249
; %bb.240:                              ;   in Loop: Header=BB10_196 Depth=2
	v_mov_b32_e32 v1, 0
	s_mov_b32 s55, exec_lo
	v_cmpx_ne_u32_e32 0, v2
	s_cbranch_execz .LBB10_248
; %bb.241:                              ;   in Loop: Header=BB10_196 Depth=2
	v_bfe_u32 v29, v2, 23, 8
	v_or_b32_e32 v3, 0x800000, v5
	s_delay_alu instid0(VALU_DEP_2) | instskip(SKIP_1) | instid1(VALU_DEP_2)
	v_sub_nc_u32_e32 v1, 0x79, v29
	v_cmp_gt_u32_e32 vcc_lo, 0x7a, v29
	v_cndmask_b32_e32 v1, 0, v1, vcc_lo
	v_cmp_eq_u32_e32 vcc_lo, 0, v29
	s_delay_alu instid0(VALU_DEP_2) | instskip(SKIP_1) | instid1(VALU_DEP_2)
	v_cndmask_b32_e64 v30, v1, 0x78, vcc_lo
	v_cndmask_b32_e32 v5, v3, v5, vcc_lo
	v_add_nc_u32_e32 v1, 20, v30
	v_add_nc_u32_e32 v3, 19, v30
	s_delay_alu instid0(VALU_DEP_2) | instskip(NEXT) | instid1(VALU_DEP_2)
	v_lshlrev_b64 v[1:2], v1, -1
	v_lshlrev_b64 v[3:4], v3, 1
	s_delay_alu instid0(VALU_DEP_2) | instskip(NEXT) | instid1(VALU_DEP_3)
	v_not_b32_e32 v2, v2
	v_not_b32_e32 v1, v1
	s_delay_alu instid0(VALU_DEP_2) | instskip(NEXT) | instid1(VALU_DEP_2)
	v_and_b32_e32 v48, 0, v2
	v_and_b32_e32 v47, v5, v1
	v_lshrrev_b64 v[1:2], v30, v[5:6]
	s_delay_alu instid0(VALU_DEP_2) | instskip(NEXT) | instid1(VALU_DEP_2)
	v_cmp_eq_u64_e64 s3, v[47:48], v[3:4]
	v_dual_mov_b32 v4, v2 :: v_dual_mov_b32 v3, v1
	s_delay_alu instid0(VALU_DEP_2)
	s_and_saveexec_b32 s56, s3
; %bb.242:                              ;   in Loop: Header=BB10_196 Depth=2
	v_bfe_u32 v3, v1, 20, 1
	s_delay_alu instid0(VALU_DEP_1) | instskip(NEXT) | instid1(VALU_DEP_1)
	v_add_co_u32 v3, s3, v1, v3
	v_add_co_u32 v3, s3, v3, -1
; %bb.243:                              ;   in Loop: Header=BB10_196 Depth=2
	s_or_b32 exec_lo, exec_lo, s56
	v_add_nc_u32_e32 v4, 0xffffff81, v29
	v_lshrrev_b32_e32 v5, 23, v1
	s_delay_alu instid0(VALU_DEP_3) | instskip(SKIP_1) | instid1(VALU_DEP_3)
	v_and_b32_e32 v3, 0xfffff, v3
	s_mov_b32 s3, exec_lo
	v_cndmask_b32_e64 v4, v4, 0xffffff82, vcc_lo
	s_delay_alu instid0(VALU_DEP_2) | instskip(SKIP_1) | instid1(VALU_DEP_3)
	v_add_co_u32 v1, vcc_lo, v3, v1
	v_add_co_ci_u32_e32 v2, vcc_lo, 0, v2, vcc_lo
	v_add3_u32 v4, v30, v4, v5
                                        ; implicit-def: $vgpr3
	s_delay_alu instid0(VALU_DEP_1) | instskip(NEXT) | instid1(VALU_DEP_1)
	v_add_nc_u32_e32 v5, 6, v4
	v_cmpx_ne_u32_e32 0, v5
	s_xor_b32 s3, exec_lo, s3
; %bb.244:                              ;   in Loop: Header=BB10_196 Depth=2
	v_cmp_lt_u64_e32 vcc_lo, 0xffffff, v[1:2]
	v_add_nc_u32_e32 v3, 7, v4
	v_cndmask_b32_e64 v4, 0, 1, vcc_lo
	s_delay_alu instid0(VALU_DEP_2) | instskip(NEXT) | instid1(VALU_DEP_2)
	v_cndmask_b32_e32 v3, v5, v3, vcc_lo
	v_lshrrev_b64 v[1:2], v4, v[1:2]
; %bb.245:                              ;   in Loop: Header=BB10_196 Depth=2
	s_and_not1_saveexec_b32 s3, s3
; %bb.246:                              ;   in Loop: Header=BB10_196 Depth=2
	s_delay_alu instid0(VALU_DEP_1)
	v_bfe_u32 v3, v1, 23, 1
; %bb.247:                              ;   in Loop: Header=BB10_196 Depth=2
	s_or_b32 exec_lo, exec_lo, s3
	s_delay_alu instid0(VALU_DEP_2) | instskip(NEXT) | instid1(VALU_DEP_2)
	v_lshrrev_b64 v[1:2], 20, v[1:2]
	v_cmp_gt_i32_e32 vcc_lo, 16, v3
	v_min_i32_e32 v4, 15, v3
	v_cmp_eq_u32_e64 s3, 0, v3
	s_delay_alu instid0(VALU_DEP_4) | instskip(NEXT) | instid1(VALU_DEP_3)
	v_dual_cndmask_b32 v2, 0, v2 :: v_dual_cndmask_b32 v1, 7, v1
	v_lshlrev_b32_e32 v4, 3, v4
	s_delay_alu instid0(VALU_DEP_2) | instskip(NEXT) | instid1(VALU_DEP_2)
	v_cmp_eq_u64_e32 vcc_lo, 0, v[1:2]
	v_and_or_b32 v1, v1, 7, v4
	s_and_b32 s3, s3, vcc_lo
	s_delay_alu instid0(VALU_DEP_1) | instid1(SALU_CYCLE_1)
	v_cndmask_b32_e64 v1, v1, 0, s3
	s_delay_alu instid0(VALU_DEP_1)
	v_or_b32_e32 v1, v1, v25
.LBB10_248:                             ;   in Loop: Header=BB10_196 Depth=2
	s_or_b32 exec_lo, exec_lo, s55
.LBB10_249:                             ;   in Loop: Header=BB10_196 Depth=2
	s_delay_alu instid0(SALU_CYCLE_1)
	s_or_b32 exec_lo, exec_lo, s54
                                        ; implicit-def: $vgpr3
.LBB10_250:                             ;   in Loop: Header=BB10_196 Depth=2
	s_and_not1_saveexec_b32 s3, s53
	s_cbranch_execz .LBB10_195
; %bb.251:                              ;   in Loop: Header=BB10_196 Depth=2
	v_cmp_eq_u64_e32 vcc_lo, 0, v[5:6]
	v_or_b32_e32 v2, 0x7f, v3
	s_delay_alu instid0(VALU_DEP_1)
	v_cndmask_b32_e32 v1, v2, v1, vcc_lo
	s_branch .LBB10_195
.LBB10_252:                             ;   in Loop: Header=BB10_9 Depth=1
	s_or_b32 exec_lo, exec_lo, s51
	v_lshl_add_u32 v1, v15, 2, v32
	s_mov_b32 s51, exec_lo
	s_delay_alu instid0(VALU_DEP_1)
	v_cmpx_lt_i32_e64 v1, v8
	s_cbranch_execz .LBB10_273
; %bb.253:                              ;   in Loop: Header=BB10_9 Depth=1
	v_ashrrev_i32_e32 v2, 31, v1
	v_add_co_u32 v5, vcc_lo, v18, v13
	v_add_co_ci_u32_e32 v13, vcc_lo, v19, v14, vcc_lo
	s_delay_alu instid0(VALU_DEP_3) | instskip(SKIP_1) | instid1(VALU_DEP_1)
	v_lshlrev_b64 v[3:4], 2, v[1:2]
	s_mov_b32 s52, 0
	v_add_co_u32 v3, vcc_lo, v5, v3
	s_delay_alu instid0(VALU_DEP_2) | instskip(SKIP_2) | instid1(VALU_DEP_4)
	v_add_co_ci_u32_e32 v4, vcc_lo, v13, v4, vcc_lo
	v_add_co_u32 v5, vcc_lo, v16, v1
	v_add_co_ci_u32_e32 v14, vcc_lo, v17, v2, vcc_lo
	v_add_co_u32 v2, vcc_lo, s45, v3
	s_delay_alu instid0(VALU_DEP_4) | instskip(NEXT) | instid1(VALU_DEP_4)
	v_add_co_ci_u32_e32 v3, vcc_lo, s46, v4, vcc_lo
	v_add_co_u32 v13, vcc_lo, v41, v5
	s_delay_alu instid0(VALU_DEP_4)
	v_add_co_ci_u32_e32 v14, vcc_lo, v42, v14, vcc_lo
	s_branch .LBB10_255
.LBB10_254:                             ;   in Loop: Header=BB10_255 Depth=2
	s_or_b32 exec_lo, exec_lo, s3
	v_add_nc_u32_e32 v1, 32, v1
	v_add_co_u32 v2, vcc_lo, 0x80, v2
	v_add_co_ci_u32_e32 v3, vcc_lo, 0, v3, vcc_lo
	global_store_b8 v[13:14], v15, off
	v_cmp_ge_i32_e32 vcc_lo, v1, v8
	v_add_co_u32 v13, s3, v13, 32
	s_delay_alu instid0(VALU_DEP_1) | instskip(SKIP_1) | instid1(SALU_CYCLE_1)
	v_add_co_ci_u32_e64 v14, s3, 0, v14, s3
	s_or_b32 s52, vcc_lo, s52
	s_and_not1_b32 exec_lo, exec_lo, s52
	s_cbranch_execz .LBB10_273
.LBB10_255:                             ;   Parent Loop BB10_9 Depth=1
                                        ; =>  This Inner Loop Header: Depth=2
	global_load_b32 v4, v[2:3], off
	v_mov_b32_e32 v19, v6
	s_mov_b32 s3, exec_lo
	s_waitcnt vmcnt(0)
	v_div_scale_f32 v5, null, v46, v46, v4
	s_delay_alu instid0(VALU_DEP_1) | instskip(SKIP_2) | instid1(VALU_DEP_1)
	v_rcp_f32_e32 v15, v5
	s_waitcnt_depctr 0xfff
	v_fma_f32 v16, -v5, v15, 1.0
	v_fmac_f32_e32 v15, v16, v15
	v_div_scale_f32 v16, vcc_lo, v4, v46, v4
	s_delay_alu instid0(VALU_DEP_1) | instskip(NEXT) | instid1(VALU_DEP_1)
	v_mul_f32_e32 v17, v16, v15
	v_fma_f32 v18, -v5, v17, v16
	s_delay_alu instid0(VALU_DEP_1) | instskip(NEXT) | instid1(VALU_DEP_1)
	v_fmac_f32_e32 v17, v18, v15
	v_fma_f32 v5, -v5, v17, v16
	s_delay_alu instid0(VALU_DEP_1) | instskip(NEXT) | instid1(VALU_DEP_1)
	v_div_fmas_f32 v5, v5, v15, v17
	v_div_fixup_f32 v4, v5, v46, v4
	s_delay_alu instid0(VALU_DEP_1) | instskip(SKIP_2) | instid1(VALU_DEP_2)
	v_and_b32_e32 v18, 0x7f800000, v4
	v_lshrrev_b32_e32 v16, 24, v4
	v_and_b32_e32 v5, 0x7fffff, v4
	v_and_b32_e32 v17, 0x80, v16
	s_delay_alu instid0(VALU_DEP_1)
	v_or_b32_e32 v15, 0x7e, v17
	v_cmpx_ne_u64_e32 0x7f800000, v[18:19]
	s_xor_b32 s53, exec_lo, s3
	s_cbranch_execz .LBB10_271
; %bb.256:                              ;   in Loop: Header=BB10_255 Depth=2
	v_dual_mov_b32 v19, v6 :: v_dual_and_b32 v18, 0x7fffffff, v4
	s_mov_b32 s3, exec_lo
	s_delay_alu instid0(VALU_DEP_1)
	v_cmpx_gt_u64_e32 0x43e00001, v[18:19]
	s_xor_b32 s54, exec_lo, s3
	s_cbranch_execz .LBB10_270
; %bb.257:                              ;   in Loop: Header=BB10_255 Depth=2
	v_mov_b32_e32 v15, 0
	s_mov_b32 s55, exec_lo
	v_cmpx_ne_u32_e32 0, v4
	s_cbranch_execz .LBB10_269
; %bb.258:                              ;   in Loop: Header=BB10_255 Depth=2
	v_bfe_u32 v18, v4, 23, 8
	v_or_b32_e32 v20, 0x800000, v5
	s_delay_alu instid0(VALU_DEP_2) | instskip(SKIP_1) | instid1(VALU_DEP_2)
	v_sub_nc_u32_e32 v4, 0x79, v18
	v_cmp_gt_u32_e32 vcc_lo, 0x7a, v18
	v_cndmask_b32_e32 v4, 0, v4, vcc_lo
	v_cmp_eq_u32_e32 vcc_lo, 0, v18
	v_cndmask_b32_e32 v5, v20, v5, vcc_lo
	s_delay_alu instid0(VALU_DEP_3) | instskip(NEXT) | instid1(VALU_DEP_1)
	v_cndmask_b32_e64 v19, v4, 0x78, vcc_lo
	v_add_nc_u32_e32 v4, 20, v19
	s_delay_alu instid0(VALU_DEP_1) | instskip(SKIP_1) | instid1(VALU_DEP_2)
	v_lshlrev_b64 v[15:16], v4, -1
	v_add_nc_u32_e32 v4, 19, v19
	v_not_b32_e32 v20, v16
	s_delay_alu instid0(VALU_DEP_3) | instskip(NEXT) | instid1(VALU_DEP_3)
	v_not_b32_e32 v22, v15
	v_lshlrev_b64 v[15:16], v4, 1
	s_delay_alu instid0(VALU_DEP_3) | instskip(NEXT) | instid1(VALU_DEP_3)
	v_and_b32_e32 v21, 0, v20
	v_and_b32_e32 v20, v5, v22
	v_lshrrev_b64 v[4:5], v19, v[5:6]
	s_delay_alu instid0(VALU_DEP_2) | instskip(NEXT) | instid1(VALU_DEP_2)
	v_cmp_eq_u64_e64 s3, v[20:21], v[15:16]
	v_dual_mov_b32 v16, v5 :: v_dual_mov_b32 v15, v4
	s_delay_alu instid0(VALU_DEP_2)
	s_and_saveexec_b32 s56, s3
; %bb.259:                              ;   in Loop: Header=BB10_255 Depth=2
	v_bfe_u32 v15, v4, 20, 1
	s_delay_alu instid0(VALU_DEP_1) | instskip(NEXT) | instid1(VALU_DEP_1)
	v_add_co_u32 v15, s3, v4, v15
	v_add_co_u32 v15, s3, v15, -1
; %bb.260:                              ;   in Loop: Header=BB10_255 Depth=2
	s_or_b32 exec_lo, exec_lo, s56
	v_add_nc_u32_e32 v16, 0xffffff81, v18
	v_lshrrev_b32_e32 v18, 23, v4
	s_mov_b32 s3, exec_lo
	s_delay_alu instid0(VALU_DEP_2) | instskip(NEXT) | instid1(VALU_DEP_1)
	v_cndmask_b32_e64 v16, v16, 0xffffff82, vcc_lo
	v_add3_u32 v18, v19, v16, v18
	v_and_b32_e32 v16, 0xfffff, v15
	s_delay_alu instid0(VALU_DEP_2) | instskip(NEXT) | instid1(VALU_DEP_2)
	v_add_nc_u32_e32 v15, 6, v18
	v_add_co_u32 v4, vcc_lo, v16, v4
	v_add_co_ci_u32_e32 v5, vcc_lo, 0, v5, vcc_lo
                                        ; implicit-def: $vgpr16
	s_delay_alu instid0(VALU_DEP_3)
	v_cmpx_ne_u32_e32 0, v15
	s_xor_b32 s3, exec_lo, s3
; %bb.261:                              ;   in Loop: Header=BB10_255 Depth=2
	s_delay_alu instid0(VALU_DEP_2) | instskip(SKIP_1) | instid1(VALU_DEP_1)
	v_cmp_lt_u64_e32 vcc_lo, 0xffffff, v[4:5]
	v_add_nc_u32_e32 v16, 7, v18
	v_cndmask_b32_e32 v16, v15, v16, vcc_lo
	v_cndmask_b32_e64 v15, 0, 1, vcc_lo
	s_delay_alu instid0(VALU_DEP_1)
	v_lshrrev_b64 v[4:5], v15, v[4:5]
; %bb.262:                              ;   in Loop: Header=BB10_255 Depth=2
	s_and_not1_saveexec_b32 s3, s3
; %bb.263:                              ;   in Loop: Header=BB10_255 Depth=2
	s_delay_alu instid0(VALU_DEP_1)
	v_bfe_u32 v16, v4, 23, 1
; %bb.264:                              ;   in Loop: Header=BB10_255 Depth=2
	s_or_b32 exec_lo, exec_lo, s3
	s_delay_alu instid0(VALU_DEP_2) | instskip(NEXT) | instid1(VALU_DEP_2)
	v_lshrrev_b64 v[4:5], 20, v[4:5]
	v_cmp_gt_i32_e32 vcc_lo, 16, v16
	v_cmp_ne_u32_e64 s3, 0, v16
                                        ; implicit-def: $vgpr15
	s_delay_alu instid0(VALU_DEP_3) | instskip(NEXT) | instid1(VALU_DEP_1)
	v_dual_cndmask_b32 v5, 0, v5 :: v_dual_cndmask_b32 v4, 7, v4
	v_cmp_ne_u64_e32 vcc_lo, 0, v[4:5]
	s_delay_alu instid0(VALU_DEP_3) | instskip(NEXT) | instid1(SALU_CYCLE_1)
	s_or_b32 s3, s3, vcc_lo
	s_and_saveexec_b32 s56, s3
	s_delay_alu instid0(SALU_CYCLE_1)
	s_xor_b32 s3, exec_lo, s56
; %bb.265:                              ;   in Loop: Header=BB10_255 Depth=2
	v_min_i32_e32 v5, 15, v16
	s_delay_alu instid0(VALU_DEP_1) | instskip(NEXT) | instid1(VALU_DEP_1)
	v_lshl_or_b32 v5, v5, 3, v17
                                        ; implicit-def: $vgpr17
	v_and_or_b32 v15, v4, 7, v5
; %bb.266:                              ;   in Loop: Header=BB10_255 Depth=2
	s_and_not1_saveexec_b32 s3, s3
; %bb.267:                              ;   in Loop: Header=BB10_255 Depth=2
	v_mov_b32_e32 v15, v17
; %bb.268:                              ;   in Loop: Header=BB10_255 Depth=2
	s_or_b32 exec_lo, exec_lo, s3
.LBB10_269:                             ;   in Loop: Header=BB10_255 Depth=2
	s_delay_alu instid0(SALU_CYCLE_1)
	s_or_b32 exec_lo, exec_lo, s55
.LBB10_270:                             ;   in Loop: Header=BB10_255 Depth=2
	s_and_not1_saveexec_b32 s3, s54
	s_delay_alu instid0(SALU_CYCLE_1)
	s_or_b32 exec_lo, exec_lo, s3
                                        ; implicit-def: $vgpr16
.LBB10_271:                             ;   in Loop: Header=BB10_255 Depth=2
	s_and_not1_saveexec_b32 s3, s53
	s_cbranch_execz .LBB10_254
; %bb.272:                              ;   in Loop: Header=BB10_255 Depth=2
	v_cmp_eq_u64_e32 vcc_lo, 0, v[5:6]
	v_or_b32_e32 v4, 0x7f, v16
	s_delay_alu instid0(VALU_DEP_1)
	v_cndmask_b32_e32 v15, v4, v15, vcc_lo
	s_branch .LBB10_254
.LBB10_273:                             ;   in Loop: Header=BB10_9 Depth=1
	s_or_b32 exec_lo, exec_lo, s51
                                        ; implicit-def: $vgpr46
                                        ; implicit-def: $vgpr13_vgpr14
.LBB10_274:                             ;   in Loop: Header=BB10_9 Depth=1
	s_and_not1_saveexec_b32 s50, s50
	s_cbranch_execz .LBB10_8
; %bb.275:                              ;   in Loop: Header=BB10_9 Depth=1
	s_and_saveexec_b32 s51, s2
	s_cbranch_execz .LBB10_7
; %bb.276:                              ;   in Loop: Header=BB10_9 Depth=1
	v_add_co_u32 v13, vcc_lo, v43, v13
	v_add_co_ci_u32_e32 v14, vcc_lo, v44, v14, vcc_lo
	v_dual_mov_b32 v16, v12 :: v_dual_mov_b32 v15, v11
	v_mov_b32_e32 v8, v32
	s_mov_b32 s52, 0
	s_branch .LBB10_278
.LBB10_277:                             ;   in Loop: Header=BB10_278 Depth=2
	s_or_b32 exec_lo, exec_lo, s3
	v_lshlrev_b32_e32 v2, 16, v17
	v_lshlrev_b32_e32 v3, 8, v20
	v_and_b32_e32 v4, 0xff, v19
	v_add_nc_u32_e32 v8, 32, v8
	s_delay_alu instid0(VALU_DEP_4) | instskip(NEXT) | instid1(VALU_DEP_4)
	v_perm_b32 v1, v1, v2, 0x4020c0c
	v_and_b32_e32 v2, 0xff00, v3
	s_delay_alu instid0(VALU_DEP_3) | instskip(NEXT) | instid1(VALU_DEP_2)
	v_cmp_le_i32_e32 vcc_lo, s41, v8
	v_or3_b32 v1, v1, v2, v4
	s_or_b32 s52, vcc_lo, s52
	global_store_b32 v[15:16], v1, off
	v_add_co_u32 v15, s3, 0x80, v15
	s_delay_alu instid0(VALU_DEP_1) | instskip(SKIP_1) | instid1(VALU_DEP_1)
	v_add_co_ci_u32_e64 v16, s3, 0, v16, s3
	v_add_co_u32 v13, s3, 0x200, v13
	v_add_co_ci_u32_e64 v14, s3, 0, v14, s3
	s_and_not1_b32 exec_lo, exec_lo, s52
	s_cbranch_execz .LBB10_7
.LBB10_278:                             ;   Parent Loop BB10_9 Depth=1
                                        ; =>  This Inner Loop Header: Depth=2
	global_load_b128 v[1:4], v[13:14], off offset:-8
	s_waitcnt vmcnt(0)
	v_div_scale_f32 v5, null, v46, v46, v1
	s_delay_alu instid0(VALU_DEP_1) | instskip(SKIP_2) | instid1(VALU_DEP_1)
	v_rcp_f32_e32 v17, v5
	s_waitcnt_depctr 0xfff
	v_fma_f32 v18, -v5, v17, 1.0
	v_fmac_f32_e32 v17, v18, v17
	v_div_scale_f32 v18, vcc_lo, v1, v46, v1
	s_delay_alu instid0(VALU_DEP_1) | instskip(NEXT) | instid1(VALU_DEP_1)
	v_mul_f32_e32 v19, v18, v17
	v_fma_f32 v20, -v5, v19, v18
	s_delay_alu instid0(VALU_DEP_1) | instskip(NEXT) | instid1(VALU_DEP_1)
	v_dual_fmac_f32 v19, v20, v17 :: v_dual_mov_b32 v20, v6
	v_fma_f32 v5, -v5, v19, v18
	s_delay_alu instid0(VALU_DEP_1) | instskip(NEXT) | instid1(VALU_DEP_1)
	v_div_fmas_f32 v5, v5, v17, v19
	v_div_fixup_f32 v17, v5, v46, v1
	s_delay_alu instid0(VALU_DEP_1) | instskip(SKIP_2) | instid1(VALU_DEP_3)
	v_lshrrev_b32_e32 v18, 24, v17
	v_and_b32_e32 v19, 0x7f800000, v17
	v_and_b32_e32 v5, 0x7fffff, v17
	v_and_b32_e32 v1, 0x80, v18
	s_delay_alu instid0(VALU_DEP_3) | instskip(NEXT) | instid1(VALU_DEP_2)
	v_cmp_ne_u64_e32 vcc_lo, 0x7f800000, v[19:20]
	v_or_b32_e32 v19, 0x7e, v1
	s_and_saveexec_b32 s3, vcc_lo
	s_delay_alu instid0(SALU_CYCLE_1)
	s_xor_b32 s53, exec_lo, s3
	s_cbranch_execz .LBB10_290
; %bb.279:                              ;   in Loop: Header=BB10_278 Depth=2
	v_dual_mov_b32 v21, v6 :: v_dual_and_b32 v20, 0x7fffffff, v17
	s_mov_b32 s54, exec_lo
	s_delay_alu instid0(VALU_DEP_1)
	v_cmpx_gt_u64_e32 0x43e00001, v[20:21]
	s_cbranch_execz .LBB10_289
; %bb.280:                              ;   in Loop: Header=BB10_278 Depth=2
	v_mov_b32_e32 v19, 0
	s_mov_b32 s55, exec_lo
	v_cmpx_ne_u32_e32 0, v17
	s_cbranch_execz .LBB10_288
; %bb.281:                              ;   in Loop: Header=BB10_278 Depth=2
	v_bfe_u32 v21, v17, 23, 8
	v_or_b32_e32 v19, 0x800000, v5
	s_delay_alu instid0(VALU_DEP_2) | instskip(SKIP_1) | instid1(VALU_DEP_2)
	v_sub_nc_u32_e32 v17, 0x79, v21
	v_cmp_gt_u32_e32 vcc_lo, 0x7a, v21
	v_cndmask_b32_e32 v17, 0, v17, vcc_lo
	v_cmp_eq_u32_e32 vcc_lo, 0, v21
	s_delay_alu instid0(VALU_DEP_2) | instskip(SKIP_1) | instid1(VALU_DEP_2)
	v_cndmask_b32_e64 v22, v17, 0x78, vcc_lo
	v_cndmask_b32_e32 v5, v19, v5, vcc_lo
	v_add_nc_u32_e32 v17, 20, v22
	v_add_nc_u32_e32 v19, 19, v22
	s_delay_alu instid0(VALU_DEP_2) | instskip(NEXT) | instid1(VALU_DEP_2)
	v_lshlrev_b64 v[17:18], v17, -1
	v_lshlrev_b64 v[19:20], v19, 1
	s_delay_alu instid0(VALU_DEP_2) | instskip(NEXT) | instid1(VALU_DEP_3)
	v_not_b32_e32 v18, v18
	v_not_b32_e32 v17, v17
	s_delay_alu instid0(VALU_DEP_2) | instskip(NEXT) | instid1(VALU_DEP_2)
	v_and_b32_e32 v24, 0, v18
	v_and_b32_e32 v23, v5, v17
	v_lshrrev_b64 v[17:18], v22, v[5:6]
	s_delay_alu instid0(VALU_DEP_2) | instskip(NEXT) | instid1(VALU_DEP_2)
	v_cmp_eq_u64_e64 s3, v[23:24], v[19:20]
	v_dual_mov_b32 v20, v18 :: v_dual_mov_b32 v19, v17
	s_delay_alu instid0(VALU_DEP_2)
	s_and_saveexec_b32 s56, s3
; %bb.282:                              ;   in Loop: Header=BB10_278 Depth=2
	v_bfe_u32 v5, v17, 20, 1
	s_delay_alu instid0(VALU_DEP_1) | instskip(NEXT) | instid1(VALU_DEP_1)
	v_add_co_u32 v5, s3, v17, v5
	v_add_co_u32 v19, s3, v5, -1
; %bb.283:                              ;   in Loop: Header=BB10_278 Depth=2
	s_or_b32 exec_lo, exec_lo, s56
	v_add_nc_u32_e32 v5, 0xffffff81, v21
	v_lshrrev_b32_e32 v20, 23, v17
	s_mov_b32 s3, exec_lo
	s_delay_alu instid0(VALU_DEP_2) | instskip(NEXT) | instid1(VALU_DEP_1)
	v_cndmask_b32_e64 v5, v5, 0xffffff82, vcc_lo
	v_add3_u32 v20, v22, v5, v20
	v_and_b32_e32 v5, 0xfffff, v19
	s_delay_alu instid0(VALU_DEP_2) | instskip(NEXT) | instid1(VALU_DEP_2)
	v_add_nc_u32_e32 v19, 6, v20
	v_add_co_u32 v17, vcc_lo, v5, v17
	v_add_co_ci_u32_e32 v18, vcc_lo, 0, v18, vcc_lo
                                        ; implicit-def: $vgpr5
	s_delay_alu instid0(VALU_DEP_3)
	v_cmpx_ne_u32_e32 0, v19
	s_xor_b32 s3, exec_lo, s3
; %bb.284:                              ;   in Loop: Header=BB10_278 Depth=2
	s_delay_alu instid0(VALU_DEP_2) | instskip(SKIP_1) | instid1(VALU_DEP_1)
	v_cmp_lt_u64_e32 vcc_lo, 0xffffff, v[17:18]
	v_add_nc_u32_e32 v5, 7, v20
	v_cndmask_b32_e32 v5, v19, v5, vcc_lo
	v_cndmask_b32_e64 v19, 0, 1, vcc_lo
	s_delay_alu instid0(VALU_DEP_1)
	v_lshrrev_b64 v[17:18], v19, v[17:18]
; %bb.285:                              ;   in Loop: Header=BB10_278 Depth=2
	s_and_not1_saveexec_b32 s3, s3
; %bb.286:                              ;   in Loop: Header=BB10_278 Depth=2
	s_delay_alu instid0(VALU_DEP_1)
	v_bfe_u32 v5, v17, 23, 1
; %bb.287:                              ;   in Loop: Header=BB10_278 Depth=2
	s_or_b32 exec_lo, exec_lo, s3
	s_delay_alu instid0(VALU_DEP_2) | instskip(NEXT) | instid1(VALU_DEP_2)
	v_lshrrev_b64 v[17:18], 20, v[17:18]
	v_cmp_gt_i32_e32 vcc_lo, 16, v5
	v_min_i32_e32 v19, 15, v5
	v_cmp_eq_u32_e64 s3, 0, v5
	s_delay_alu instid0(VALU_DEP_4) | instskip(NEXT) | instid1(VALU_DEP_3)
	v_dual_cndmask_b32 v18, 0, v18 :: v_dual_cndmask_b32 v17, 7, v17
	v_lshlrev_b32_e32 v19, 3, v19
	s_delay_alu instid0(VALU_DEP_2) | instskip(NEXT) | instid1(VALU_DEP_2)
	v_cmp_eq_u64_e32 vcc_lo, 0, v[17:18]
	v_and_or_b32 v5, v17, 7, v19
	s_and_b32 s3, s3, vcc_lo
	s_delay_alu instid0(VALU_DEP_1) | instid1(SALU_CYCLE_1)
	v_cndmask_b32_e64 v5, v5, 0, s3
	s_delay_alu instid0(VALU_DEP_1)
	v_or_b32_e32 v19, v5, v1
.LBB10_288:                             ;   in Loop: Header=BB10_278 Depth=2
	s_or_b32 exec_lo, exec_lo, s55
.LBB10_289:                             ;   in Loop: Header=BB10_278 Depth=2
	s_delay_alu instid0(SALU_CYCLE_1)
	s_or_b32 exec_lo, exec_lo, s54
                                        ; implicit-def: $vgpr18
.LBB10_290:                             ;   in Loop: Header=BB10_278 Depth=2
	s_and_not1_saveexec_b32 s3, s53
; %bb.291:                              ;   in Loop: Header=BB10_278 Depth=2
	v_cmp_eq_u64_e32 vcc_lo, 0, v[5:6]
	v_or_b32_e32 v1, 0x7f, v18
	s_delay_alu instid0(VALU_DEP_1)
	v_cndmask_b32_e32 v19, v1, v19, vcc_lo
; %bb.292:                              ;   in Loop: Header=BB10_278 Depth=2
	s_or_b32 exec_lo, exec_lo, s3
	v_div_scale_f32 v1, null, v46, v46, v2
	s_mov_b32 s3, exec_lo
	s_delay_alu instid0(VALU_DEP_1) | instskip(SKIP_2) | instid1(VALU_DEP_1)
	v_rcp_f32_e32 v5, v1
	s_waitcnt_depctr 0xfff
	v_fma_f32 v17, -v1, v5, 1.0
	v_fmac_f32_e32 v5, v17, v5
	v_div_scale_f32 v17, vcc_lo, v2, v46, v2
	s_delay_alu instid0(VALU_DEP_1) | instskip(NEXT) | instid1(VALU_DEP_1)
	v_mul_f32_e32 v18, v17, v5
	v_fma_f32 v20, -v1, v18, v17
	s_delay_alu instid0(VALU_DEP_1) | instskip(NEXT) | instid1(VALU_DEP_1)
	v_fmac_f32_e32 v18, v20, v5
	v_fma_f32 v1, -v1, v18, v17
	s_delay_alu instid0(VALU_DEP_1) | instskip(SKIP_1) | instid1(VALU_DEP_2)
	v_div_fmas_f32 v1, v1, v5, v18
	v_mov_b32_e32 v18, v6
	v_div_fixup_f32 v1, v1, v46, v2
	s_delay_alu instid0(VALU_DEP_1) | instskip(SKIP_2) | instid1(VALU_DEP_3)
	v_lshrrev_b32_e32 v2, 24, v1
	v_and_b32_e32 v17, 0x7f800000, v1
	v_and_b32_e32 v5, 0x7fffff, v1
	;; [unrolled: 1-line block ×3, first 2 shown]
	s_delay_alu instid0(VALU_DEP_1) | instskip(NEXT) | instid1(VALU_DEP_4)
	v_or_b32_e32 v20, 0x7e, v21
	v_cmpx_ne_u64_e32 0x7f800000, v[17:18]
	s_xor_b32 s53, exec_lo, s3
	s_cbranch_execz .LBB10_304
; %bb.293:                              ;   in Loop: Header=BB10_278 Depth=2
	v_dual_mov_b32 v18, v6 :: v_dual_and_b32 v17, 0x7fffffff, v1
	s_mov_b32 s54, exec_lo
	s_delay_alu instid0(VALU_DEP_1)
	v_cmpx_gt_u64_e32 0x43e00001, v[17:18]
	s_cbranch_execz .LBB10_303
; %bb.294:                              ;   in Loop: Header=BB10_278 Depth=2
	v_mov_b32_e32 v20, 0
	s_mov_b32 s55, exec_lo
	v_cmpx_ne_u32_e32 0, v1
	s_cbranch_execz .LBB10_302
; %bb.295:                              ;   in Loop: Header=BB10_278 Depth=2
	v_bfe_u32 v20, v1, 23, 8
	v_or_b32_e32 v17, 0x800000, v5
	s_delay_alu instid0(VALU_DEP_2) | instskip(SKIP_1) | instid1(VALU_DEP_2)
	v_sub_nc_u32_e32 v1, 0x79, v20
	v_cmp_gt_u32_e32 vcc_lo, 0x7a, v20
	v_cndmask_b32_e32 v1, 0, v1, vcc_lo
	v_cmp_eq_u32_e32 vcc_lo, 0, v20
	s_delay_alu instid0(VALU_DEP_2) | instskip(SKIP_1) | instid1(VALU_DEP_2)
	v_cndmask_b32_e64 v22, v1, 0x78, vcc_lo
	v_cndmask_b32_e32 v5, v17, v5, vcc_lo
	v_add_nc_u32_e32 v1, 20, v22
	v_add_nc_u32_e32 v17, 19, v22
	s_delay_alu instid0(VALU_DEP_2) | instskip(NEXT) | instid1(VALU_DEP_2)
	v_lshlrev_b64 v[1:2], v1, -1
	v_lshlrev_b64 v[17:18], v17, 1
	s_delay_alu instid0(VALU_DEP_2) | instskip(NEXT) | instid1(VALU_DEP_3)
	v_not_b32_e32 v2, v2
	v_not_b32_e32 v1, v1
	s_delay_alu instid0(VALU_DEP_2) | instskip(NEXT) | instid1(VALU_DEP_2)
	v_and_b32_e32 v24, 0, v2
	v_and_b32_e32 v23, v5, v1
	v_lshrrev_b64 v[1:2], v22, v[5:6]
	s_delay_alu instid0(VALU_DEP_2) | instskip(NEXT) | instid1(VALU_DEP_2)
	v_cmp_eq_u64_e64 s3, v[23:24], v[17:18]
	v_dual_mov_b32 v18, v2 :: v_dual_mov_b32 v17, v1
	s_delay_alu instid0(VALU_DEP_2)
	s_and_saveexec_b32 s56, s3
; %bb.296:                              ;   in Loop: Header=BB10_278 Depth=2
	v_bfe_u32 v5, v1, 20, 1
	s_delay_alu instid0(VALU_DEP_1) | instskip(NEXT) | instid1(VALU_DEP_1)
	v_add_co_u32 v5, s3, v1, v5
	v_add_co_u32 v17, s3, v5, -1
; %bb.297:                              ;   in Loop: Header=BB10_278 Depth=2
	s_or_b32 exec_lo, exec_lo, s56
	v_add_nc_u32_e32 v5, 0xffffff81, v20
	v_lshrrev_b32_e32 v18, 23, v1
	s_mov_b32 s3, exec_lo
	s_delay_alu instid0(VALU_DEP_2) | instskip(NEXT) | instid1(VALU_DEP_1)
	v_cndmask_b32_e64 v5, v5, 0xffffff82, vcc_lo
	v_add3_u32 v18, v22, v5, v18
	v_and_b32_e32 v5, 0xfffff, v17
	s_delay_alu instid0(VALU_DEP_2) | instskip(NEXT) | instid1(VALU_DEP_2)
	v_add_nc_u32_e32 v17, 6, v18
	v_add_co_u32 v1, vcc_lo, v5, v1
	v_add_co_ci_u32_e32 v2, vcc_lo, 0, v2, vcc_lo
                                        ; implicit-def: $vgpr5
	s_delay_alu instid0(VALU_DEP_3)
	v_cmpx_ne_u32_e32 0, v17
	s_xor_b32 s3, exec_lo, s3
; %bb.298:                              ;   in Loop: Header=BB10_278 Depth=2
	s_delay_alu instid0(VALU_DEP_2) | instskip(SKIP_1) | instid1(VALU_DEP_1)
	v_cmp_lt_u64_e32 vcc_lo, 0xffffff, v[1:2]
	v_add_nc_u32_e32 v5, 7, v18
	v_cndmask_b32_e32 v5, v17, v5, vcc_lo
	v_cndmask_b32_e64 v17, 0, 1, vcc_lo
	s_delay_alu instid0(VALU_DEP_1)
	v_lshrrev_b64 v[1:2], v17, v[1:2]
; %bb.299:                              ;   in Loop: Header=BB10_278 Depth=2
	s_and_not1_saveexec_b32 s3, s3
; %bb.300:                              ;   in Loop: Header=BB10_278 Depth=2
	s_delay_alu instid0(VALU_DEP_1)
	v_bfe_u32 v5, v1, 23, 1
; %bb.301:                              ;   in Loop: Header=BB10_278 Depth=2
	s_or_b32 exec_lo, exec_lo, s3
	s_delay_alu instid0(VALU_DEP_2) | instskip(NEXT) | instid1(VALU_DEP_2)
	v_lshrrev_b64 v[1:2], 20, v[1:2]
	v_cmp_gt_i32_e32 vcc_lo, 16, v5
	v_min_i32_e32 v17, 15, v5
	v_cmp_eq_u32_e64 s3, 0, v5
	s_delay_alu instid0(VALU_DEP_4) | instskip(NEXT) | instid1(VALU_DEP_3)
	v_dual_cndmask_b32 v2, 0, v2 :: v_dual_cndmask_b32 v1, 7, v1
	v_lshlrev_b32_e32 v17, 3, v17
	s_delay_alu instid0(VALU_DEP_2) | instskip(NEXT) | instid1(VALU_DEP_2)
	v_cmp_eq_u64_e32 vcc_lo, 0, v[1:2]
	v_and_or_b32 v1, v1, 7, v17
	s_and_b32 s3, s3, vcc_lo
	s_delay_alu instid0(VALU_DEP_1) | instid1(SALU_CYCLE_1)
	v_cndmask_b32_e64 v1, v1, 0, s3
	s_delay_alu instid0(VALU_DEP_1)
	v_or_b32_e32 v20, v1, v21
.LBB10_302:                             ;   in Loop: Header=BB10_278 Depth=2
	s_or_b32 exec_lo, exec_lo, s55
.LBB10_303:                             ;   in Loop: Header=BB10_278 Depth=2
	s_delay_alu instid0(SALU_CYCLE_1)
	s_or_b32 exec_lo, exec_lo, s54
                                        ; implicit-def: $vgpr2
.LBB10_304:                             ;   in Loop: Header=BB10_278 Depth=2
	s_and_not1_saveexec_b32 s3, s53
; %bb.305:                              ;   in Loop: Header=BB10_278 Depth=2
	v_cmp_eq_u64_e32 vcc_lo, 0, v[5:6]
	v_or_b32_e32 v1, 0x7f, v2
	s_delay_alu instid0(VALU_DEP_1)
	v_cndmask_b32_e32 v20, v1, v20, vcc_lo
; %bb.306:                              ;   in Loop: Header=BB10_278 Depth=2
	s_or_b32 exec_lo, exec_lo, s3
	v_div_scale_f32 v1, null, v46, v46, v3
	s_delay_alu instid0(VALU_DEP_1) | instskip(SKIP_2) | instid1(VALU_DEP_1)
	v_rcp_f32_e32 v2, v1
	s_waitcnt_depctr 0xfff
	v_fma_f32 v5, -v1, v2, 1.0
	v_fmac_f32_e32 v2, v5, v2
	v_div_scale_f32 v5, vcc_lo, v3, v46, v3
	s_delay_alu instid0(VALU_DEP_1) | instskip(NEXT) | instid1(VALU_DEP_1)
	v_mul_f32_e32 v17, v5, v2
	v_fma_f32 v18, -v1, v17, v5
	s_delay_alu instid0(VALU_DEP_1) | instskip(SKIP_1) | instid1(VALU_DEP_2)
	v_fmac_f32_e32 v17, v18, v2
	v_mov_b32_e32 v18, v6
	v_fma_f32 v1, -v1, v17, v5
	s_delay_alu instid0(VALU_DEP_1) | instskip(NEXT) | instid1(VALU_DEP_1)
	v_div_fmas_f32 v1, v1, v2, v17
	v_div_fixup_f32 v1, v1, v46, v3
	s_delay_alu instid0(VALU_DEP_1) | instskip(SKIP_2) | instid1(VALU_DEP_3)
	v_lshrrev_b32_e32 v2, 24, v1
	v_and_b32_e32 v17, 0x7f800000, v1
	v_and_b32_e32 v5, 0x7fffff, v1
	;; [unrolled: 1-line block ×3, first 2 shown]
	s_delay_alu instid0(VALU_DEP_3) | instskip(NEXT) | instid1(VALU_DEP_2)
	v_cmp_ne_u64_e32 vcc_lo, 0x7f800000, v[17:18]
	v_or_b32_e32 v17, 0x7e, v3
	s_and_saveexec_b32 s3, vcc_lo
	s_delay_alu instid0(SALU_CYCLE_1)
	s_xor_b32 s53, exec_lo, s3
	s_cbranch_execz .LBB10_318
; %bb.307:                              ;   in Loop: Header=BB10_278 Depth=2
	v_dual_mov_b32 v22, v6 :: v_dual_and_b32 v21, 0x7fffffff, v1
	s_mov_b32 s54, exec_lo
	s_delay_alu instid0(VALU_DEP_1)
	v_cmpx_gt_u64_e32 0x43e00001, v[21:22]
	s_cbranch_execz .LBB10_317
; %bb.308:                              ;   in Loop: Header=BB10_278 Depth=2
	v_mov_b32_e32 v17, 0
	s_mov_b32 s55, exec_lo
	v_cmpx_ne_u32_e32 0, v1
	s_cbranch_execz .LBB10_316
; %bb.309:                              ;   in Loop: Header=BB10_278 Depth=2
	v_bfe_u32 v21, v1, 23, 8
	v_or_b32_e32 v17, 0x800000, v5
	s_delay_alu instid0(VALU_DEP_2) | instskip(SKIP_1) | instid1(VALU_DEP_2)
	v_sub_nc_u32_e32 v1, 0x79, v21
	v_cmp_gt_u32_e32 vcc_lo, 0x7a, v21
	v_cndmask_b32_e32 v1, 0, v1, vcc_lo
	v_cmp_eq_u32_e32 vcc_lo, 0, v21
	s_delay_alu instid0(VALU_DEP_2) | instskip(SKIP_1) | instid1(VALU_DEP_2)
	v_cndmask_b32_e64 v22, v1, 0x78, vcc_lo
	v_cndmask_b32_e32 v5, v17, v5, vcc_lo
	v_add_nc_u32_e32 v1, 20, v22
	v_add_nc_u32_e32 v17, 19, v22
	s_delay_alu instid0(VALU_DEP_2) | instskip(NEXT) | instid1(VALU_DEP_2)
	v_lshlrev_b64 v[1:2], v1, -1
	v_lshlrev_b64 v[17:18], v17, 1
	s_delay_alu instid0(VALU_DEP_2) | instskip(NEXT) | instid1(VALU_DEP_3)
	v_not_b32_e32 v2, v2
	v_not_b32_e32 v1, v1
	s_delay_alu instid0(VALU_DEP_2) | instskip(NEXT) | instid1(VALU_DEP_2)
	v_and_b32_e32 v24, 0, v2
	v_and_b32_e32 v23, v5, v1
	v_lshrrev_b64 v[1:2], v22, v[5:6]
	s_delay_alu instid0(VALU_DEP_2) | instskip(NEXT) | instid1(VALU_DEP_2)
	v_cmp_eq_u64_e64 s3, v[23:24], v[17:18]
	v_dual_mov_b32 v18, v2 :: v_dual_mov_b32 v17, v1
	s_delay_alu instid0(VALU_DEP_2)
	s_and_saveexec_b32 s56, s3
; %bb.310:                              ;   in Loop: Header=BB10_278 Depth=2
	v_bfe_u32 v5, v1, 20, 1
	s_delay_alu instid0(VALU_DEP_1) | instskip(NEXT) | instid1(VALU_DEP_1)
	v_add_co_u32 v5, s3, v1, v5
	v_add_co_u32 v17, s3, v5, -1
; %bb.311:                              ;   in Loop: Header=BB10_278 Depth=2
	s_or_b32 exec_lo, exec_lo, s56
	v_add_nc_u32_e32 v5, 0xffffff81, v21
	v_lshrrev_b32_e32 v18, 23, v1
	s_mov_b32 s3, exec_lo
	s_delay_alu instid0(VALU_DEP_2) | instskip(NEXT) | instid1(VALU_DEP_1)
	v_cndmask_b32_e64 v5, v5, 0xffffff82, vcc_lo
	v_add3_u32 v18, v22, v5, v18
	v_and_b32_e32 v5, 0xfffff, v17
	s_delay_alu instid0(VALU_DEP_2) | instskip(NEXT) | instid1(VALU_DEP_2)
	v_add_nc_u32_e32 v17, 6, v18
	v_add_co_u32 v1, vcc_lo, v5, v1
	v_add_co_ci_u32_e32 v2, vcc_lo, 0, v2, vcc_lo
                                        ; implicit-def: $vgpr5
	s_delay_alu instid0(VALU_DEP_3)
	v_cmpx_ne_u32_e32 0, v17
	s_xor_b32 s3, exec_lo, s3
; %bb.312:                              ;   in Loop: Header=BB10_278 Depth=2
	s_delay_alu instid0(VALU_DEP_2) | instskip(SKIP_1) | instid1(VALU_DEP_1)
	v_cmp_lt_u64_e32 vcc_lo, 0xffffff, v[1:2]
	v_add_nc_u32_e32 v5, 7, v18
	v_cndmask_b32_e32 v5, v17, v5, vcc_lo
	v_cndmask_b32_e64 v17, 0, 1, vcc_lo
	s_delay_alu instid0(VALU_DEP_1)
	v_lshrrev_b64 v[1:2], v17, v[1:2]
; %bb.313:                              ;   in Loop: Header=BB10_278 Depth=2
	s_and_not1_saveexec_b32 s3, s3
; %bb.314:                              ;   in Loop: Header=BB10_278 Depth=2
	s_delay_alu instid0(VALU_DEP_1)
	v_bfe_u32 v5, v1, 23, 1
; %bb.315:                              ;   in Loop: Header=BB10_278 Depth=2
	s_or_b32 exec_lo, exec_lo, s3
	s_delay_alu instid0(VALU_DEP_2) | instskip(NEXT) | instid1(VALU_DEP_2)
	v_lshrrev_b64 v[1:2], 20, v[1:2]
	v_cmp_gt_i32_e32 vcc_lo, 16, v5
	v_min_i32_e32 v17, 15, v5
	v_cmp_eq_u32_e64 s3, 0, v5
	s_delay_alu instid0(VALU_DEP_4) | instskip(NEXT) | instid1(VALU_DEP_3)
	v_dual_cndmask_b32 v2, 0, v2 :: v_dual_cndmask_b32 v1, 7, v1
	v_lshlrev_b32_e32 v17, 3, v17
	s_delay_alu instid0(VALU_DEP_2) | instskip(NEXT) | instid1(VALU_DEP_2)
	v_cmp_eq_u64_e32 vcc_lo, 0, v[1:2]
	v_and_or_b32 v1, v1, 7, v17
	s_and_b32 s3, s3, vcc_lo
	s_delay_alu instid0(VALU_DEP_1) | instid1(SALU_CYCLE_1)
	v_cndmask_b32_e64 v1, v1, 0, s3
	s_delay_alu instid0(VALU_DEP_1)
	v_or_b32_e32 v17, v1, v3
.LBB10_316:                             ;   in Loop: Header=BB10_278 Depth=2
	s_or_b32 exec_lo, exec_lo, s55
.LBB10_317:                             ;   in Loop: Header=BB10_278 Depth=2
	s_delay_alu instid0(SALU_CYCLE_1)
	s_or_b32 exec_lo, exec_lo, s54
                                        ; implicit-def: $vgpr2
.LBB10_318:                             ;   in Loop: Header=BB10_278 Depth=2
	s_and_not1_saveexec_b32 s3, s53
; %bb.319:                              ;   in Loop: Header=BB10_278 Depth=2
	v_cmp_eq_u64_e32 vcc_lo, 0, v[5:6]
	v_or_b32_e32 v1, 0x7f, v2
	s_delay_alu instid0(VALU_DEP_1)
	v_cndmask_b32_e32 v17, v1, v17, vcc_lo
; %bb.320:                              ;   in Loop: Header=BB10_278 Depth=2
	s_or_b32 exec_lo, exec_lo, s3
	v_div_scale_f32 v1, null, v46, v46, v4
	s_mov_b32 s3, exec_lo
	v_mov_b32_e32 v22, v6
	s_delay_alu instid0(VALU_DEP_2) | instskip(SKIP_2) | instid1(VALU_DEP_1)
	v_rcp_f32_e32 v2, v1
	s_waitcnt_depctr 0xfff
	v_fma_f32 v3, -v1, v2, 1.0
	v_fmac_f32_e32 v2, v3, v2
	v_div_scale_f32 v3, vcc_lo, v4, v46, v4
	s_delay_alu instid0(VALU_DEP_1) | instskip(NEXT) | instid1(VALU_DEP_1)
	v_mul_f32_e32 v5, v3, v2
	v_fma_f32 v18, -v1, v5, v3
	s_delay_alu instid0(VALU_DEP_1) | instskip(NEXT) | instid1(VALU_DEP_1)
	v_fmac_f32_e32 v5, v18, v2
	v_fma_f32 v1, -v1, v5, v3
	s_delay_alu instid0(VALU_DEP_1) | instskip(NEXT) | instid1(VALU_DEP_1)
	v_div_fmas_f32 v1, v1, v2, v5
	v_div_fixup_f32 v2, v1, v46, v4
	s_delay_alu instid0(VALU_DEP_1) | instskip(SKIP_2) | instid1(VALU_DEP_3)
	v_lshrrev_b32_e32 v3, 24, v2
	v_and_b32_e32 v21, 0x7f800000, v2
	v_and_b32_e32 v5, 0x7fffff, v2
	;; [unrolled: 1-line block ×3, first 2 shown]
	s_delay_alu instid0(VALU_DEP_1) | instskip(NEXT) | instid1(VALU_DEP_4)
	v_or_b32_e32 v1, 0x7e, v18
	v_cmpx_ne_u64_e32 0x7f800000, v[21:22]
	s_xor_b32 s53, exec_lo, s3
	s_cbranch_execz .LBB10_332
; %bb.321:                              ;   in Loop: Header=BB10_278 Depth=2
	v_dual_mov_b32 v4, v6 :: v_dual_and_b32 v3, 0x7fffffff, v2
	s_mov_b32 s54, exec_lo
	s_delay_alu instid0(VALU_DEP_1)
	v_cmpx_gt_u64_e32 0x43e00001, v[3:4]
	s_cbranch_execz .LBB10_331
; %bb.322:                              ;   in Loop: Header=BB10_278 Depth=2
	v_mov_b32_e32 v1, 0
	s_mov_b32 s55, exec_lo
	v_cmpx_ne_u32_e32 0, v2
	s_cbranch_execz .LBB10_330
; %bb.323:                              ;   in Loop: Header=BB10_278 Depth=2
	v_bfe_u32 v21, v2, 23, 8
	v_or_b32_e32 v3, 0x800000, v5
	s_delay_alu instid0(VALU_DEP_2) | instskip(SKIP_1) | instid1(VALU_DEP_2)
	v_sub_nc_u32_e32 v1, 0x79, v21
	v_cmp_gt_u32_e32 vcc_lo, 0x7a, v21
	v_cndmask_b32_e32 v1, 0, v1, vcc_lo
	v_cmp_eq_u32_e32 vcc_lo, 0, v21
	s_delay_alu instid0(VALU_DEP_2) | instskip(SKIP_1) | instid1(VALU_DEP_2)
	v_cndmask_b32_e64 v22, v1, 0x78, vcc_lo
	v_cndmask_b32_e32 v5, v3, v5, vcc_lo
	v_add_nc_u32_e32 v1, 20, v22
	v_add_nc_u32_e32 v3, 19, v22
	s_delay_alu instid0(VALU_DEP_2) | instskip(NEXT) | instid1(VALU_DEP_2)
	v_lshlrev_b64 v[1:2], v1, -1
	v_lshlrev_b64 v[3:4], v3, 1
	s_delay_alu instid0(VALU_DEP_2) | instskip(NEXT) | instid1(VALU_DEP_3)
	v_not_b32_e32 v2, v2
	v_not_b32_e32 v1, v1
	s_delay_alu instid0(VALU_DEP_2) | instskip(NEXT) | instid1(VALU_DEP_2)
	v_and_b32_e32 v24, 0, v2
	v_and_b32_e32 v23, v5, v1
	v_lshrrev_b64 v[1:2], v22, v[5:6]
	s_delay_alu instid0(VALU_DEP_2) | instskip(NEXT) | instid1(VALU_DEP_2)
	v_cmp_eq_u64_e64 s3, v[23:24], v[3:4]
	v_dual_mov_b32 v4, v2 :: v_dual_mov_b32 v3, v1
	s_delay_alu instid0(VALU_DEP_2)
	s_and_saveexec_b32 s56, s3
; %bb.324:                              ;   in Loop: Header=BB10_278 Depth=2
	v_bfe_u32 v3, v1, 20, 1
	s_delay_alu instid0(VALU_DEP_1) | instskip(NEXT) | instid1(VALU_DEP_1)
	v_add_co_u32 v3, s3, v1, v3
	v_add_co_u32 v3, s3, v3, -1
; %bb.325:                              ;   in Loop: Header=BB10_278 Depth=2
	s_or_b32 exec_lo, exec_lo, s56
	v_add_nc_u32_e32 v4, 0xffffff81, v21
	v_lshrrev_b32_e32 v5, 23, v1
	s_delay_alu instid0(VALU_DEP_3) | instskip(SKIP_1) | instid1(VALU_DEP_3)
	v_and_b32_e32 v3, 0xfffff, v3
	s_mov_b32 s3, exec_lo
	v_cndmask_b32_e64 v4, v4, 0xffffff82, vcc_lo
	s_delay_alu instid0(VALU_DEP_2) | instskip(SKIP_1) | instid1(VALU_DEP_3)
	v_add_co_u32 v1, vcc_lo, v3, v1
	v_add_co_ci_u32_e32 v2, vcc_lo, 0, v2, vcc_lo
	v_add3_u32 v4, v22, v4, v5
                                        ; implicit-def: $vgpr3
	s_delay_alu instid0(VALU_DEP_1) | instskip(NEXT) | instid1(VALU_DEP_1)
	v_add_nc_u32_e32 v5, 6, v4
	v_cmpx_ne_u32_e32 0, v5
	s_xor_b32 s3, exec_lo, s3
; %bb.326:                              ;   in Loop: Header=BB10_278 Depth=2
	v_cmp_lt_u64_e32 vcc_lo, 0xffffff, v[1:2]
	v_add_nc_u32_e32 v3, 7, v4
	v_cndmask_b32_e64 v4, 0, 1, vcc_lo
	s_delay_alu instid0(VALU_DEP_2) | instskip(NEXT) | instid1(VALU_DEP_2)
	v_cndmask_b32_e32 v3, v5, v3, vcc_lo
	v_lshrrev_b64 v[1:2], v4, v[1:2]
; %bb.327:                              ;   in Loop: Header=BB10_278 Depth=2
	s_and_not1_saveexec_b32 s3, s3
; %bb.328:                              ;   in Loop: Header=BB10_278 Depth=2
	s_delay_alu instid0(VALU_DEP_1)
	v_bfe_u32 v3, v1, 23, 1
; %bb.329:                              ;   in Loop: Header=BB10_278 Depth=2
	s_or_b32 exec_lo, exec_lo, s3
	s_delay_alu instid0(VALU_DEP_2) | instskip(NEXT) | instid1(VALU_DEP_2)
	v_lshrrev_b64 v[1:2], 20, v[1:2]
	v_cmp_gt_i32_e32 vcc_lo, 16, v3
	v_min_i32_e32 v4, 15, v3
	v_cmp_eq_u32_e64 s3, 0, v3
	s_delay_alu instid0(VALU_DEP_4) | instskip(NEXT) | instid1(VALU_DEP_3)
	v_dual_cndmask_b32 v2, 0, v2 :: v_dual_cndmask_b32 v1, 7, v1
	v_lshlrev_b32_e32 v4, 3, v4
	s_delay_alu instid0(VALU_DEP_2) | instskip(NEXT) | instid1(VALU_DEP_2)
	v_cmp_eq_u64_e32 vcc_lo, 0, v[1:2]
	v_and_or_b32 v1, v1, 7, v4
	s_and_b32 s3, s3, vcc_lo
	s_delay_alu instid0(VALU_DEP_1) | instid1(SALU_CYCLE_1)
	v_cndmask_b32_e64 v1, v1, 0, s3
	s_delay_alu instid0(VALU_DEP_1)
	v_or_b32_e32 v1, v1, v18
.LBB10_330:                             ;   in Loop: Header=BB10_278 Depth=2
	s_or_b32 exec_lo, exec_lo, s55
.LBB10_331:                             ;   in Loop: Header=BB10_278 Depth=2
	s_delay_alu instid0(SALU_CYCLE_1)
	s_or_b32 exec_lo, exec_lo, s54
                                        ; implicit-def: $vgpr3
.LBB10_332:                             ;   in Loop: Header=BB10_278 Depth=2
	s_and_not1_saveexec_b32 s3, s53
	s_cbranch_execz .LBB10_277
; %bb.333:                              ;   in Loop: Header=BB10_278 Depth=2
	v_cmp_eq_u64_e32 vcc_lo, 0, v[5:6]
	v_or_b32_e32 v2, 0x7f, v3
	s_delay_alu instid0(VALU_DEP_1)
	v_cndmask_b32_e32 v1, v2, v1, vcc_lo
	s_branch .LBB10_277
.LBB10_334:
	s_or_b32 exec_lo, exec_lo, s38
	s_mov_b32 s2, 0
.LBB10_335:
	s_delay_alu instid0(SALU_CYCLE_1)
	s_and_not1_b32 vcc_lo, exec_lo, s2
	s_cbranch_vccnz .LBB10_664
; %bb.336:
	s_load_b32 s0, s[0:1], 0x84
	s_load_b32 s24, s[24:25], 0x0
	;; [unrolled: 1-line block ×3, first 2 shown]
	s_and_b32 s2, s34, 15
	s_mov_b32 s3, 0
	s_mul_i32 s17, s21, s20
	s_waitcnt lgkmcnt(0)
	s_and_b32 s16, s0, 0xffff
	s_cmp_lg_u64 s[2:3], 0
	s_cselect_b32 s0, -1, 0
	s_and_b32 s2, s17, 3
	s_delay_alu instid0(SALU_CYCLE_1) | instskip(SKIP_3) | instid1(SALU_CYCLE_1)
	s_cmp_eq_u32 s2, 0
	s_cselect_b32 s20, -1, 0
	s_cmp_lg_u32 s2, 0
	s_cselect_b32 s2, -1, 0
	s_or_b32 s0, s0, s2
	s_delay_alu instid0(SALU_CYCLE_1)
	s_and_b32 vcc_lo, exec_lo, s0
	s_mov_b32 s0, -1
	s_cbranch_vccz .LBB10_440
; %bb.337:
	s_sub_i32 s0, 0, s34
	s_mov_b32 s3, exec_lo
	s_bfe_u32 s0, s0, 0x20002
	s_delay_alu instid0(SALU_CYCLE_1) | instskip(NEXT) | instid1(SALU_CYCLE_1)
	s_min_i32 s2, s0, s17
	v_cmpx_gt_i32_e64 s2, v0
	s_cbranch_execz .LBB10_359
; %bb.338:
	v_dual_mov_b32 v2, 0 :: v_dual_lshlrev_b32 v3, 2, v0
	s_add_u32 s0, s4, s18
	s_addc_u32 s21, s5, s19
	s_lshl_b32 s25, s16, 2
	s_delay_alu instid0(VALU_DEP_1) | instskip(SKIP_1) | instid1(VALU_DEP_1)
	v_mov_b32_e32 v1, v2
	v_add_co_u32 v3, s0, s0, v3
	v_add_co_ci_u32_e64 v4, null, s21, 0, s0
	s_delay_alu instid0(VALU_DEP_3)
	v_dual_mov_b32 v6, v1 :: v_dual_mov_b32 v5, v0
	s_mov_b32 s21, 0
	s_branch .LBB10_340
.LBB10_339:                             ;   in Loop: Header=BB10_340 Depth=1
	s_or_b32 exec_lo, exec_lo, s0
	v_add_co_u32 v9, vcc_lo, s31, v5
	v_add_co_ci_u32_e32 v10, vcc_lo, s33, v6, vcc_lo
	v_add_co_u32 v5, vcc_lo, v5, s16
	v_add_co_ci_u32_e32 v6, vcc_lo, 0, v6, vcc_lo
	v_add_co_u32 v3, s0, v3, s25
	s_delay_alu instid0(VALU_DEP_3) | instskip(SKIP_3) | instid1(SALU_CYCLE_1)
	v_cmp_le_i32_e32 vcc_lo, s2, v5
	v_add_co_ci_u32_e64 v4, s0, 0, v4, s0
	global_store_b8 v[9:10], v8, off
	s_or_b32 s21, vcc_lo, s21
	s_and_not1_b32 exec_lo, exec_lo, s21
	s_cbranch_execz .LBB10_359
.LBB10_340:                             ; =>This Inner Loop Header: Depth=1
	global_load_b32 v1, v[3:4], off
	s_mov_b32 s0, exec_lo
	v_mov_b32_e32 v13, v2
	s_waitcnt vmcnt(0)
	v_div_scale_f32 v7, null, s24, s24, v1
	s_delay_alu instid0(VALU_DEP_1) | instskip(SKIP_2) | instid1(VALU_DEP_1)
	v_rcp_f32_e32 v8, v7
	s_waitcnt_depctr 0xfff
	v_fma_f32 v9, -v7, v8, 1.0
	v_fmac_f32_e32 v8, v9, v8
	v_div_scale_f32 v9, vcc_lo, v1, s24, v1
	s_delay_alu instid0(VALU_DEP_1) | instskip(NEXT) | instid1(VALU_DEP_1)
	v_mul_f32_e32 v10, v9, v8
	v_fma_f32 v11, -v7, v10, v9
	s_delay_alu instid0(VALU_DEP_1) | instskip(NEXT) | instid1(VALU_DEP_1)
	v_fmac_f32_e32 v10, v11, v8
	v_fma_f32 v7, -v7, v10, v9
	s_delay_alu instid0(VALU_DEP_1) | instskip(NEXT) | instid1(VALU_DEP_1)
	v_div_fmas_f32 v7, v7, v8, v10
	v_div_fixup_f32 v7, v7, s24, v1
	s_delay_alu instid0(VALU_DEP_1) | instskip(SKIP_2) | instid1(VALU_DEP_2)
	v_and_b32_e32 v1, 0x7fffff, v7
	v_lshrrev_b32_e32 v9, 24, v7
	v_and_b32_e32 v12, 0x7f800000, v7
	v_and_b32_e32 v11, 0x80, v9
	s_delay_alu instid0(VALU_DEP_1) | instskip(NEXT) | instid1(VALU_DEP_3)
	v_or_b32_e32 v8, 0x7e, v11
	v_cmpx_ne_u64_e32 0x7f800000, v[12:13]
	s_xor_b32 s26, exec_lo, s0
	s_cbranch_execz .LBB10_356
; %bb.341:                              ;   in Loop: Header=BB10_340 Depth=1
	v_dual_mov_b32 v10, v2 :: v_dual_and_b32 v9, 0x7fffffff, v7
	s_mov_b32 s0, exec_lo
	s_delay_alu instid0(VALU_DEP_1)
	v_cmpx_gt_u64_e32 0x43e00001, v[9:10]
	s_xor_b32 s27, exec_lo, s0
	s_cbranch_execz .LBB10_355
; %bb.342:                              ;   in Loop: Header=BB10_340 Depth=1
	v_mov_b32_e32 v8, 0
	s_mov_b32 s34, exec_lo
	v_cmpx_ne_u32_e32 0, v7
	s_cbranch_execz .LBB10_354
; %bb.343:                              ;   in Loop: Header=BB10_340 Depth=1
	v_bfe_u32 v12, v7, 23, 8
	v_or_b32_e32 v9, 0x800000, v1
	s_delay_alu instid0(VALU_DEP_2) | instskip(SKIP_1) | instid1(VALU_DEP_2)
	v_sub_nc_u32_e32 v7, 0x79, v12
	v_cmp_gt_u32_e32 vcc_lo, 0x7a, v12
	v_cndmask_b32_e32 v7, 0, v7, vcc_lo
	v_cmp_eq_u32_e32 vcc_lo, 0, v12
	s_delay_alu instid0(VALU_DEP_2) | instskip(SKIP_1) | instid1(VALU_DEP_2)
	v_cndmask_b32_e64 v13, v7, 0x78, vcc_lo
	v_cndmask_b32_e32 v1, v9, v1, vcc_lo
	v_add_nc_u32_e32 v7, 20, v13
	v_add_nc_u32_e32 v9, 19, v13
	s_delay_alu instid0(VALU_DEP_2) | instskip(NEXT) | instid1(VALU_DEP_2)
	v_lshlrev_b64 v[7:8], v7, -1
	v_lshlrev_b64 v[9:10], v9, 1
	s_delay_alu instid0(VALU_DEP_2) | instskip(NEXT) | instid1(VALU_DEP_3)
	v_not_b32_e32 v8, v8
	v_not_b32_e32 v7, v7
	s_delay_alu instid0(VALU_DEP_2) | instskip(NEXT) | instid1(VALU_DEP_2)
	v_and_b32_e32 v15, 0, v8
	v_and_b32_e32 v14, v1, v7
	v_lshrrev_b64 v[7:8], v13, v[1:2]
	s_delay_alu instid0(VALU_DEP_2) | instskip(NEXT) | instid1(VALU_DEP_2)
	v_cmp_eq_u64_e64 s0, v[14:15], v[9:10]
	v_dual_mov_b32 v10, v8 :: v_dual_mov_b32 v9, v7
	s_delay_alu instid0(VALU_DEP_2)
	s_and_saveexec_b32 s35, s0
; %bb.344:                              ;   in Loop: Header=BB10_340 Depth=1
	v_bfe_u32 v1, v7, 20, 1
	s_delay_alu instid0(VALU_DEP_1) | instskip(NEXT) | instid1(VALU_DEP_1)
	v_add_co_u32 v1, s0, v7, v1
	v_add_co_u32 v9, s0, v1, -1
; %bb.345:                              ;   in Loop: Header=BB10_340 Depth=1
	s_or_b32 exec_lo, exec_lo, s35
	v_add_nc_u32_e32 v1, 0xffffff81, v12
	v_lshrrev_b32_e32 v10, 23, v7
	s_mov_b32 s0, exec_lo
	s_delay_alu instid0(VALU_DEP_2) | instskip(NEXT) | instid1(VALU_DEP_1)
	v_cndmask_b32_e64 v1, v1, 0xffffff82, vcc_lo
	v_add3_u32 v10, v13, v1, v10
	v_and_b32_e32 v1, 0xfffff, v9
	s_delay_alu instid0(VALU_DEP_2) | instskip(NEXT) | instid1(VALU_DEP_2)
	v_add_nc_u32_e32 v9, 6, v10
	v_add_co_u32 v7, vcc_lo, v1, v7
	v_add_co_ci_u32_e32 v8, vcc_lo, 0, v8, vcc_lo
                                        ; implicit-def: $vgpr1
	s_delay_alu instid0(VALU_DEP_3)
	v_cmpx_ne_u32_e32 0, v9
	s_xor_b32 s0, exec_lo, s0
; %bb.346:                              ;   in Loop: Header=BB10_340 Depth=1
	s_delay_alu instid0(VALU_DEP_2) | instskip(SKIP_1) | instid1(VALU_DEP_1)
	v_cmp_lt_u64_e32 vcc_lo, 0xffffff, v[7:8]
	v_add_nc_u32_e32 v1, 7, v10
	v_cndmask_b32_e32 v1, v9, v1, vcc_lo
	v_cndmask_b32_e64 v9, 0, 1, vcc_lo
	s_delay_alu instid0(VALU_DEP_1)
	v_lshrrev_b64 v[7:8], v9, v[7:8]
; %bb.347:                              ;   in Loop: Header=BB10_340 Depth=1
	s_and_not1_saveexec_b32 s0, s0
; %bb.348:                              ;   in Loop: Header=BB10_340 Depth=1
	s_delay_alu instid0(VALU_DEP_1)
	v_bfe_u32 v1, v7, 23, 1
; %bb.349:                              ;   in Loop: Header=BB10_340 Depth=1
	s_or_b32 exec_lo, exec_lo, s0
	s_delay_alu instid0(VALU_DEP_2) | instskip(NEXT) | instid1(VALU_DEP_2)
	v_lshrrev_b64 v[7:8], 20, v[7:8]
	v_cmp_gt_i32_e32 vcc_lo, 16, v1
	v_cmp_ne_u32_e64 s0, 0, v1
	s_delay_alu instid0(VALU_DEP_3) | instskip(NEXT) | instid1(VALU_DEP_1)
	v_dual_cndmask_b32 v8, 0, v8 :: v_dual_cndmask_b32 v7, 7, v7
	v_cmp_ne_u64_e32 vcc_lo, 0, v[7:8]
                                        ; implicit-def: $vgpr8
	s_delay_alu instid0(VALU_DEP_3) | instskip(NEXT) | instid1(SALU_CYCLE_1)
	s_or_b32 s0, s0, vcc_lo
	s_and_saveexec_b32 s35, s0
	s_delay_alu instid0(SALU_CYCLE_1)
	s_xor_b32 s0, exec_lo, s35
; %bb.350:                              ;   in Loop: Header=BB10_340 Depth=1
	v_min_i32_e32 v1, 15, v1
	s_delay_alu instid0(VALU_DEP_1) | instskip(NEXT) | instid1(VALU_DEP_1)
	v_lshl_or_b32 v1, v1, 3, v11
                                        ; implicit-def: $vgpr11
	v_and_or_b32 v8, v7, 7, v1
; %bb.351:                              ;   in Loop: Header=BB10_340 Depth=1
	s_and_not1_saveexec_b32 s0, s0
; %bb.352:                              ;   in Loop: Header=BB10_340 Depth=1
	v_mov_b32_e32 v8, v11
; %bb.353:                              ;   in Loop: Header=BB10_340 Depth=1
	s_or_b32 exec_lo, exec_lo, s0
.LBB10_354:                             ;   in Loop: Header=BB10_340 Depth=1
	s_delay_alu instid0(SALU_CYCLE_1)
	s_or_b32 exec_lo, exec_lo, s34
.LBB10_355:                             ;   in Loop: Header=BB10_340 Depth=1
	s_and_not1_saveexec_b32 s0, s27
	s_delay_alu instid0(SALU_CYCLE_1)
	s_or_b32 exec_lo, exec_lo, s0
                                        ; implicit-def: $vgpr9
.LBB10_356:                             ;   in Loop: Header=BB10_340 Depth=1
	s_and_not1_saveexec_b32 s0, s26
	s_cbranch_execz .LBB10_339
; %bb.357:                              ;   in Loop: Header=BB10_340 Depth=1
	v_cmp_eq_u64_e32 vcc_lo, 0, v[1:2]
	v_or_b32_e32 v7, 0x7f, v9
	s_delay_alu instid0(VALU_DEP_1)
	v_cndmask_b32_e32 v8, v7, v8, vcc_lo
	s_branch .LBB10_339
.LBB10_358:
                                        ; implicit-def: $sgpr30_sgpr31
	s_branch .LBB10_3
.LBB10_359:
	s_or_b32 exec_lo, exec_lo, s3
	s_sub_i32 s21, s17, s2
	s_ashr_i32 s3, s2, 31
	s_ashr_i32 s0, s21, 31
	s_mov_b32 s26, exec_lo
	s_lshr_b32 s0, s0, 30
	s_delay_alu instid0(SALU_CYCLE_1) | instskip(NEXT) | instid1(SALU_CYCLE_1)
	s_add_i32 s0, s21, s0
	s_ashr_i32 s25, s0, 2
	s_delay_alu instid0(SALU_CYCLE_1)
	v_cmpx_gt_i32_e64 s25, v0
	s_cbranch_execz .LBB10_418
; %bb.360:
	s_add_u32 s0, s2, s22
	s_addc_u32 s27, s3, s15
	s_add_u32 s0, s0, s14
	s_addc_u32 s27, s27, s23
	;; [unrolled: 2-line block ×3, first 2 shown]
	s_lshl_b64 s[34:35], s[2:3], 2
	s_lshl_b32 s27, s16, 2
	v_dual_mov_b32 v15, v0 :: v_dual_lshlrev_b32 v2, 4, v0
	s_add_u32 s33, s4, s34
	s_addc_u32 s34, s5, s35
	s_add_u32 s33, s33, s18
	v_dual_mov_b32 v10, 0 :: v_dual_lshlrev_b32 v1, 2, v0
	s_addc_u32 s34, s34, s19
	v_add_co_u32 v2, s33, s33, v2
	s_delay_alu instid0(VALU_DEP_1) | instskip(NEXT) | instid1(VALU_DEP_3)
	v_add_co_ci_u32_e64 v3, null, s34, 0, s33
	v_add_co_u32 v5, s0, s0, v1
	s_delay_alu instid0(VALU_DEP_3) | instskip(SKIP_1) | instid1(VALU_DEP_4)
	v_add_co_u32 v7, vcc_lo, v2, 8
	v_add_co_ci_u32_e64 v6, null, s31, 0, s0
	v_add_co_ci_u32_e32 v8, vcc_lo, 0, v3, vcc_lo
	s_mov_b32 s31, 0
	s_lshl_b32 s33, s16, 4
	s_branch .LBB10_362
.LBB10_361:                             ;   in Loop: Header=BB10_362 Depth=1
	s_or_b32 exec_lo, exec_lo, s0
	v_lshlrev_b32_e32 v2, 16, v11
	v_lshlrev_b32_e32 v3, 8, v14
	v_and_b32_e32 v4, 0xff, v13
	v_add_nc_u32_e32 v15, s16, v15
	s_delay_alu instid0(VALU_DEP_4) | instskip(NEXT) | instid1(VALU_DEP_4)
	v_perm_b32 v1, v1, v2, 0x4020c0c
	v_and_b32_e32 v2, 0xff00, v3
	s_delay_alu instid0(VALU_DEP_3) | instskip(NEXT) | instid1(VALU_DEP_2)
	v_cmp_le_i32_e32 vcc_lo, s25, v15
	v_or3_b32 v1, v1, v2, v4
	s_or_b32 s31, vcc_lo, s31
	global_store_b32 v[5:6], v1, off
	v_add_co_u32 v5, s0, v5, s27
	s_delay_alu instid0(VALU_DEP_1) | instskip(SKIP_1) | instid1(VALU_DEP_1)
	v_add_co_ci_u32_e64 v6, s0, 0, v6, s0
	v_add_co_u32 v7, s0, v7, s33
	v_add_co_ci_u32_e64 v8, s0, 0, v8, s0
	s_and_not1_b32 exec_lo, exec_lo, s31
	s_cbranch_execz .LBB10_418
.LBB10_362:                             ; =>This Inner Loop Header: Depth=1
	global_load_b128 v[1:4], v[7:8], off offset:-8
	s_waitcnt vmcnt(0)
	v_div_scale_f32 v9, null, s24, s24, v1
	s_delay_alu instid0(VALU_DEP_1) | instskip(SKIP_2) | instid1(VALU_DEP_1)
	v_rcp_f32_e32 v11, v9
	s_waitcnt_depctr 0xfff
	v_fma_f32 v12, -v9, v11, 1.0
	v_fmac_f32_e32 v11, v12, v11
	v_div_scale_f32 v12, vcc_lo, v1, s24, v1
	s_delay_alu instid0(VALU_DEP_1) | instskip(NEXT) | instid1(VALU_DEP_1)
	v_mul_f32_e32 v13, v12, v11
	v_fma_f32 v14, -v9, v13, v12
	s_delay_alu instid0(VALU_DEP_1) | instskip(SKIP_1) | instid1(VALU_DEP_2)
	v_fmac_f32_e32 v13, v14, v11
	v_mov_b32_e32 v14, v10
	v_fma_f32 v9, -v9, v13, v12
	s_delay_alu instid0(VALU_DEP_1) | instskip(NEXT) | instid1(VALU_DEP_1)
	v_div_fmas_f32 v9, v9, v11, v13
	v_div_fixup_f32 v11, v9, s24, v1
	s_delay_alu instid0(VALU_DEP_1) | instskip(SKIP_2) | instid1(VALU_DEP_3)
	v_lshrrev_b32_e32 v12, 24, v11
	v_and_b32_e32 v13, 0x7f800000, v11
	v_and_b32_e32 v9, 0x7fffff, v11
	;; [unrolled: 1-line block ×3, first 2 shown]
	s_delay_alu instid0(VALU_DEP_3) | instskip(NEXT) | instid1(VALU_DEP_2)
	v_cmp_ne_u64_e32 vcc_lo, 0x7f800000, v[13:14]
	v_or_b32_e32 v13, 0x7e, v1
	s_and_saveexec_b32 s0, vcc_lo
	s_delay_alu instid0(SALU_CYCLE_1)
	s_xor_b32 s34, exec_lo, s0
	s_cbranch_execz .LBB10_374
; %bb.363:                              ;   in Loop: Header=BB10_362 Depth=1
	v_dual_mov_b32 v17, v10 :: v_dual_and_b32 v16, 0x7fffffff, v11
	s_mov_b32 s35, exec_lo
	s_delay_alu instid0(VALU_DEP_1)
	v_cmpx_gt_u64_e32 0x43e00001, v[16:17]
	s_cbranch_execz .LBB10_373
; %bb.364:                              ;   in Loop: Header=BB10_362 Depth=1
	v_mov_b32_e32 v13, 0
	s_mov_b32 s36, exec_lo
	v_cmpx_ne_u32_e32 0, v11
	s_cbranch_execz .LBB10_372
; %bb.365:                              ;   in Loop: Header=BB10_362 Depth=1
	v_bfe_u32 v16, v11, 23, 8
	v_or_b32_e32 v13, 0x800000, v9
	s_delay_alu instid0(VALU_DEP_2) | instskip(SKIP_1) | instid1(VALU_DEP_2)
	v_sub_nc_u32_e32 v11, 0x79, v16
	v_cmp_gt_u32_e32 vcc_lo, 0x7a, v16
	v_cndmask_b32_e32 v11, 0, v11, vcc_lo
	v_cmp_eq_u32_e32 vcc_lo, 0, v16
	s_delay_alu instid0(VALU_DEP_2) | instskip(SKIP_1) | instid1(VALU_DEP_2)
	v_cndmask_b32_e64 v17, v11, 0x78, vcc_lo
	v_cndmask_b32_e32 v9, v13, v9, vcc_lo
	v_add_nc_u32_e32 v11, 20, v17
	v_add_nc_u32_e32 v13, 19, v17
	s_delay_alu instid0(VALU_DEP_2) | instskip(NEXT) | instid1(VALU_DEP_2)
	v_lshlrev_b64 v[11:12], v11, -1
	v_lshlrev_b64 v[13:14], v13, 1
	s_delay_alu instid0(VALU_DEP_2) | instskip(NEXT) | instid1(VALU_DEP_3)
	v_not_b32_e32 v12, v12
	v_not_b32_e32 v11, v11
	s_delay_alu instid0(VALU_DEP_2) | instskip(NEXT) | instid1(VALU_DEP_2)
	v_and_b32_e32 v19, 0, v12
	v_and_b32_e32 v18, v9, v11
	v_lshrrev_b64 v[11:12], v17, v[9:10]
	s_delay_alu instid0(VALU_DEP_2) | instskip(NEXT) | instid1(VALU_DEP_2)
	v_cmp_eq_u64_e64 s0, v[18:19], v[13:14]
	v_dual_mov_b32 v14, v12 :: v_dual_mov_b32 v13, v11
	s_delay_alu instid0(VALU_DEP_2)
	s_and_saveexec_b32 s37, s0
; %bb.366:                              ;   in Loop: Header=BB10_362 Depth=1
	v_bfe_u32 v9, v11, 20, 1
	s_delay_alu instid0(VALU_DEP_1) | instskip(NEXT) | instid1(VALU_DEP_1)
	v_add_co_u32 v9, s0, v11, v9
	v_add_co_u32 v13, s0, v9, -1
; %bb.367:                              ;   in Loop: Header=BB10_362 Depth=1
	s_or_b32 exec_lo, exec_lo, s37
	v_add_nc_u32_e32 v9, 0xffffff81, v16
	v_lshrrev_b32_e32 v14, 23, v11
	s_mov_b32 s0, exec_lo
	s_delay_alu instid0(VALU_DEP_2) | instskip(NEXT) | instid1(VALU_DEP_1)
	v_cndmask_b32_e64 v9, v9, 0xffffff82, vcc_lo
	v_add3_u32 v14, v17, v9, v14
	v_and_b32_e32 v9, 0xfffff, v13
	s_delay_alu instid0(VALU_DEP_2) | instskip(NEXT) | instid1(VALU_DEP_2)
	v_add_nc_u32_e32 v13, 6, v14
	v_add_co_u32 v11, vcc_lo, v9, v11
	v_add_co_ci_u32_e32 v12, vcc_lo, 0, v12, vcc_lo
                                        ; implicit-def: $vgpr9
	s_delay_alu instid0(VALU_DEP_3)
	v_cmpx_ne_u32_e32 0, v13
	s_xor_b32 s0, exec_lo, s0
; %bb.368:                              ;   in Loop: Header=BB10_362 Depth=1
	s_delay_alu instid0(VALU_DEP_2) | instskip(SKIP_1) | instid1(VALU_DEP_1)
	v_cmp_lt_u64_e32 vcc_lo, 0xffffff, v[11:12]
	v_add_nc_u32_e32 v9, 7, v14
	v_cndmask_b32_e32 v9, v13, v9, vcc_lo
	v_cndmask_b32_e64 v13, 0, 1, vcc_lo
	s_delay_alu instid0(VALU_DEP_1)
	v_lshrrev_b64 v[11:12], v13, v[11:12]
; %bb.369:                              ;   in Loop: Header=BB10_362 Depth=1
	s_and_not1_saveexec_b32 s0, s0
; %bb.370:                              ;   in Loop: Header=BB10_362 Depth=1
	s_delay_alu instid0(VALU_DEP_1)
	v_bfe_u32 v9, v11, 23, 1
; %bb.371:                              ;   in Loop: Header=BB10_362 Depth=1
	s_or_b32 exec_lo, exec_lo, s0
	s_delay_alu instid0(VALU_DEP_2) | instskip(NEXT) | instid1(VALU_DEP_2)
	v_lshrrev_b64 v[11:12], 20, v[11:12]
	v_cmp_gt_i32_e32 vcc_lo, 16, v9
	v_min_i32_e32 v13, 15, v9
	v_cmp_eq_u32_e64 s0, 0, v9
	s_delay_alu instid0(VALU_DEP_4) | instskip(NEXT) | instid1(VALU_DEP_3)
	v_dual_cndmask_b32 v12, 0, v12 :: v_dual_cndmask_b32 v11, 7, v11
	v_lshlrev_b32_e32 v13, 3, v13
	s_delay_alu instid0(VALU_DEP_2) | instskip(NEXT) | instid1(VALU_DEP_2)
	v_cmp_eq_u64_e32 vcc_lo, 0, v[11:12]
	v_and_or_b32 v9, v11, 7, v13
	s_and_b32 s0, s0, vcc_lo
	s_delay_alu instid0(VALU_DEP_1) | instid1(SALU_CYCLE_1)
	v_cndmask_b32_e64 v9, v9, 0, s0
	s_delay_alu instid0(VALU_DEP_1)
	v_or_b32_e32 v13, v9, v1
.LBB10_372:                             ;   in Loop: Header=BB10_362 Depth=1
	s_or_b32 exec_lo, exec_lo, s36
.LBB10_373:                             ;   in Loop: Header=BB10_362 Depth=1
	s_delay_alu instid0(SALU_CYCLE_1)
	s_or_b32 exec_lo, exec_lo, s35
                                        ; implicit-def: $vgpr12
.LBB10_374:                             ;   in Loop: Header=BB10_362 Depth=1
	s_and_not1_saveexec_b32 s0, s34
; %bb.375:                              ;   in Loop: Header=BB10_362 Depth=1
	v_cmp_eq_u64_e32 vcc_lo, 0, v[9:10]
	v_or_b32_e32 v1, 0x7f, v12
	s_delay_alu instid0(VALU_DEP_1)
	v_cndmask_b32_e32 v13, v1, v13, vcc_lo
; %bb.376:                              ;   in Loop: Header=BB10_362 Depth=1
	s_or_b32 exec_lo, exec_lo, s0
	v_div_scale_f32 v1, null, s24, s24, v2
	s_mov_b32 s0, exec_lo
	s_delay_alu instid0(VALU_DEP_1) | instskip(SKIP_2) | instid1(VALU_DEP_1)
	v_rcp_f32_e32 v9, v1
	s_waitcnt_depctr 0xfff
	v_fma_f32 v11, -v1, v9, 1.0
	v_fmac_f32_e32 v9, v11, v9
	v_div_scale_f32 v11, vcc_lo, v2, s24, v2
	s_delay_alu instid0(VALU_DEP_1) | instskip(NEXT) | instid1(VALU_DEP_1)
	v_mul_f32_e32 v12, v11, v9
	v_fma_f32 v14, -v1, v12, v11
	s_delay_alu instid0(VALU_DEP_1) | instskip(NEXT) | instid1(VALU_DEP_1)
	v_fmac_f32_e32 v12, v14, v9
	v_fma_f32 v1, -v1, v12, v11
	s_delay_alu instid0(VALU_DEP_1) | instskip(SKIP_1) | instid1(VALU_DEP_2)
	v_div_fmas_f32 v1, v1, v9, v12
	v_mov_b32_e32 v12, v10
	v_div_fixup_f32 v1, v1, s24, v2
	s_delay_alu instid0(VALU_DEP_1) | instskip(SKIP_2) | instid1(VALU_DEP_3)
	v_lshrrev_b32_e32 v2, 24, v1
	v_and_b32_e32 v11, 0x7f800000, v1
	v_and_b32_e32 v9, 0x7fffff, v1
	;; [unrolled: 1-line block ×3, first 2 shown]
	s_delay_alu instid0(VALU_DEP_1) | instskip(NEXT) | instid1(VALU_DEP_4)
	v_or_b32_e32 v14, 0x7e, v16
	v_cmpx_ne_u64_e32 0x7f800000, v[11:12]
	s_xor_b32 s34, exec_lo, s0
	s_cbranch_execz .LBB10_388
; %bb.377:                              ;   in Loop: Header=BB10_362 Depth=1
	v_dual_mov_b32 v12, v10 :: v_dual_and_b32 v11, 0x7fffffff, v1
	s_mov_b32 s35, exec_lo
	s_delay_alu instid0(VALU_DEP_1)
	v_cmpx_gt_u64_e32 0x43e00001, v[11:12]
	s_cbranch_execz .LBB10_387
; %bb.378:                              ;   in Loop: Header=BB10_362 Depth=1
	v_mov_b32_e32 v14, 0
	s_mov_b32 s36, exec_lo
	v_cmpx_ne_u32_e32 0, v1
	s_cbranch_execz .LBB10_386
; %bb.379:                              ;   in Loop: Header=BB10_362 Depth=1
	v_bfe_u32 v14, v1, 23, 8
	v_or_b32_e32 v11, 0x800000, v9
	s_delay_alu instid0(VALU_DEP_2) | instskip(SKIP_1) | instid1(VALU_DEP_2)
	v_sub_nc_u32_e32 v1, 0x79, v14
	v_cmp_gt_u32_e32 vcc_lo, 0x7a, v14
	v_cndmask_b32_e32 v1, 0, v1, vcc_lo
	v_cmp_eq_u32_e32 vcc_lo, 0, v14
	s_delay_alu instid0(VALU_DEP_2) | instskip(SKIP_1) | instid1(VALU_DEP_2)
	v_cndmask_b32_e64 v17, v1, 0x78, vcc_lo
	v_cndmask_b32_e32 v9, v11, v9, vcc_lo
	v_add_nc_u32_e32 v1, 20, v17
	v_add_nc_u32_e32 v11, 19, v17
	s_delay_alu instid0(VALU_DEP_2) | instskip(NEXT) | instid1(VALU_DEP_2)
	v_lshlrev_b64 v[1:2], v1, -1
	v_lshlrev_b64 v[11:12], v11, 1
	s_delay_alu instid0(VALU_DEP_2) | instskip(NEXT) | instid1(VALU_DEP_3)
	v_not_b32_e32 v2, v2
	v_not_b32_e32 v1, v1
	s_delay_alu instid0(VALU_DEP_2) | instskip(NEXT) | instid1(VALU_DEP_2)
	v_and_b32_e32 v19, 0, v2
	v_and_b32_e32 v18, v9, v1
	v_lshrrev_b64 v[1:2], v17, v[9:10]
	s_delay_alu instid0(VALU_DEP_2) | instskip(NEXT) | instid1(VALU_DEP_2)
	v_cmp_eq_u64_e64 s0, v[18:19], v[11:12]
	v_dual_mov_b32 v12, v2 :: v_dual_mov_b32 v11, v1
	s_delay_alu instid0(VALU_DEP_2)
	s_and_saveexec_b32 s37, s0
; %bb.380:                              ;   in Loop: Header=BB10_362 Depth=1
	v_bfe_u32 v9, v1, 20, 1
	s_delay_alu instid0(VALU_DEP_1) | instskip(NEXT) | instid1(VALU_DEP_1)
	v_add_co_u32 v9, s0, v1, v9
	v_add_co_u32 v11, s0, v9, -1
; %bb.381:                              ;   in Loop: Header=BB10_362 Depth=1
	s_or_b32 exec_lo, exec_lo, s37
	v_add_nc_u32_e32 v9, 0xffffff81, v14
	v_lshrrev_b32_e32 v12, 23, v1
	s_mov_b32 s0, exec_lo
	s_delay_alu instid0(VALU_DEP_2) | instskip(NEXT) | instid1(VALU_DEP_1)
	v_cndmask_b32_e64 v9, v9, 0xffffff82, vcc_lo
	v_add3_u32 v12, v17, v9, v12
	v_and_b32_e32 v9, 0xfffff, v11
	s_delay_alu instid0(VALU_DEP_2) | instskip(NEXT) | instid1(VALU_DEP_2)
	v_add_nc_u32_e32 v11, 6, v12
	v_add_co_u32 v1, vcc_lo, v9, v1
	v_add_co_ci_u32_e32 v2, vcc_lo, 0, v2, vcc_lo
                                        ; implicit-def: $vgpr9
	s_delay_alu instid0(VALU_DEP_3)
	v_cmpx_ne_u32_e32 0, v11
	s_xor_b32 s0, exec_lo, s0
; %bb.382:                              ;   in Loop: Header=BB10_362 Depth=1
	s_delay_alu instid0(VALU_DEP_2) | instskip(SKIP_1) | instid1(VALU_DEP_1)
	v_cmp_lt_u64_e32 vcc_lo, 0xffffff, v[1:2]
	v_add_nc_u32_e32 v9, 7, v12
	v_cndmask_b32_e32 v9, v11, v9, vcc_lo
	v_cndmask_b32_e64 v11, 0, 1, vcc_lo
	s_delay_alu instid0(VALU_DEP_1)
	v_lshrrev_b64 v[1:2], v11, v[1:2]
; %bb.383:                              ;   in Loop: Header=BB10_362 Depth=1
	s_and_not1_saveexec_b32 s0, s0
; %bb.384:                              ;   in Loop: Header=BB10_362 Depth=1
	s_delay_alu instid0(VALU_DEP_1)
	v_bfe_u32 v9, v1, 23, 1
; %bb.385:                              ;   in Loop: Header=BB10_362 Depth=1
	s_or_b32 exec_lo, exec_lo, s0
	s_delay_alu instid0(VALU_DEP_2) | instskip(NEXT) | instid1(VALU_DEP_2)
	v_lshrrev_b64 v[1:2], 20, v[1:2]
	v_cmp_gt_i32_e32 vcc_lo, 16, v9
	v_min_i32_e32 v11, 15, v9
	v_cmp_eq_u32_e64 s0, 0, v9
	s_delay_alu instid0(VALU_DEP_4) | instskip(NEXT) | instid1(VALU_DEP_3)
	v_dual_cndmask_b32 v2, 0, v2 :: v_dual_cndmask_b32 v1, 7, v1
	v_lshlrev_b32_e32 v11, 3, v11
	s_delay_alu instid0(VALU_DEP_2) | instskip(NEXT) | instid1(VALU_DEP_2)
	v_cmp_eq_u64_e32 vcc_lo, 0, v[1:2]
	v_and_or_b32 v1, v1, 7, v11
	s_and_b32 s0, s0, vcc_lo
	s_delay_alu instid0(VALU_DEP_1) | instid1(SALU_CYCLE_1)
	v_cndmask_b32_e64 v1, v1, 0, s0
	s_delay_alu instid0(VALU_DEP_1)
	v_or_b32_e32 v14, v1, v16
.LBB10_386:                             ;   in Loop: Header=BB10_362 Depth=1
	s_or_b32 exec_lo, exec_lo, s36
.LBB10_387:                             ;   in Loop: Header=BB10_362 Depth=1
	s_delay_alu instid0(SALU_CYCLE_1)
	s_or_b32 exec_lo, exec_lo, s35
                                        ; implicit-def: $vgpr2
.LBB10_388:                             ;   in Loop: Header=BB10_362 Depth=1
	s_and_not1_saveexec_b32 s0, s34
; %bb.389:                              ;   in Loop: Header=BB10_362 Depth=1
	v_cmp_eq_u64_e32 vcc_lo, 0, v[9:10]
	v_or_b32_e32 v1, 0x7f, v2
	s_delay_alu instid0(VALU_DEP_1)
	v_cndmask_b32_e32 v14, v1, v14, vcc_lo
; %bb.390:                              ;   in Loop: Header=BB10_362 Depth=1
	s_or_b32 exec_lo, exec_lo, s0
	v_div_scale_f32 v1, null, s24, s24, v3
	s_delay_alu instid0(VALU_DEP_1) | instskip(SKIP_2) | instid1(VALU_DEP_1)
	v_rcp_f32_e32 v2, v1
	s_waitcnt_depctr 0xfff
	v_fma_f32 v9, -v1, v2, 1.0
	v_fmac_f32_e32 v2, v9, v2
	v_div_scale_f32 v9, vcc_lo, v3, s24, v3
	s_delay_alu instid0(VALU_DEP_1) | instskip(NEXT) | instid1(VALU_DEP_1)
	v_mul_f32_e32 v11, v9, v2
	v_fma_f32 v12, -v1, v11, v9
	s_delay_alu instid0(VALU_DEP_1) | instskip(NEXT) | instid1(VALU_DEP_1)
	v_dual_fmac_f32 v11, v12, v2 :: v_dual_mov_b32 v12, v10
	v_fma_f32 v1, -v1, v11, v9
	s_delay_alu instid0(VALU_DEP_1) | instskip(NEXT) | instid1(VALU_DEP_1)
	v_div_fmas_f32 v1, v1, v2, v11
	v_div_fixup_f32 v1, v1, s24, v3
	s_delay_alu instid0(VALU_DEP_1) | instskip(SKIP_2) | instid1(VALU_DEP_3)
	v_lshrrev_b32_e32 v2, 24, v1
	v_and_b32_e32 v11, 0x7f800000, v1
	v_and_b32_e32 v9, 0x7fffff, v1
	;; [unrolled: 1-line block ×3, first 2 shown]
	s_delay_alu instid0(VALU_DEP_3) | instskip(NEXT) | instid1(VALU_DEP_2)
	v_cmp_ne_u64_e32 vcc_lo, 0x7f800000, v[11:12]
	v_or_b32_e32 v11, 0x7e, v3
	s_and_saveexec_b32 s0, vcc_lo
	s_delay_alu instid0(SALU_CYCLE_1)
	s_xor_b32 s34, exec_lo, s0
	s_cbranch_execz .LBB10_402
; %bb.391:                              ;   in Loop: Header=BB10_362 Depth=1
	v_dual_mov_b32 v17, v10 :: v_dual_and_b32 v16, 0x7fffffff, v1
	s_mov_b32 s35, exec_lo
	s_delay_alu instid0(VALU_DEP_1)
	v_cmpx_gt_u64_e32 0x43e00001, v[16:17]
	s_cbranch_execz .LBB10_401
; %bb.392:                              ;   in Loop: Header=BB10_362 Depth=1
	v_mov_b32_e32 v11, 0
	s_mov_b32 s36, exec_lo
	v_cmpx_ne_u32_e32 0, v1
	s_cbranch_execz .LBB10_400
; %bb.393:                              ;   in Loop: Header=BB10_362 Depth=1
	v_bfe_u32 v16, v1, 23, 8
	v_or_b32_e32 v11, 0x800000, v9
	s_delay_alu instid0(VALU_DEP_2) | instskip(SKIP_1) | instid1(VALU_DEP_2)
	v_sub_nc_u32_e32 v1, 0x79, v16
	v_cmp_gt_u32_e32 vcc_lo, 0x7a, v16
	v_cndmask_b32_e32 v1, 0, v1, vcc_lo
	v_cmp_eq_u32_e32 vcc_lo, 0, v16
	s_delay_alu instid0(VALU_DEP_2) | instskip(SKIP_1) | instid1(VALU_DEP_2)
	v_cndmask_b32_e64 v17, v1, 0x78, vcc_lo
	v_cndmask_b32_e32 v9, v11, v9, vcc_lo
	v_add_nc_u32_e32 v1, 20, v17
	v_add_nc_u32_e32 v11, 19, v17
	s_delay_alu instid0(VALU_DEP_2) | instskip(NEXT) | instid1(VALU_DEP_2)
	v_lshlrev_b64 v[1:2], v1, -1
	v_lshlrev_b64 v[11:12], v11, 1
	s_delay_alu instid0(VALU_DEP_2) | instskip(NEXT) | instid1(VALU_DEP_3)
	v_not_b32_e32 v2, v2
	v_not_b32_e32 v1, v1
	s_delay_alu instid0(VALU_DEP_2) | instskip(NEXT) | instid1(VALU_DEP_2)
	v_and_b32_e32 v19, 0, v2
	v_and_b32_e32 v18, v9, v1
	v_lshrrev_b64 v[1:2], v17, v[9:10]
	s_delay_alu instid0(VALU_DEP_2) | instskip(NEXT) | instid1(VALU_DEP_2)
	v_cmp_eq_u64_e64 s0, v[18:19], v[11:12]
	v_dual_mov_b32 v12, v2 :: v_dual_mov_b32 v11, v1
	s_delay_alu instid0(VALU_DEP_2)
	s_and_saveexec_b32 s37, s0
; %bb.394:                              ;   in Loop: Header=BB10_362 Depth=1
	v_bfe_u32 v9, v1, 20, 1
	s_delay_alu instid0(VALU_DEP_1) | instskip(NEXT) | instid1(VALU_DEP_1)
	v_add_co_u32 v9, s0, v1, v9
	v_add_co_u32 v11, s0, v9, -1
; %bb.395:                              ;   in Loop: Header=BB10_362 Depth=1
	s_or_b32 exec_lo, exec_lo, s37
	v_add_nc_u32_e32 v9, 0xffffff81, v16
	v_lshrrev_b32_e32 v12, 23, v1
	s_mov_b32 s0, exec_lo
	s_delay_alu instid0(VALU_DEP_2) | instskip(NEXT) | instid1(VALU_DEP_1)
	v_cndmask_b32_e64 v9, v9, 0xffffff82, vcc_lo
	v_add3_u32 v12, v17, v9, v12
	v_and_b32_e32 v9, 0xfffff, v11
	s_delay_alu instid0(VALU_DEP_2) | instskip(NEXT) | instid1(VALU_DEP_2)
	v_add_nc_u32_e32 v11, 6, v12
	v_add_co_u32 v1, vcc_lo, v9, v1
	v_add_co_ci_u32_e32 v2, vcc_lo, 0, v2, vcc_lo
                                        ; implicit-def: $vgpr9
	s_delay_alu instid0(VALU_DEP_3)
	v_cmpx_ne_u32_e32 0, v11
	s_xor_b32 s0, exec_lo, s0
; %bb.396:                              ;   in Loop: Header=BB10_362 Depth=1
	s_delay_alu instid0(VALU_DEP_2) | instskip(SKIP_1) | instid1(VALU_DEP_1)
	v_cmp_lt_u64_e32 vcc_lo, 0xffffff, v[1:2]
	v_add_nc_u32_e32 v9, 7, v12
	v_cndmask_b32_e32 v9, v11, v9, vcc_lo
	v_cndmask_b32_e64 v11, 0, 1, vcc_lo
	s_delay_alu instid0(VALU_DEP_1)
	v_lshrrev_b64 v[1:2], v11, v[1:2]
; %bb.397:                              ;   in Loop: Header=BB10_362 Depth=1
	s_and_not1_saveexec_b32 s0, s0
; %bb.398:                              ;   in Loop: Header=BB10_362 Depth=1
	s_delay_alu instid0(VALU_DEP_1)
	v_bfe_u32 v9, v1, 23, 1
; %bb.399:                              ;   in Loop: Header=BB10_362 Depth=1
	s_or_b32 exec_lo, exec_lo, s0
	s_delay_alu instid0(VALU_DEP_2) | instskip(NEXT) | instid1(VALU_DEP_2)
	v_lshrrev_b64 v[1:2], 20, v[1:2]
	v_cmp_gt_i32_e32 vcc_lo, 16, v9
	v_min_i32_e32 v11, 15, v9
	v_cmp_eq_u32_e64 s0, 0, v9
	s_delay_alu instid0(VALU_DEP_4) | instskip(NEXT) | instid1(VALU_DEP_3)
	v_dual_cndmask_b32 v2, 0, v2 :: v_dual_cndmask_b32 v1, 7, v1
	v_lshlrev_b32_e32 v11, 3, v11
	s_delay_alu instid0(VALU_DEP_2) | instskip(NEXT) | instid1(VALU_DEP_2)
	v_cmp_eq_u64_e32 vcc_lo, 0, v[1:2]
	v_and_or_b32 v1, v1, 7, v11
	s_and_b32 s0, s0, vcc_lo
	s_delay_alu instid0(VALU_DEP_1) | instid1(SALU_CYCLE_1)
	v_cndmask_b32_e64 v1, v1, 0, s0
	s_delay_alu instid0(VALU_DEP_1)
	v_or_b32_e32 v11, v1, v3
.LBB10_400:                             ;   in Loop: Header=BB10_362 Depth=1
	s_or_b32 exec_lo, exec_lo, s36
.LBB10_401:                             ;   in Loop: Header=BB10_362 Depth=1
	s_delay_alu instid0(SALU_CYCLE_1)
	s_or_b32 exec_lo, exec_lo, s35
                                        ; implicit-def: $vgpr2
.LBB10_402:                             ;   in Loop: Header=BB10_362 Depth=1
	s_and_not1_saveexec_b32 s0, s34
; %bb.403:                              ;   in Loop: Header=BB10_362 Depth=1
	v_cmp_eq_u64_e32 vcc_lo, 0, v[9:10]
	v_or_b32_e32 v1, 0x7f, v2
	s_delay_alu instid0(VALU_DEP_1)
	v_cndmask_b32_e32 v11, v1, v11, vcc_lo
; %bb.404:                              ;   in Loop: Header=BB10_362 Depth=1
	s_or_b32 exec_lo, exec_lo, s0
	v_div_scale_f32 v1, null, s24, s24, v4
	s_mov_b32 s0, exec_lo
	v_mov_b32_e32 v17, v10
	s_delay_alu instid0(VALU_DEP_2) | instskip(SKIP_2) | instid1(VALU_DEP_1)
	v_rcp_f32_e32 v2, v1
	s_waitcnt_depctr 0xfff
	v_fma_f32 v3, -v1, v2, 1.0
	v_fmac_f32_e32 v2, v3, v2
	v_div_scale_f32 v3, vcc_lo, v4, s24, v4
	s_delay_alu instid0(VALU_DEP_1) | instskip(NEXT) | instid1(VALU_DEP_1)
	v_mul_f32_e32 v9, v3, v2
	v_fma_f32 v12, -v1, v9, v3
	s_delay_alu instid0(VALU_DEP_1) | instskip(NEXT) | instid1(VALU_DEP_1)
	v_fmac_f32_e32 v9, v12, v2
	v_fma_f32 v1, -v1, v9, v3
	s_delay_alu instid0(VALU_DEP_1) | instskip(NEXT) | instid1(VALU_DEP_1)
	v_div_fmas_f32 v1, v1, v2, v9
	v_div_fixup_f32 v2, v1, s24, v4
	s_delay_alu instid0(VALU_DEP_1) | instskip(SKIP_2) | instid1(VALU_DEP_3)
	v_lshrrev_b32_e32 v3, 24, v2
	v_and_b32_e32 v16, 0x7f800000, v2
	v_and_b32_e32 v9, 0x7fffff, v2
	;; [unrolled: 1-line block ×3, first 2 shown]
	s_delay_alu instid0(VALU_DEP_1) | instskip(NEXT) | instid1(VALU_DEP_4)
	v_or_b32_e32 v1, 0x7e, v12
	v_cmpx_ne_u64_e32 0x7f800000, v[16:17]
	s_xor_b32 s34, exec_lo, s0
	s_cbranch_execz .LBB10_416
; %bb.405:                              ;   in Loop: Header=BB10_362 Depth=1
	v_dual_mov_b32 v4, v10 :: v_dual_and_b32 v3, 0x7fffffff, v2
	s_mov_b32 s35, exec_lo
	s_delay_alu instid0(VALU_DEP_1)
	v_cmpx_gt_u64_e32 0x43e00001, v[3:4]
	s_cbranch_execz .LBB10_415
; %bb.406:                              ;   in Loop: Header=BB10_362 Depth=1
	v_mov_b32_e32 v1, 0
	s_mov_b32 s36, exec_lo
	v_cmpx_ne_u32_e32 0, v2
	s_cbranch_execz .LBB10_414
; %bb.407:                              ;   in Loop: Header=BB10_362 Depth=1
	v_bfe_u32 v16, v2, 23, 8
	v_or_b32_e32 v3, 0x800000, v9
	s_delay_alu instid0(VALU_DEP_2) | instskip(SKIP_1) | instid1(VALU_DEP_2)
	v_sub_nc_u32_e32 v1, 0x79, v16
	v_cmp_gt_u32_e32 vcc_lo, 0x7a, v16
	v_cndmask_b32_e32 v1, 0, v1, vcc_lo
	v_cmp_eq_u32_e32 vcc_lo, 0, v16
	s_delay_alu instid0(VALU_DEP_2) | instskip(SKIP_1) | instid1(VALU_DEP_2)
	v_cndmask_b32_e64 v17, v1, 0x78, vcc_lo
	v_cndmask_b32_e32 v9, v3, v9, vcc_lo
	v_add_nc_u32_e32 v1, 20, v17
	v_add_nc_u32_e32 v3, 19, v17
	s_delay_alu instid0(VALU_DEP_2) | instskip(NEXT) | instid1(VALU_DEP_2)
	v_lshlrev_b64 v[1:2], v1, -1
	v_lshlrev_b64 v[3:4], v3, 1
	s_delay_alu instid0(VALU_DEP_2) | instskip(NEXT) | instid1(VALU_DEP_3)
	v_not_b32_e32 v2, v2
	v_not_b32_e32 v1, v1
	s_delay_alu instid0(VALU_DEP_2) | instskip(NEXT) | instid1(VALU_DEP_2)
	v_and_b32_e32 v19, 0, v2
	v_and_b32_e32 v18, v9, v1
	v_lshrrev_b64 v[1:2], v17, v[9:10]
	s_delay_alu instid0(VALU_DEP_2) | instskip(NEXT) | instid1(VALU_DEP_2)
	v_cmp_eq_u64_e64 s0, v[18:19], v[3:4]
	v_dual_mov_b32 v4, v2 :: v_dual_mov_b32 v3, v1
	s_delay_alu instid0(VALU_DEP_2)
	s_and_saveexec_b32 s37, s0
; %bb.408:                              ;   in Loop: Header=BB10_362 Depth=1
	v_bfe_u32 v3, v1, 20, 1
	s_delay_alu instid0(VALU_DEP_1) | instskip(NEXT) | instid1(VALU_DEP_1)
	v_add_co_u32 v3, s0, v1, v3
	v_add_co_u32 v3, s0, v3, -1
; %bb.409:                              ;   in Loop: Header=BB10_362 Depth=1
	s_or_b32 exec_lo, exec_lo, s37
	v_add_nc_u32_e32 v4, 0xffffff81, v16
	v_lshrrev_b32_e32 v9, 23, v1
	s_delay_alu instid0(VALU_DEP_3) | instskip(SKIP_1) | instid1(VALU_DEP_3)
	v_and_b32_e32 v3, 0xfffff, v3
	s_mov_b32 s0, exec_lo
	v_cndmask_b32_e64 v4, v4, 0xffffff82, vcc_lo
	s_delay_alu instid0(VALU_DEP_2) | instskip(SKIP_1) | instid1(VALU_DEP_3)
	v_add_co_u32 v1, vcc_lo, v3, v1
	v_add_co_ci_u32_e32 v2, vcc_lo, 0, v2, vcc_lo
	v_add3_u32 v4, v17, v4, v9
                                        ; implicit-def: $vgpr3
	s_delay_alu instid0(VALU_DEP_1) | instskip(NEXT) | instid1(VALU_DEP_1)
	v_add_nc_u32_e32 v9, 6, v4
	v_cmpx_ne_u32_e32 0, v9
	s_xor_b32 s0, exec_lo, s0
; %bb.410:                              ;   in Loop: Header=BB10_362 Depth=1
	v_cmp_lt_u64_e32 vcc_lo, 0xffffff, v[1:2]
	v_add_nc_u32_e32 v3, 7, v4
	v_cndmask_b32_e64 v4, 0, 1, vcc_lo
	s_delay_alu instid0(VALU_DEP_2) | instskip(NEXT) | instid1(VALU_DEP_2)
	v_cndmask_b32_e32 v3, v9, v3, vcc_lo
	v_lshrrev_b64 v[1:2], v4, v[1:2]
; %bb.411:                              ;   in Loop: Header=BB10_362 Depth=1
	s_and_not1_saveexec_b32 s0, s0
; %bb.412:                              ;   in Loop: Header=BB10_362 Depth=1
	s_delay_alu instid0(VALU_DEP_1)
	v_bfe_u32 v3, v1, 23, 1
; %bb.413:                              ;   in Loop: Header=BB10_362 Depth=1
	s_or_b32 exec_lo, exec_lo, s0
	s_delay_alu instid0(VALU_DEP_2) | instskip(NEXT) | instid1(VALU_DEP_2)
	v_lshrrev_b64 v[1:2], 20, v[1:2]
	v_cmp_gt_i32_e32 vcc_lo, 16, v3
	v_min_i32_e32 v4, 15, v3
	v_cmp_eq_u32_e64 s0, 0, v3
	s_delay_alu instid0(VALU_DEP_4) | instskip(NEXT) | instid1(VALU_DEP_3)
	v_dual_cndmask_b32 v2, 0, v2 :: v_dual_cndmask_b32 v1, 7, v1
	v_lshlrev_b32_e32 v4, 3, v4
	s_delay_alu instid0(VALU_DEP_2) | instskip(NEXT) | instid1(VALU_DEP_2)
	v_cmp_eq_u64_e32 vcc_lo, 0, v[1:2]
	v_and_or_b32 v1, v1, 7, v4
	s_and_b32 s0, s0, vcc_lo
	s_delay_alu instid0(VALU_DEP_1) | instid1(SALU_CYCLE_1)
	v_cndmask_b32_e64 v1, v1, 0, s0
	s_delay_alu instid0(VALU_DEP_1)
	v_or_b32_e32 v1, v1, v12
.LBB10_414:                             ;   in Loop: Header=BB10_362 Depth=1
	s_or_b32 exec_lo, exec_lo, s36
.LBB10_415:                             ;   in Loop: Header=BB10_362 Depth=1
	s_delay_alu instid0(SALU_CYCLE_1)
	s_or_b32 exec_lo, exec_lo, s35
                                        ; implicit-def: $vgpr3
.LBB10_416:                             ;   in Loop: Header=BB10_362 Depth=1
	s_and_not1_saveexec_b32 s0, s34
	s_cbranch_execz .LBB10_361
; %bb.417:                              ;   in Loop: Header=BB10_362 Depth=1
	v_cmp_eq_u64_e32 vcc_lo, 0, v[9:10]
	v_or_b32_e32 v2, 0x7f, v3
	s_delay_alu instid0(VALU_DEP_1)
	v_cndmask_b32_e32 v1, v2, v1, vcc_lo
	s_branch .LBB10_361
.LBB10_418:
	s_or_b32 exec_lo, exec_lo, s26
	v_lshl_add_u32 v1, s25, 2, v0
	s_mov_b32 s25, exec_lo
	s_delay_alu instid0(VALU_DEP_1)
	v_cmpx_gt_i32_e64 s21, v1
	s_cbranch_execz .LBB10_439
; %bb.419:
	v_ashrrev_i32_e32 v2, 31, v1
	s_lshl_b64 s[26:27], s[2:3], 2
	v_mov_b32_e32 v3, 0
	s_add_u32 s0, s18, s26
	s_addc_u32 s26, s19, s27
	v_lshlrev_b64 v[4:5], 2, v[1:2]
	s_add_u32 s0, s4, s0
	s_addc_u32 s26, s5, s26
	s_mov_b32 s27, 0
	s_delay_alu instid0(VALU_DEP_1) | instskip(NEXT) | instid1(VALU_DEP_2)
	v_add_co_u32 v4, vcc_lo, s0, v4
	v_add_co_ci_u32_e32 v5, vcc_lo, s26, v5, vcc_lo
	s_lshl_b32 s26, s16, 2
	s_add_u32 s0, s2, s22
	s_addc_u32 s2, s3, s15
	s_add_u32 s0, s0, s14
	s_addc_u32 s2, s2, s23
	;; [unrolled: 2-line block ×3, first 2 shown]
	v_add_co_u32 v10, vcc_lo, s0, v1
	v_add_co_ci_u32_e32 v11, vcc_lo, s2, v2, vcc_lo
	s_mov_b64 s[2:3], 0
	s_branch .LBB10_421
.LBB10_420:                             ;   in Loop: Header=BB10_421 Depth=1
	s_or_b32 exec_lo, exec_lo, s0
	v_add_co_u32 v8, vcc_lo, v10, s2
	s_add_u32 s2, s2, s16
	v_add_co_ci_u32_e32 v9, vcc_lo, s3, v11, vcc_lo
	v_add_nc_u32_e32 v2, s2, v1
	v_add_co_u32 v4, s0, v4, s26
	s_delay_alu instid0(VALU_DEP_1) | instskip(NEXT) | instid1(VALU_DEP_3)
	v_add_co_ci_u32_e64 v5, s0, 0, v5, s0
	v_cmp_le_i32_e32 vcc_lo, s21, v2
	s_addc_u32 s3, s3, 0
	global_store_b8 v[8:9], v7, off
	s_or_b32 s27, vcc_lo, s27
	s_delay_alu instid0(SALU_CYCLE_1)
	s_and_not1_b32 exec_lo, exec_lo, s27
	s_cbranch_execz .LBB10_439
.LBB10_421:                             ; =>This Inner Loop Header: Depth=1
	global_load_b32 v2, v[4:5], off
	s_mov_b32 s0, exec_lo
	v_mov_b32_e32 v14, v3
	s_waitcnt vmcnt(0)
	v_div_scale_f32 v6, null, s24, s24, v2
	s_delay_alu instid0(VALU_DEP_1) | instskip(SKIP_2) | instid1(VALU_DEP_1)
	v_rcp_f32_e32 v7, v6
	s_waitcnt_depctr 0xfff
	v_fma_f32 v8, -v6, v7, 1.0
	v_fmac_f32_e32 v7, v8, v7
	v_div_scale_f32 v8, vcc_lo, v2, s24, v2
	s_delay_alu instid0(VALU_DEP_1) | instskip(NEXT) | instid1(VALU_DEP_1)
	v_mul_f32_e32 v9, v8, v7
	v_fma_f32 v12, -v6, v9, v8
	s_delay_alu instid0(VALU_DEP_1) | instskip(NEXT) | instid1(VALU_DEP_1)
	v_fmac_f32_e32 v9, v12, v7
	v_fma_f32 v6, -v6, v9, v8
	s_delay_alu instid0(VALU_DEP_1) | instskip(NEXT) | instid1(VALU_DEP_1)
	v_div_fmas_f32 v6, v6, v7, v9
	v_div_fixup_f32 v6, v6, s24, v2
	s_delay_alu instid0(VALU_DEP_1) | instskip(SKIP_2) | instid1(VALU_DEP_2)
	v_and_b32_e32 v2, 0x7fffff, v6
	v_lshrrev_b32_e32 v8, 24, v6
	v_and_b32_e32 v13, 0x7f800000, v6
	v_and_b32_e32 v12, 0x80, v8
	s_delay_alu instid0(VALU_DEP_1) | instskip(NEXT) | instid1(VALU_DEP_3)
	v_or_b32_e32 v7, 0x7e, v12
	v_cmpx_ne_u64_e32 0x7f800000, v[13:14]
	s_xor_b32 s31, exec_lo, s0
	s_cbranch_execz .LBB10_437
; %bb.422:                              ;   in Loop: Header=BB10_421 Depth=1
	v_dual_mov_b32 v9, v3 :: v_dual_and_b32 v8, 0x7fffffff, v6
	s_mov_b32 s0, exec_lo
	s_delay_alu instid0(VALU_DEP_1)
	v_cmpx_gt_u64_e32 0x43e00001, v[8:9]
	s_xor_b32 s33, exec_lo, s0
	s_cbranch_execz .LBB10_436
; %bb.423:                              ;   in Loop: Header=BB10_421 Depth=1
	v_mov_b32_e32 v7, 0
	s_mov_b32 s34, exec_lo
	v_cmpx_ne_u32_e32 0, v6
	s_cbranch_execz .LBB10_435
; %bb.424:                              ;   in Loop: Header=BB10_421 Depth=1
	v_bfe_u32 v13, v6, 23, 8
	v_or_b32_e32 v8, 0x800000, v2
	s_delay_alu instid0(VALU_DEP_2) | instskip(SKIP_1) | instid1(VALU_DEP_2)
	v_sub_nc_u32_e32 v6, 0x79, v13
	v_cmp_gt_u32_e32 vcc_lo, 0x7a, v13
	v_cndmask_b32_e32 v6, 0, v6, vcc_lo
	v_cmp_eq_u32_e32 vcc_lo, 0, v13
	s_delay_alu instid0(VALU_DEP_2) | instskip(SKIP_1) | instid1(VALU_DEP_2)
	v_cndmask_b32_e64 v14, v6, 0x78, vcc_lo
	v_cndmask_b32_e32 v2, v8, v2, vcc_lo
	v_add_nc_u32_e32 v6, 20, v14
	v_add_nc_u32_e32 v8, 19, v14
	s_delay_alu instid0(VALU_DEP_2) | instskip(NEXT) | instid1(VALU_DEP_2)
	v_lshlrev_b64 v[6:7], v6, -1
	v_lshlrev_b64 v[8:9], v8, 1
	s_delay_alu instid0(VALU_DEP_2) | instskip(NEXT) | instid1(VALU_DEP_3)
	v_not_b32_e32 v7, v7
	v_not_b32_e32 v6, v6
	s_delay_alu instid0(VALU_DEP_2) | instskip(NEXT) | instid1(VALU_DEP_2)
	v_and_b32_e32 v16, 0, v7
	v_and_b32_e32 v15, v2, v6
	v_lshrrev_b64 v[6:7], v14, v[2:3]
	s_delay_alu instid0(VALU_DEP_2) | instskip(NEXT) | instid1(VALU_DEP_2)
	v_cmp_eq_u64_e64 s0, v[15:16], v[8:9]
	v_dual_mov_b32 v9, v7 :: v_dual_mov_b32 v8, v6
	s_delay_alu instid0(VALU_DEP_2)
	s_and_saveexec_b32 s35, s0
; %bb.425:                              ;   in Loop: Header=BB10_421 Depth=1
	v_bfe_u32 v2, v6, 20, 1
	s_delay_alu instid0(VALU_DEP_1) | instskip(NEXT) | instid1(VALU_DEP_1)
	v_add_co_u32 v2, s0, v6, v2
	v_add_co_u32 v8, s0, v2, -1
; %bb.426:                              ;   in Loop: Header=BB10_421 Depth=1
	s_or_b32 exec_lo, exec_lo, s35
	v_add_nc_u32_e32 v2, 0xffffff81, v13
	v_lshrrev_b32_e32 v9, 23, v6
	s_mov_b32 s0, exec_lo
	s_delay_alu instid0(VALU_DEP_2) | instskip(NEXT) | instid1(VALU_DEP_1)
	v_cndmask_b32_e64 v2, v2, 0xffffff82, vcc_lo
	v_add3_u32 v9, v14, v2, v9
	v_and_b32_e32 v2, 0xfffff, v8
	s_delay_alu instid0(VALU_DEP_2) | instskip(NEXT) | instid1(VALU_DEP_2)
	v_add_nc_u32_e32 v8, 6, v9
	v_add_co_u32 v6, vcc_lo, v2, v6
	v_add_co_ci_u32_e32 v7, vcc_lo, 0, v7, vcc_lo
                                        ; implicit-def: $vgpr2
	s_delay_alu instid0(VALU_DEP_3)
	v_cmpx_ne_u32_e32 0, v8
	s_xor_b32 s0, exec_lo, s0
; %bb.427:                              ;   in Loop: Header=BB10_421 Depth=1
	s_delay_alu instid0(VALU_DEP_2) | instskip(SKIP_1) | instid1(VALU_DEP_1)
	v_cmp_lt_u64_e32 vcc_lo, 0xffffff, v[6:7]
	v_add_nc_u32_e32 v2, 7, v9
	v_cndmask_b32_e32 v2, v8, v2, vcc_lo
	v_cndmask_b32_e64 v8, 0, 1, vcc_lo
	s_delay_alu instid0(VALU_DEP_1)
	v_lshrrev_b64 v[6:7], v8, v[6:7]
; %bb.428:                              ;   in Loop: Header=BB10_421 Depth=1
	s_and_not1_saveexec_b32 s0, s0
; %bb.429:                              ;   in Loop: Header=BB10_421 Depth=1
	s_delay_alu instid0(VALU_DEP_1)
	v_bfe_u32 v2, v6, 23, 1
; %bb.430:                              ;   in Loop: Header=BB10_421 Depth=1
	s_or_b32 exec_lo, exec_lo, s0
	s_delay_alu instid0(VALU_DEP_2) | instskip(NEXT) | instid1(VALU_DEP_2)
	v_lshrrev_b64 v[6:7], 20, v[6:7]
	v_cmp_gt_i32_e32 vcc_lo, 16, v2
	v_cmp_ne_u32_e64 s0, 0, v2
	s_delay_alu instid0(VALU_DEP_3) | instskip(NEXT) | instid1(VALU_DEP_1)
	v_dual_cndmask_b32 v7, 0, v7 :: v_dual_cndmask_b32 v6, 7, v6
	v_cmp_ne_u64_e32 vcc_lo, 0, v[6:7]
                                        ; implicit-def: $vgpr7
	s_delay_alu instid0(VALU_DEP_3) | instskip(NEXT) | instid1(SALU_CYCLE_1)
	s_or_b32 s0, s0, vcc_lo
	s_and_saveexec_b32 s35, s0
	s_delay_alu instid0(SALU_CYCLE_1)
	s_xor_b32 s0, exec_lo, s35
; %bb.431:                              ;   in Loop: Header=BB10_421 Depth=1
	v_min_i32_e32 v2, 15, v2
	s_delay_alu instid0(VALU_DEP_1) | instskip(NEXT) | instid1(VALU_DEP_1)
	v_lshl_or_b32 v2, v2, 3, v12
                                        ; implicit-def: $vgpr12
	v_and_or_b32 v7, v6, 7, v2
; %bb.432:                              ;   in Loop: Header=BB10_421 Depth=1
	s_and_not1_saveexec_b32 s0, s0
; %bb.433:                              ;   in Loop: Header=BB10_421 Depth=1
	v_mov_b32_e32 v7, v12
; %bb.434:                              ;   in Loop: Header=BB10_421 Depth=1
	s_or_b32 exec_lo, exec_lo, s0
.LBB10_435:                             ;   in Loop: Header=BB10_421 Depth=1
	s_delay_alu instid0(SALU_CYCLE_1)
	s_or_b32 exec_lo, exec_lo, s34
.LBB10_436:                             ;   in Loop: Header=BB10_421 Depth=1
	s_and_not1_saveexec_b32 s0, s33
	s_delay_alu instid0(SALU_CYCLE_1)
	s_or_b32 exec_lo, exec_lo, s0
                                        ; implicit-def: $vgpr8
.LBB10_437:                             ;   in Loop: Header=BB10_421 Depth=1
	s_and_not1_saveexec_b32 s0, s31
	s_cbranch_execz .LBB10_420
; %bb.438:                              ;   in Loop: Header=BB10_421 Depth=1
	v_cmp_eq_u64_e32 vcc_lo, 0, v[2:3]
	v_or_b32_e32 v6, 0x7f, v8
	s_delay_alu instid0(VALU_DEP_1)
	v_cndmask_b32_e32 v7, v6, v7, vcc_lo
	s_branch .LBB10_420
.LBB10_439:
	s_or_b32 exec_lo, exec_lo, s25
	s_mov_b32 s0, 0
.LBB10_440:
	s_delay_alu instid0(SALU_CYCLE_1)
	s_and_b32 vcc_lo, exec_lo, s0
	s_cbranch_vccz .LBB10_501
; %bb.441:
	s_ashr_i32 s2, s17, 2
	s_mov_b32 s3, exec_lo
	v_cmpx_gt_i32_e64 s2, v0
	s_cbranch_execz .LBB10_500
; %bb.442:
	s_add_u32 s0, s22, s14
	s_addc_u32 s21, s15, s23
	v_dual_mov_b32 v15, v0 :: v_dual_lshlrev_b32 v2, 4, v0
	s_add_u32 s0, s8, s0
	s_addc_u32 s9, s9, s21
	s_lshl_b32 s8, s16, 2
	s_add_u32 s4, s4, s18
	v_dual_mov_b32 v10, 0 :: v_dual_lshlrev_b32 v1, 2, v0
	s_addc_u32 s5, s5, s19
	v_add_co_u32 v2, s4, s4, v2
	s_delay_alu instid0(VALU_DEP_1) | instskip(NEXT) | instid1(VALU_DEP_3)
	v_add_co_ci_u32_e64 v3, null, s5, 0, s4
	v_add_co_u32 v5, s0, s0, v1
	s_delay_alu instid0(VALU_DEP_3) | instskip(SKIP_1) | instid1(VALU_DEP_4)
	v_add_co_u32 v7, vcc_lo, v2, 8
	v_add_co_ci_u32_e64 v6, null, s9, 0, s0
	v_add_co_ci_u32_e32 v8, vcc_lo, 0, v3, vcc_lo
	s_mov_b32 s4, 0
	s_lshl_b32 s5, s16, 4
	s_branch .LBB10_444
.LBB10_443:                             ;   in Loop: Header=BB10_444 Depth=1
	s_or_b32 exec_lo, exec_lo, s0
	v_lshlrev_b32_e32 v2, 16, v11
	v_lshlrev_b32_e32 v3, 8, v14
	v_and_b32_e32 v4, 0xff, v13
	v_add_nc_u32_e32 v15, s16, v15
	s_delay_alu instid0(VALU_DEP_4) | instskip(NEXT) | instid1(VALU_DEP_4)
	v_perm_b32 v1, v1, v2, 0x4020c0c
	v_and_b32_e32 v2, 0xff00, v3
	s_delay_alu instid0(VALU_DEP_3) | instskip(NEXT) | instid1(VALU_DEP_2)
	v_cmp_le_i32_e32 vcc_lo, s2, v15
	v_or3_b32 v1, v1, v2, v4
	s_or_b32 s4, vcc_lo, s4
	global_store_b32 v[5:6], v1, off
	v_add_co_u32 v5, s0, v5, s8
	s_delay_alu instid0(VALU_DEP_1) | instskip(SKIP_1) | instid1(VALU_DEP_1)
	v_add_co_ci_u32_e64 v6, s0, 0, v6, s0
	v_add_co_u32 v7, s0, v7, s5
	v_add_co_ci_u32_e64 v8, s0, 0, v8, s0
	s_and_not1_b32 exec_lo, exec_lo, s4
	s_cbranch_execz .LBB10_500
.LBB10_444:                             ; =>This Inner Loop Header: Depth=1
	global_load_b128 v[1:4], v[7:8], off offset:-8
	s_waitcnt vmcnt(0)
	v_div_scale_f32 v9, null, s24, s24, v1
	s_delay_alu instid0(VALU_DEP_1) | instskip(SKIP_2) | instid1(VALU_DEP_1)
	v_rcp_f32_e32 v11, v9
	s_waitcnt_depctr 0xfff
	v_fma_f32 v12, -v9, v11, 1.0
	v_fmac_f32_e32 v11, v12, v11
	v_div_scale_f32 v12, vcc_lo, v1, s24, v1
	s_delay_alu instid0(VALU_DEP_1) | instskip(NEXT) | instid1(VALU_DEP_1)
	v_mul_f32_e32 v13, v12, v11
	v_fma_f32 v14, -v9, v13, v12
	s_delay_alu instid0(VALU_DEP_1) | instskip(SKIP_1) | instid1(VALU_DEP_2)
	v_fmac_f32_e32 v13, v14, v11
	v_mov_b32_e32 v14, v10
	v_fma_f32 v9, -v9, v13, v12
	s_delay_alu instid0(VALU_DEP_1) | instskip(NEXT) | instid1(VALU_DEP_1)
	v_div_fmas_f32 v9, v9, v11, v13
	v_div_fixup_f32 v11, v9, s24, v1
	s_delay_alu instid0(VALU_DEP_1) | instskip(SKIP_2) | instid1(VALU_DEP_3)
	v_lshrrev_b32_e32 v12, 24, v11
	v_and_b32_e32 v13, 0x7f800000, v11
	v_and_b32_e32 v9, 0x7fffff, v11
	;; [unrolled: 1-line block ×3, first 2 shown]
	s_delay_alu instid0(VALU_DEP_3) | instskip(NEXT) | instid1(VALU_DEP_2)
	v_cmp_ne_u64_e32 vcc_lo, 0x7f800000, v[13:14]
	v_or_b32_e32 v13, 0x7e, v1
	s_and_saveexec_b32 s0, vcc_lo
	s_delay_alu instid0(SALU_CYCLE_1)
	s_xor_b32 s9, exec_lo, s0
	s_cbranch_execz .LBB10_456
; %bb.445:                              ;   in Loop: Header=BB10_444 Depth=1
	v_dual_mov_b32 v17, v10 :: v_dual_and_b32 v16, 0x7fffffff, v11
	s_mov_b32 s18, exec_lo
	s_delay_alu instid0(VALU_DEP_1)
	v_cmpx_gt_u64_e32 0x43e00001, v[16:17]
	s_cbranch_execz .LBB10_455
; %bb.446:                              ;   in Loop: Header=BB10_444 Depth=1
	v_mov_b32_e32 v13, 0
	s_mov_b32 s19, exec_lo
	v_cmpx_ne_u32_e32 0, v11
	s_cbranch_execz .LBB10_454
; %bb.447:                              ;   in Loop: Header=BB10_444 Depth=1
	v_bfe_u32 v16, v11, 23, 8
	v_or_b32_e32 v13, 0x800000, v9
	s_delay_alu instid0(VALU_DEP_2) | instskip(SKIP_1) | instid1(VALU_DEP_2)
	v_sub_nc_u32_e32 v11, 0x79, v16
	v_cmp_gt_u32_e32 vcc_lo, 0x7a, v16
	v_cndmask_b32_e32 v11, 0, v11, vcc_lo
	v_cmp_eq_u32_e32 vcc_lo, 0, v16
	s_delay_alu instid0(VALU_DEP_2) | instskip(SKIP_1) | instid1(VALU_DEP_2)
	v_cndmask_b32_e64 v17, v11, 0x78, vcc_lo
	v_cndmask_b32_e32 v9, v13, v9, vcc_lo
	v_add_nc_u32_e32 v11, 20, v17
	v_add_nc_u32_e32 v13, 19, v17
	s_delay_alu instid0(VALU_DEP_2) | instskip(NEXT) | instid1(VALU_DEP_2)
	v_lshlrev_b64 v[11:12], v11, -1
	v_lshlrev_b64 v[13:14], v13, 1
	s_delay_alu instid0(VALU_DEP_2) | instskip(NEXT) | instid1(VALU_DEP_3)
	v_not_b32_e32 v12, v12
	v_not_b32_e32 v11, v11
	s_delay_alu instid0(VALU_DEP_2) | instskip(NEXT) | instid1(VALU_DEP_2)
	v_and_b32_e32 v19, 0, v12
	v_and_b32_e32 v18, v9, v11
	v_lshrrev_b64 v[11:12], v17, v[9:10]
	s_delay_alu instid0(VALU_DEP_2) | instskip(NEXT) | instid1(VALU_DEP_2)
	v_cmp_eq_u64_e64 s0, v[18:19], v[13:14]
	v_dual_mov_b32 v14, v12 :: v_dual_mov_b32 v13, v11
	s_delay_alu instid0(VALU_DEP_2)
	s_and_saveexec_b32 s21, s0
; %bb.448:                              ;   in Loop: Header=BB10_444 Depth=1
	v_bfe_u32 v9, v11, 20, 1
	s_delay_alu instid0(VALU_DEP_1) | instskip(NEXT) | instid1(VALU_DEP_1)
	v_add_co_u32 v9, s0, v11, v9
	v_add_co_u32 v13, s0, v9, -1
; %bb.449:                              ;   in Loop: Header=BB10_444 Depth=1
	s_or_b32 exec_lo, exec_lo, s21
	v_add_nc_u32_e32 v9, 0xffffff81, v16
	v_lshrrev_b32_e32 v14, 23, v11
	s_mov_b32 s0, exec_lo
	s_delay_alu instid0(VALU_DEP_2) | instskip(NEXT) | instid1(VALU_DEP_1)
	v_cndmask_b32_e64 v9, v9, 0xffffff82, vcc_lo
	v_add3_u32 v14, v17, v9, v14
	v_and_b32_e32 v9, 0xfffff, v13
	s_delay_alu instid0(VALU_DEP_2) | instskip(NEXT) | instid1(VALU_DEP_2)
	v_add_nc_u32_e32 v13, 6, v14
	v_add_co_u32 v11, vcc_lo, v9, v11
	v_add_co_ci_u32_e32 v12, vcc_lo, 0, v12, vcc_lo
                                        ; implicit-def: $vgpr9
	s_delay_alu instid0(VALU_DEP_3)
	v_cmpx_ne_u32_e32 0, v13
	s_xor_b32 s0, exec_lo, s0
; %bb.450:                              ;   in Loop: Header=BB10_444 Depth=1
	s_delay_alu instid0(VALU_DEP_2) | instskip(SKIP_1) | instid1(VALU_DEP_1)
	v_cmp_lt_u64_e32 vcc_lo, 0xffffff, v[11:12]
	v_add_nc_u32_e32 v9, 7, v14
	v_cndmask_b32_e32 v9, v13, v9, vcc_lo
	v_cndmask_b32_e64 v13, 0, 1, vcc_lo
	s_delay_alu instid0(VALU_DEP_1)
	v_lshrrev_b64 v[11:12], v13, v[11:12]
; %bb.451:                              ;   in Loop: Header=BB10_444 Depth=1
	s_and_not1_saveexec_b32 s0, s0
; %bb.452:                              ;   in Loop: Header=BB10_444 Depth=1
	s_delay_alu instid0(VALU_DEP_1)
	v_bfe_u32 v9, v11, 23, 1
; %bb.453:                              ;   in Loop: Header=BB10_444 Depth=1
	s_or_b32 exec_lo, exec_lo, s0
	s_delay_alu instid0(VALU_DEP_2) | instskip(NEXT) | instid1(VALU_DEP_2)
	v_lshrrev_b64 v[11:12], 20, v[11:12]
	v_cmp_gt_i32_e32 vcc_lo, 16, v9
	v_min_i32_e32 v13, 15, v9
	v_cmp_eq_u32_e64 s0, 0, v9
	s_delay_alu instid0(VALU_DEP_4) | instskip(NEXT) | instid1(VALU_DEP_3)
	v_dual_cndmask_b32 v12, 0, v12 :: v_dual_cndmask_b32 v11, 7, v11
	v_lshlrev_b32_e32 v13, 3, v13
	s_delay_alu instid0(VALU_DEP_2) | instskip(NEXT) | instid1(VALU_DEP_2)
	v_cmp_eq_u64_e32 vcc_lo, 0, v[11:12]
	v_and_or_b32 v9, v11, 7, v13
	s_and_b32 s0, s0, vcc_lo
	s_delay_alu instid0(VALU_DEP_1) | instid1(SALU_CYCLE_1)
	v_cndmask_b32_e64 v9, v9, 0, s0
	s_delay_alu instid0(VALU_DEP_1)
	v_or_b32_e32 v13, v9, v1
.LBB10_454:                             ;   in Loop: Header=BB10_444 Depth=1
	s_or_b32 exec_lo, exec_lo, s19
.LBB10_455:                             ;   in Loop: Header=BB10_444 Depth=1
	s_delay_alu instid0(SALU_CYCLE_1)
	s_or_b32 exec_lo, exec_lo, s18
                                        ; implicit-def: $vgpr12
.LBB10_456:                             ;   in Loop: Header=BB10_444 Depth=1
	s_and_not1_saveexec_b32 s0, s9
; %bb.457:                              ;   in Loop: Header=BB10_444 Depth=1
	v_cmp_eq_u64_e32 vcc_lo, 0, v[9:10]
	v_or_b32_e32 v1, 0x7f, v12
	s_delay_alu instid0(VALU_DEP_1)
	v_cndmask_b32_e32 v13, v1, v13, vcc_lo
; %bb.458:                              ;   in Loop: Header=BB10_444 Depth=1
	s_or_b32 exec_lo, exec_lo, s0
	v_div_scale_f32 v1, null, s24, s24, v2
	s_mov_b32 s0, exec_lo
	s_delay_alu instid0(VALU_DEP_1) | instskip(SKIP_2) | instid1(VALU_DEP_1)
	v_rcp_f32_e32 v9, v1
	s_waitcnt_depctr 0xfff
	v_fma_f32 v11, -v1, v9, 1.0
	v_fmac_f32_e32 v9, v11, v9
	v_div_scale_f32 v11, vcc_lo, v2, s24, v2
	s_delay_alu instid0(VALU_DEP_1) | instskip(NEXT) | instid1(VALU_DEP_1)
	v_mul_f32_e32 v12, v11, v9
	v_fma_f32 v14, -v1, v12, v11
	s_delay_alu instid0(VALU_DEP_1) | instskip(NEXT) | instid1(VALU_DEP_1)
	v_fmac_f32_e32 v12, v14, v9
	v_fma_f32 v1, -v1, v12, v11
	s_delay_alu instid0(VALU_DEP_1) | instskip(SKIP_1) | instid1(VALU_DEP_2)
	v_div_fmas_f32 v1, v1, v9, v12
	v_mov_b32_e32 v12, v10
	v_div_fixup_f32 v1, v1, s24, v2
	s_delay_alu instid0(VALU_DEP_1) | instskip(SKIP_2) | instid1(VALU_DEP_3)
	v_lshrrev_b32_e32 v2, 24, v1
	v_and_b32_e32 v11, 0x7f800000, v1
	v_and_b32_e32 v9, 0x7fffff, v1
	;; [unrolled: 1-line block ×3, first 2 shown]
	s_delay_alu instid0(VALU_DEP_1) | instskip(NEXT) | instid1(VALU_DEP_4)
	v_or_b32_e32 v14, 0x7e, v16
	v_cmpx_ne_u64_e32 0x7f800000, v[11:12]
	s_xor_b32 s9, exec_lo, s0
	s_cbranch_execz .LBB10_470
; %bb.459:                              ;   in Loop: Header=BB10_444 Depth=1
	v_dual_mov_b32 v12, v10 :: v_dual_and_b32 v11, 0x7fffffff, v1
	s_mov_b32 s18, exec_lo
	s_delay_alu instid0(VALU_DEP_1)
	v_cmpx_gt_u64_e32 0x43e00001, v[11:12]
	s_cbranch_execz .LBB10_469
; %bb.460:                              ;   in Loop: Header=BB10_444 Depth=1
	v_mov_b32_e32 v14, 0
	s_mov_b32 s19, exec_lo
	v_cmpx_ne_u32_e32 0, v1
	s_cbranch_execz .LBB10_468
; %bb.461:                              ;   in Loop: Header=BB10_444 Depth=1
	v_bfe_u32 v14, v1, 23, 8
	v_or_b32_e32 v11, 0x800000, v9
	s_delay_alu instid0(VALU_DEP_2) | instskip(SKIP_1) | instid1(VALU_DEP_2)
	v_sub_nc_u32_e32 v1, 0x79, v14
	v_cmp_gt_u32_e32 vcc_lo, 0x7a, v14
	v_cndmask_b32_e32 v1, 0, v1, vcc_lo
	v_cmp_eq_u32_e32 vcc_lo, 0, v14
	s_delay_alu instid0(VALU_DEP_2) | instskip(SKIP_1) | instid1(VALU_DEP_2)
	v_cndmask_b32_e64 v17, v1, 0x78, vcc_lo
	v_cndmask_b32_e32 v9, v11, v9, vcc_lo
	v_add_nc_u32_e32 v1, 20, v17
	v_add_nc_u32_e32 v11, 19, v17
	s_delay_alu instid0(VALU_DEP_2) | instskip(NEXT) | instid1(VALU_DEP_2)
	v_lshlrev_b64 v[1:2], v1, -1
	v_lshlrev_b64 v[11:12], v11, 1
	s_delay_alu instid0(VALU_DEP_2) | instskip(NEXT) | instid1(VALU_DEP_3)
	v_not_b32_e32 v2, v2
	v_not_b32_e32 v1, v1
	s_delay_alu instid0(VALU_DEP_2) | instskip(NEXT) | instid1(VALU_DEP_2)
	v_and_b32_e32 v19, 0, v2
	v_and_b32_e32 v18, v9, v1
	v_lshrrev_b64 v[1:2], v17, v[9:10]
	s_delay_alu instid0(VALU_DEP_2) | instskip(NEXT) | instid1(VALU_DEP_2)
	v_cmp_eq_u64_e64 s0, v[18:19], v[11:12]
	v_dual_mov_b32 v12, v2 :: v_dual_mov_b32 v11, v1
	s_delay_alu instid0(VALU_DEP_2)
	s_and_saveexec_b32 s21, s0
; %bb.462:                              ;   in Loop: Header=BB10_444 Depth=1
	v_bfe_u32 v9, v1, 20, 1
	s_delay_alu instid0(VALU_DEP_1) | instskip(NEXT) | instid1(VALU_DEP_1)
	v_add_co_u32 v9, s0, v1, v9
	v_add_co_u32 v11, s0, v9, -1
; %bb.463:                              ;   in Loop: Header=BB10_444 Depth=1
	s_or_b32 exec_lo, exec_lo, s21
	v_add_nc_u32_e32 v9, 0xffffff81, v14
	v_lshrrev_b32_e32 v12, 23, v1
	s_mov_b32 s0, exec_lo
	s_delay_alu instid0(VALU_DEP_2) | instskip(NEXT) | instid1(VALU_DEP_1)
	v_cndmask_b32_e64 v9, v9, 0xffffff82, vcc_lo
	v_add3_u32 v12, v17, v9, v12
	v_and_b32_e32 v9, 0xfffff, v11
	s_delay_alu instid0(VALU_DEP_2) | instskip(NEXT) | instid1(VALU_DEP_2)
	v_add_nc_u32_e32 v11, 6, v12
	v_add_co_u32 v1, vcc_lo, v9, v1
	v_add_co_ci_u32_e32 v2, vcc_lo, 0, v2, vcc_lo
                                        ; implicit-def: $vgpr9
	s_delay_alu instid0(VALU_DEP_3)
	v_cmpx_ne_u32_e32 0, v11
	s_xor_b32 s0, exec_lo, s0
; %bb.464:                              ;   in Loop: Header=BB10_444 Depth=1
	s_delay_alu instid0(VALU_DEP_2) | instskip(SKIP_1) | instid1(VALU_DEP_1)
	v_cmp_lt_u64_e32 vcc_lo, 0xffffff, v[1:2]
	v_add_nc_u32_e32 v9, 7, v12
	v_cndmask_b32_e32 v9, v11, v9, vcc_lo
	v_cndmask_b32_e64 v11, 0, 1, vcc_lo
	s_delay_alu instid0(VALU_DEP_1)
	v_lshrrev_b64 v[1:2], v11, v[1:2]
; %bb.465:                              ;   in Loop: Header=BB10_444 Depth=1
	s_and_not1_saveexec_b32 s0, s0
; %bb.466:                              ;   in Loop: Header=BB10_444 Depth=1
	s_delay_alu instid0(VALU_DEP_1)
	v_bfe_u32 v9, v1, 23, 1
; %bb.467:                              ;   in Loop: Header=BB10_444 Depth=1
	s_or_b32 exec_lo, exec_lo, s0
	s_delay_alu instid0(VALU_DEP_2) | instskip(NEXT) | instid1(VALU_DEP_2)
	v_lshrrev_b64 v[1:2], 20, v[1:2]
	v_cmp_gt_i32_e32 vcc_lo, 16, v9
	v_min_i32_e32 v11, 15, v9
	v_cmp_eq_u32_e64 s0, 0, v9
	s_delay_alu instid0(VALU_DEP_4) | instskip(NEXT) | instid1(VALU_DEP_3)
	v_dual_cndmask_b32 v2, 0, v2 :: v_dual_cndmask_b32 v1, 7, v1
	v_lshlrev_b32_e32 v11, 3, v11
	s_delay_alu instid0(VALU_DEP_2) | instskip(NEXT) | instid1(VALU_DEP_2)
	v_cmp_eq_u64_e32 vcc_lo, 0, v[1:2]
	v_and_or_b32 v1, v1, 7, v11
	s_and_b32 s0, s0, vcc_lo
	s_delay_alu instid0(VALU_DEP_1) | instid1(SALU_CYCLE_1)
	v_cndmask_b32_e64 v1, v1, 0, s0
	s_delay_alu instid0(VALU_DEP_1)
	v_or_b32_e32 v14, v1, v16
.LBB10_468:                             ;   in Loop: Header=BB10_444 Depth=1
	s_or_b32 exec_lo, exec_lo, s19
.LBB10_469:                             ;   in Loop: Header=BB10_444 Depth=1
	s_delay_alu instid0(SALU_CYCLE_1)
	s_or_b32 exec_lo, exec_lo, s18
                                        ; implicit-def: $vgpr2
.LBB10_470:                             ;   in Loop: Header=BB10_444 Depth=1
	s_and_not1_saveexec_b32 s0, s9
; %bb.471:                              ;   in Loop: Header=BB10_444 Depth=1
	v_cmp_eq_u64_e32 vcc_lo, 0, v[9:10]
	v_or_b32_e32 v1, 0x7f, v2
	s_delay_alu instid0(VALU_DEP_1)
	v_cndmask_b32_e32 v14, v1, v14, vcc_lo
; %bb.472:                              ;   in Loop: Header=BB10_444 Depth=1
	s_or_b32 exec_lo, exec_lo, s0
	v_div_scale_f32 v1, null, s24, s24, v3
	s_delay_alu instid0(VALU_DEP_1) | instskip(SKIP_2) | instid1(VALU_DEP_1)
	v_rcp_f32_e32 v2, v1
	s_waitcnt_depctr 0xfff
	v_fma_f32 v9, -v1, v2, 1.0
	v_fmac_f32_e32 v2, v9, v2
	v_div_scale_f32 v9, vcc_lo, v3, s24, v3
	s_delay_alu instid0(VALU_DEP_1) | instskip(NEXT) | instid1(VALU_DEP_1)
	v_mul_f32_e32 v11, v9, v2
	v_fma_f32 v12, -v1, v11, v9
	s_delay_alu instid0(VALU_DEP_1) | instskip(NEXT) | instid1(VALU_DEP_1)
	v_dual_fmac_f32 v11, v12, v2 :: v_dual_mov_b32 v12, v10
	v_fma_f32 v1, -v1, v11, v9
	s_delay_alu instid0(VALU_DEP_1) | instskip(NEXT) | instid1(VALU_DEP_1)
	v_div_fmas_f32 v1, v1, v2, v11
	v_div_fixup_f32 v1, v1, s24, v3
	s_delay_alu instid0(VALU_DEP_1) | instskip(SKIP_2) | instid1(VALU_DEP_3)
	v_lshrrev_b32_e32 v2, 24, v1
	v_and_b32_e32 v11, 0x7f800000, v1
	v_and_b32_e32 v9, 0x7fffff, v1
	;; [unrolled: 1-line block ×3, first 2 shown]
	s_delay_alu instid0(VALU_DEP_3) | instskip(NEXT) | instid1(VALU_DEP_2)
	v_cmp_ne_u64_e32 vcc_lo, 0x7f800000, v[11:12]
	v_or_b32_e32 v11, 0x7e, v3
	s_and_saveexec_b32 s0, vcc_lo
	s_delay_alu instid0(SALU_CYCLE_1)
	s_xor_b32 s9, exec_lo, s0
	s_cbranch_execz .LBB10_484
; %bb.473:                              ;   in Loop: Header=BB10_444 Depth=1
	v_dual_mov_b32 v17, v10 :: v_dual_and_b32 v16, 0x7fffffff, v1
	s_mov_b32 s18, exec_lo
	s_delay_alu instid0(VALU_DEP_1)
	v_cmpx_gt_u64_e32 0x43e00001, v[16:17]
	s_cbranch_execz .LBB10_483
; %bb.474:                              ;   in Loop: Header=BB10_444 Depth=1
	v_mov_b32_e32 v11, 0
	s_mov_b32 s19, exec_lo
	v_cmpx_ne_u32_e32 0, v1
	s_cbranch_execz .LBB10_482
; %bb.475:                              ;   in Loop: Header=BB10_444 Depth=1
	v_bfe_u32 v16, v1, 23, 8
	v_or_b32_e32 v11, 0x800000, v9
	s_delay_alu instid0(VALU_DEP_2) | instskip(SKIP_1) | instid1(VALU_DEP_2)
	v_sub_nc_u32_e32 v1, 0x79, v16
	v_cmp_gt_u32_e32 vcc_lo, 0x7a, v16
	v_cndmask_b32_e32 v1, 0, v1, vcc_lo
	v_cmp_eq_u32_e32 vcc_lo, 0, v16
	s_delay_alu instid0(VALU_DEP_2) | instskip(SKIP_1) | instid1(VALU_DEP_2)
	v_cndmask_b32_e64 v17, v1, 0x78, vcc_lo
	v_cndmask_b32_e32 v9, v11, v9, vcc_lo
	v_add_nc_u32_e32 v1, 20, v17
	v_add_nc_u32_e32 v11, 19, v17
	s_delay_alu instid0(VALU_DEP_2) | instskip(NEXT) | instid1(VALU_DEP_2)
	v_lshlrev_b64 v[1:2], v1, -1
	v_lshlrev_b64 v[11:12], v11, 1
	s_delay_alu instid0(VALU_DEP_2) | instskip(NEXT) | instid1(VALU_DEP_3)
	v_not_b32_e32 v2, v2
	v_not_b32_e32 v1, v1
	s_delay_alu instid0(VALU_DEP_2) | instskip(NEXT) | instid1(VALU_DEP_2)
	v_and_b32_e32 v19, 0, v2
	v_and_b32_e32 v18, v9, v1
	v_lshrrev_b64 v[1:2], v17, v[9:10]
	s_delay_alu instid0(VALU_DEP_2) | instskip(NEXT) | instid1(VALU_DEP_2)
	v_cmp_eq_u64_e64 s0, v[18:19], v[11:12]
	v_dual_mov_b32 v12, v2 :: v_dual_mov_b32 v11, v1
	s_delay_alu instid0(VALU_DEP_2)
	s_and_saveexec_b32 s21, s0
; %bb.476:                              ;   in Loop: Header=BB10_444 Depth=1
	v_bfe_u32 v9, v1, 20, 1
	s_delay_alu instid0(VALU_DEP_1) | instskip(NEXT) | instid1(VALU_DEP_1)
	v_add_co_u32 v9, s0, v1, v9
	v_add_co_u32 v11, s0, v9, -1
; %bb.477:                              ;   in Loop: Header=BB10_444 Depth=1
	s_or_b32 exec_lo, exec_lo, s21
	v_add_nc_u32_e32 v9, 0xffffff81, v16
	v_lshrrev_b32_e32 v12, 23, v1
	s_mov_b32 s0, exec_lo
	s_delay_alu instid0(VALU_DEP_2) | instskip(NEXT) | instid1(VALU_DEP_1)
	v_cndmask_b32_e64 v9, v9, 0xffffff82, vcc_lo
	v_add3_u32 v12, v17, v9, v12
	v_and_b32_e32 v9, 0xfffff, v11
	s_delay_alu instid0(VALU_DEP_2) | instskip(NEXT) | instid1(VALU_DEP_2)
	v_add_nc_u32_e32 v11, 6, v12
	v_add_co_u32 v1, vcc_lo, v9, v1
	v_add_co_ci_u32_e32 v2, vcc_lo, 0, v2, vcc_lo
                                        ; implicit-def: $vgpr9
	s_delay_alu instid0(VALU_DEP_3)
	v_cmpx_ne_u32_e32 0, v11
	s_xor_b32 s0, exec_lo, s0
; %bb.478:                              ;   in Loop: Header=BB10_444 Depth=1
	s_delay_alu instid0(VALU_DEP_2) | instskip(SKIP_1) | instid1(VALU_DEP_1)
	v_cmp_lt_u64_e32 vcc_lo, 0xffffff, v[1:2]
	v_add_nc_u32_e32 v9, 7, v12
	v_cndmask_b32_e32 v9, v11, v9, vcc_lo
	v_cndmask_b32_e64 v11, 0, 1, vcc_lo
	s_delay_alu instid0(VALU_DEP_1)
	v_lshrrev_b64 v[1:2], v11, v[1:2]
; %bb.479:                              ;   in Loop: Header=BB10_444 Depth=1
	s_and_not1_saveexec_b32 s0, s0
; %bb.480:                              ;   in Loop: Header=BB10_444 Depth=1
	s_delay_alu instid0(VALU_DEP_1)
	v_bfe_u32 v9, v1, 23, 1
; %bb.481:                              ;   in Loop: Header=BB10_444 Depth=1
	s_or_b32 exec_lo, exec_lo, s0
	s_delay_alu instid0(VALU_DEP_2) | instskip(NEXT) | instid1(VALU_DEP_2)
	v_lshrrev_b64 v[1:2], 20, v[1:2]
	v_cmp_gt_i32_e32 vcc_lo, 16, v9
	v_min_i32_e32 v11, 15, v9
	v_cmp_eq_u32_e64 s0, 0, v9
	s_delay_alu instid0(VALU_DEP_4) | instskip(NEXT) | instid1(VALU_DEP_3)
	v_dual_cndmask_b32 v2, 0, v2 :: v_dual_cndmask_b32 v1, 7, v1
	v_lshlrev_b32_e32 v11, 3, v11
	s_delay_alu instid0(VALU_DEP_2) | instskip(NEXT) | instid1(VALU_DEP_2)
	v_cmp_eq_u64_e32 vcc_lo, 0, v[1:2]
	v_and_or_b32 v1, v1, 7, v11
	s_and_b32 s0, s0, vcc_lo
	s_delay_alu instid0(VALU_DEP_1) | instid1(SALU_CYCLE_1)
	v_cndmask_b32_e64 v1, v1, 0, s0
	s_delay_alu instid0(VALU_DEP_1)
	v_or_b32_e32 v11, v1, v3
.LBB10_482:                             ;   in Loop: Header=BB10_444 Depth=1
	s_or_b32 exec_lo, exec_lo, s19
.LBB10_483:                             ;   in Loop: Header=BB10_444 Depth=1
	s_delay_alu instid0(SALU_CYCLE_1)
	s_or_b32 exec_lo, exec_lo, s18
                                        ; implicit-def: $vgpr2
.LBB10_484:                             ;   in Loop: Header=BB10_444 Depth=1
	s_and_not1_saveexec_b32 s0, s9
; %bb.485:                              ;   in Loop: Header=BB10_444 Depth=1
	v_cmp_eq_u64_e32 vcc_lo, 0, v[9:10]
	v_or_b32_e32 v1, 0x7f, v2
	s_delay_alu instid0(VALU_DEP_1)
	v_cndmask_b32_e32 v11, v1, v11, vcc_lo
; %bb.486:                              ;   in Loop: Header=BB10_444 Depth=1
	s_or_b32 exec_lo, exec_lo, s0
	v_div_scale_f32 v1, null, s24, s24, v4
	s_mov_b32 s0, exec_lo
	v_mov_b32_e32 v17, v10
	s_delay_alu instid0(VALU_DEP_2) | instskip(SKIP_2) | instid1(VALU_DEP_1)
	v_rcp_f32_e32 v2, v1
	s_waitcnt_depctr 0xfff
	v_fma_f32 v3, -v1, v2, 1.0
	v_fmac_f32_e32 v2, v3, v2
	v_div_scale_f32 v3, vcc_lo, v4, s24, v4
	s_delay_alu instid0(VALU_DEP_1) | instskip(NEXT) | instid1(VALU_DEP_1)
	v_mul_f32_e32 v9, v3, v2
	v_fma_f32 v12, -v1, v9, v3
	s_delay_alu instid0(VALU_DEP_1) | instskip(NEXT) | instid1(VALU_DEP_1)
	v_fmac_f32_e32 v9, v12, v2
	v_fma_f32 v1, -v1, v9, v3
	s_delay_alu instid0(VALU_DEP_1) | instskip(NEXT) | instid1(VALU_DEP_1)
	v_div_fmas_f32 v1, v1, v2, v9
	v_div_fixup_f32 v2, v1, s24, v4
	s_delay_alu instid0(VALU_DEP_1) | instskip(SKIP_2) | instid1(VALU_DEP_3)
	v_lshrrev_b32_e32 v3, 24, v2
	v_and_b32_e32 v16, 0x7f800000, v2
	v_and_b32_e32 v9, 0x7fffff, v2
	;; [unrolled: 1-line block ×3, first 2 shown]
	s_delay_alu instid0(VALU_DEP_1) | instskip(NEXT) | instid1(VALU_DEP_4)
	v_or_b32_e32 v1, 0x7e, v12
	v_cmpx_ne_u64_e32 0x7f800000, v[16:17]
	s_xor_b32 s9, exec_lo, s0
	s_cbranch_execz .LBB10_498
; %bb.487:                              ;   in Loop: Header=BB10_444 Depth=1
	v_dual_mov_b32 v4, v10 :: v_dual_and_b32 v3, 0x7fffffff, v2
	s_mov_b32 s18, exec_lo
	s_delay_alu instid0(VALU_DEP_1)
	v_cmpx_gt_u64_e32 0x43e00001, v[3:4]
	s_cbranch_execz .LBB10_497
; %bb.488:                              ;   in Loop: Header=BB10_444 Depth=1
	v_mov_b32_e32 v1, 0
	s_mov_b32 s19, exec_lo
	v_cmpx_ne_u32_e32 0, v2
	s_cbranch_execz .LBB10_496
; %bb.489:                              ;   in Loop: Header=BB10_444 Depth=1
	v_bfe_u32 v16, v2, 23, 8
	v_or_b32_e32 v3, 0x800000, v9
	s_delay_alu instid0(VALU_DEP_2) | instskip(SKIP_1) | instid1(VALU_DEP_2)
	v_sub_nc_u32_e32 v1, 0x79, v16
	v_cmp_gt_u32_e32 vcc_lo, 0x7a, v16
	v_cndmask_b32_e32 v1, 0, v1, vcc_lo
	v_cmp_eq_u32_e32 vcc_lo, 0, v16
	s_delay_alu instid0(VALU_DEP_2) | instskip(SKIP_1) | instid1(VALU_DEP_2)
	v_cndmask_b32_e64 v17, v1, 0x78, vcc_lo
	v_cndmask_b32_e32 v9, v3, v9, vcc_lo
	v_add_nc_u32_e32 v1, 20, v17
	v_add_nc_u32_e32 v3, 19, v17
	s_delay_alu instid0(VALU_DEP_2) | instskip(NEXT) | instid1(VALU_DEP_2)
	v_lshlrev_b64 v[1:2], v1, -1
	v_lshlrev_b64 v[3:4], v3, 1
	s_delay_alu instid0(VALU_DEP_2) | instskip(NEXT) | instid1(VALU_DEP_3)
	v_not_b32_e32 v2, v2
	v_not_b32_e32 v1, v1
	s_delay_alu instid0(VALU_DEP_2) | instskip(NEXT) | instid1(VALU_DEP_2)
	v_and_b32_e32 v19, 0, v2
	v_and_b32_e32 v18, v9, v1
	v_lshrrev_b64 v[1:2], v17, v[9:10]
	s_delay_alu instid0(VALU_DEP_2) | instskip(NEXT) | instid1(VALU_DEP_2)
	v_cmp_eq_u64_e64 s0, v[18:19], v[3:4]
	v_dual_mov_b32 v4, v2 :: v_dual_mov_b32 v3, v1
	s_delay_alu instid0(VALU_DEP_2)
	s_and_saveexec_b32 s21, s0
; %bb.490:                              ;   in Loop: Header=BB10_444 Depth=1
	v_bfe_u32 v3, v1, 20, 1
	s_delay_alu instid0(VALU_DEP_1) | instskip(NEXT) | instid1(VALU_DEP_1)
	v_add_co_u32 v3, s0, v1, v3
	v_add_co_u32 v3, s0, v3, -1
; %bb.491:                              ;   in Loop: Header=BB10_444 Depth=1
	s_or_b32 exec_lo, exec_lo, s21
	v_add_nc_u32_e32 v4, 0xffffff81, v16
	v_lshrrev_b32_e32 v9, 23, v1
	s_delay_alu instid0(VALU_DEP_3) | instskip(SKIP_1) | instid1(VALU_DEP_3)
	v_and_b32_e32 v3, 0xfffff, v3
	s_mov_b32 s0, exec_lo
	v_cndmask_b32_e64 v4, v4, 0xffffff82, vcc_lo
	s_delay_alu instid0(VALU_DEP_2) | instskip(SKIP_1) | instid1(VALU_DEP_3)
	v_add_co_u32 v1, vcc_lo, v3, v1
	v_add_co_ci_u32_e32 v2, vcc_lo, 0, v2, vcc_lo
	v_add3_u32 v4, v17, v4, v9
                                        ; implicit-def: $vgpr3
	s_delay_alu instid0(VALU_DEP_1) | instskip(NEXT) | instid1(VALU_DEP_1)
	v_add_nc_u32_e32 v9, 6, v4
	v_cmpx_ne_u32_e32 0, v9
	s_xor_b32 s0, exec_lo, s0
; %bb.492:                              ;   in Loop: Header=BB10_444 Depth=1
	v_cmp_lt_u64_e32 vcc_lo, 0xffffff, v[1:2]
	v_add_nc_u32_e32 v3, 7, v4
	v_cndmask_b32_e64 v4, 0, 1, vcc_lo
	s_delay_alu instid0(VALU_DEP_2) | instskip(NEXT) | instid1(VALU_DEP_2)
	v_cndmask_b32_e32 v3, v9, v3, vcc_lo
	v_lshrrev_b64 v[1:2], v4, v[1:2]
; %bb.493:                              ;   in Loop: Header=BB10_444 Depth=1
	s_and_not1_saveexec_b32 s0, s0
; %bb.494:                              ;   in Loop: Header=BB10_444 Depth=1
	s_delay_alu instid0(VALU_DEP_1)
	v_bfe_u32 v3, v1, 23, 1
; %bb.495:                              ;   in Loop: Header=BB10_444 Depth=1
	s_or_b32 exec_lo, exec_lo, s0
	s_delay_alu instid0(VALU_DEP_2) | instskip(NEXT) | instid1(VALU_DEP_2)
	v_lshrrev_b64 v[1:2], 20, v[1:2]
	v_cmp_gt_i32_e32 vcc_lo, 16, v3
	v_min_i32_e32 v4, 15, v3
	v_cmp_eq_u32_e64 s0, 0, v3
	s_delay_alu instid0(VALU_DEP_4) | instskip(NEXT) | instid1(VALU_DEP_3)
	v_dual_cndmask_b32 v2, 0, v2 :: v_dual_cndmask_b32 v1, 7, v1
	v_lshlrev_b32_e32 v4, 3, v4
	s_delay_alu instid0(VALU_DEP_2) | instskip(NEXT) | instid1(VALU_DEP_2)
	v_cmp_eq_u64_e32 vcc_lo, 0, v[1:2]
	v_and_or_b32 v1, v1, 7, v4
	s_and_b32 s0, s0, vcc_lo
	s_delay_alu instid0(VALU_DEP_1) | instid1(SALU_CYCLE_1)
	v_cndmask_b32_e64 v1, v1, 0, s0
	s_delay_alu instid0(VALU_DEP_1)
	v_or_b32_e32 v1, v1, v12
.LBB10_496:                             ;   in Loop: Header=BB10_444 Depth=1
	s_or_b32 exec_lo, exec_lo, s19
.LBB10_497:                             ;   in Loop: Header=BB10_444 Depth=1
	s_delay_alu instid0(SALU_CYCLE_1)
	s_or_b32 exec_lo, exec_lo, s18
                                        ; implicit-def: $vgpr3
.LBB10_498:                             ;   in Loop: Header=BB10_444 Depth=1
	s_and_not1_saveexec_b32 s0, s9
	s_cbranch_execz .LBB10_443
; %bb.499:                              ;   in Loop: Header=BB10_444 Depth=1
	v_cmp_eq_u64_e32 vcc_lo, 0, v[9:10]
	v_or_b32_e32 v2, 0x7f, v3
	s_delay_alu instid0(VALU_DEP_1)
	v_cndmask_b32_e32 v1, v2, v1, vcc_lo
	s_branch .LBB10_443
.LBB10_500:
	s_or_b32 exec_lo, exec_lo, s3
.LBB10_501:
	s_and_b32 s2, s30, 15
	s_mov_b32 s3, 0
	s_delay_alu instid0(SALU_CYCLE_1) | instskip(SKIP_2) | instid1(SALU_CYCLE_1)
	s_cmp_lg_u64 s[2:3], 0
	s_cselect_b32 s0, -1, 0
	s_xor_b32 s2, s20, -1
	s_or_b32 s0, s2, s0
	s_delay_alu instid0(SALU_CYCLE_1)
	s_and_b32 vcc_lo, exec_lo, s0
	s_mov_b32 s0, -1
	s_cbranch_vccz .LBB10_604
; %bb.502:
	s_sub_i32 s0, 0, s30
	s_mov_b32 s3, exec_lo
	s_bfe_u32 s0, s0, 0x20002
	s_delay_alu instid0(SALU_CYCLE_1) | instskip(NEXT) | instid1(SALU_CYCLE_1)
	s_min_i32 s2, s0, s17
	v_cmpx_gt_i32_e64 s2, v0
	s_cbranch_execz .LBB10_523
; %bb.503:
	v_dual_mov_b32 v2, 0 :: v_dual_lshlrev_b32 v3, 2, v0
	s_add_u32 s0, s6, s12
	s_addc_u32 s4, s7, s13
	s_lshl_b32 s5, s16, 2
	s_delay_alu instid0(VALU_DEP_1) | instskip(SKIP_1) | instid1(VALU_DEP_1)
	v_mov_b32_e32 v1, v2
	v_add_co_u32 v3, s0, s0, v3
	v_add_co_ci_u32_e64 v4, null, s4, 0, s0
	s_delay_alu instid0(VALU_DEP_3)
	v_dual_mov_b32 v6, v1 :: v_dual_mov_b32 v5, v0
	s_mov_b32 s4, 0
	s_branch .LBB10_505
.LBB10_504:                             ;   in Loop: Header=BB10_505 Depth=1
	s_or_b32 exec_lo, exec_lo, s0
	v_add_co_u32 v9, vcc_lo, s28, v5
	v_add_co_ci_u32_e32 v10, vcc_lo, s29, v6, vcc_lo
	v_add_co_u32 v5, vcc_lo, v5, s16
	v_add_co_ci_u32_e32 v6, vcc_lo, 0, v6, vcc_lo
	v_add_co_u32 v3, s0, v3, s5
	s_delay_alu instid0(VALU_DEP_3) | instskip(SKIP_3) | instid1(SALU_CYCLE_1)
	v_cmp_le_i32_e32 vcc_lo, s2, v5
	v_add_co_ci_u32_e64 v4, s0, 0, v4, s0
	global_store_b8 v[9:10], v8, off
	s_or_b32 s4, vcc_lo, s4
	s_and_not1_b32 exec_lo, exec_lo, s4
	s_cbranch_execz .LBB10_523
.LBB10_505:                             ; =>This Inner Loop Header: Depth=1
	global_load_b32 v1, v[3:4], off
	s_mov_b32 s0, exec_lo
	v_mov_b32_e32 v13, v2
	s_waitcnt vmcnt(0)
	v_div_scale_f32 v7, null, s1, s1, v1
	s_delay_alu instid0(VALU_DEP_1) | instskip(SKIP_2) | instid1(VALU_DEP_1)
	v_rcp_f32_e32 v8, v7
	s_waitcnt_depctr 0xfff
	v_fma_f32 v9, -v7, v8, 1.0
	v_fmac_f32_e32 v8, v9, v8
	v_div_scale_f32 v9, vcc_lo, v1, s1, v1
	s_delay_alu instid0(VALU_DEP_1) | instskip(NEXT) | instid1(VALU_DEP_1)
	v_mul_f32_e32 v10, v9, v8
	v_fma_f32 v11, -v7, v10, v9
	s_delay_alu instid0(VALU_DEP_1) | instskip(NEXT) | instid1(VALU_DEP_1)
	v_fmac_f32_e32 v10, v11, v8
	v_fma_f32 v7, -v7, v10, v9
	s_delay_alu instid0(VALU_DEP_1) | instskip(NEXT) | instid1(VALU_DEP_1)
	v_div_fmas_f32 v7, v7, v8, v10
	v_div_fixup_f32 v7, v7, s1, v1
	s_delay_alu instid0(VALU_DEP_1) | instskip(SKIP_2) | instid1(VALU_DEP_2)
	v_and_b32_e32 v1, 0x7fffff, v7
	v_lshrrev_b32_e32 v9, 24, v7
	v_and_b32_e32 v12, 0x7f800000, v7
	v_and_b32_e32 v11, 0x80, v9
	s_delay_alu instid0(VALU_DEP_1) | instskip(NEXT) | instid1(VALU_DEP_3)
	v_or_b32_e32 v8, 0x7e, v11
	v_cmpx_ne_u64_e32 0x7f800000, v[12:13]
	s_xor_b32 s8, exec_lo, s0
	s_cbranch_execz .LBB10_521
; %bb.506:                              ;   in Loop: Header=BB10_505 Depth=1
	v_dual_mov_b32 v10, v2 :: v_dual_and_b32 v9, 0x7fffffff, v7
	s_mov_b32 s0, exec_lo
	s_delay_alu instid0(VALU_DEP_1)
	v_cmpx_gt_u64_e32 0x43e00001, v[9:10]
	s_xor_b32 s9, exec_lo, s0
	s_cbranch_execz .LBB10_520
; %bb.507:                              ;   in Loop: Header=BB10_505 Depth=1
	v_mov_b32_e32 v8, 0
	s_mov_b32 s18, exec_lo
	v_cmpx_ne_u32_e32 0, v7
	s_cbranch_execz .LBB10_519
; %bb.508:                              ;   in Loop: Header=BB10_505 Depth=1
	v_bfe_u32 v12, v7, 23, 8
	v_or_b32_e32 v9, 0x800000, v1
	s_delay_alu instid0(VALU_DEP_2) | instskip(SKIP_1) | instid1(VALU_DEP_2)
	v_sub_nc_u32_e32 v7, 0x79, v12
	v_cmp_gt_u32_e32 vcc_lo, 0x7a, v12
	v_cndmask_b32_e32 v7, 0, v7, vcc_lo
	v_cmp_eq_u32_e32 vcc_lo, 0, v12
	s_delay_alu instid0(VALU_DEP_2) | instskip(SKIP_1) | instid1(VALU_DEP_2)
	v_cndmask_b32_e64 v13, v7, 0x78, vcc_lo
	v_cndmask_b32_e32 v1, v9, v1, vcc_lo
	v_add_nc_u32_e32 v7, 20, v13
	v_add_nc_u32_e32 v9, 19, v13
	s_delay_alu instid0(VALU_DEP_2) | instskip(NEXT) | instid1(VALU_DEP_2)
	v_lshlrev_b64 v[7:8], v7, -1
	v_lshlrev_b64 v[9:10], v9, 1
	s_delay_alu instid0(VALU_DEP_2) | instskip(NEXT) | instid1(VALU_DEP_3)
	v_not_b32_e32 v8, v8
	v_not_b32_e32 v7, v7
	s_delay_alu instid0(VALU_DEP_2) | instskip(NEXT) | instid1(VALU_DEP_2)
	v_and_b32_e32 v15, 0, v8
	v_and_b32_e32 v14, v1, v7
	v_lshrrev_b64 v[7:8], v13, v[1:2]
	s_delay_alu instid0(VALU_DEP_2) | instskip(NEXT) | instid1(VALU_DEP_2)
	v_cmp_eq_u64_e64 s0, v[14:15], v[9:10]
	v_dual_mov_b32 v10, v8 :: v_dual_mov_b32 v9, v7
	s_delay_alu instid0(VALU_DEP_2)
	s_and_saveexec_b32 s19, s0
; %bb.509:                              ;   in Loop: Header=BB10_505 Depth=1
	v_bfe_u32 v1, v7, 20, 1
	s_delay_alu instid0(VALU_DEP_1) | instskip(NEXT) | instid1(VALU_DEP_1)
	v_add_co_u32 v1, s0, v7, v1
	v_add_co_u32 v9, s0, v1, -1
; %bb.510:                              ;   in Loop: Header=BB10_505 Depth=1
	s_or_b32 exec_lo, exec_lo, s19
	v_add_nc_u32_e32 v1, 0xffffff81, v12
	v_lshrrev_b32_e32 v10, 23, v7
	s_mov_b32 s0, exec_lo
	s_delay_alu instid0(VALU_DEP_2) | instskip(NEXT) | instid1(VALU_DEP_1)
	v_cndmask_b32_e64 v1, v1, 0xffffff82, vcc_lo
	v_add3_u32 v10, v13, v1, v10
	v_and_b32_e32 v1, 0xfffff, v9
	s_delay_alu instid0(VALU_DEP_2) | instskip(NEXT) | instid1(VALU_DEP_2)
	v_add_nc_u32_e32 v9, 6, v10
	v_add_co_u32 v7, vcc_lo, v1, v7
	v_add_co_ci_u32_e32 v8, vcc_lo, 0, v8, vcc_lo
                                        ; implicit-def: $vgpr1
	s_delay_alu instid0(VALU_DEP_3)
	v_cmpx_ne_u32_e32 0, v9
	s_xor_b32 s0, exec_lo, s0
; %bb.511:                              ;   in Loop: Header=BB10_505 Depth=1
	s_delay_alu instid0(VALU_DEP_2) | instskip(SKIP_1) | instid1(VALU_DEP_1)
	v_cmp_lt_u64_e32 vcc_lo, 0xffffff, v[7:8]
	v_add_nc_u32_e32 v1, 7, v10
	v_cndmask_b32_e32 v1, v9, v1, vcc_lo
	v_cndmask_b32_e64 v9, 0, 1, vcc_lo
	s_delay_alu instid0(VALU_DEP_1)
	v_lshrrev_b64 v[7:8], v9, v[7:8]
; %bb.512:                              ;   in Loop: Header=BB10_505 Depth=1
	s_and_not1_saveexec_b32 s0, s0
; %bb.513:                              ;   in Loop: Header=BB10_505 Depth=1
	s_delay_alu instid0(VALU_DEP_1)
	v_bfe_u32 v1, v7, 23, 1
; %bb.514:                              ;   in Loop: Header=BB10_505 Depth=1
	s_or_b32 exec_lo, exec_lo, s0
	s_delay_alu instid0(VALU_DEP_2) | instskip(NEXT) | instid1(VALU_DEP_2)
	v_lshrrev_b64 v[7:8], 20, v[7:8]
	v_cmp_gt_i32_e32 vcc_lo, 16, v1
	v_cmp_ne_u32_e64 s0, 0, v1
	s_delay_alu instid0(VALU_DEP_3) | instskip(NEXT) | instid1(VALU_DEP_1)
	v_dual_cndmask_b32 v8, 0, v8 :: v_dual_cndmask_b32 v7, 7, v7
	v_cmp_ne_u64_e32 vcc_lo, 0, v[7:8]
                                        ; implicit-def: $vgpr8
	s_delay_alu instid0(VALU_DEP_3) | instskip(NEXT) | instid1(SALU_CYCLE_1)
	s_or_b32 s0, s0, vcc_lo
	s_and_saveexec_b32 s19, s0
	s_delay_alu instid0(SALU_CYCLE_1)
	s_xor_b32 s0, exec_lo, s19
; %bb.515:                              ;   in Loop: Header=BB10_505 Depth=1
	v_min_i32_e32 v1, 15, v1
	s_delay_alu instid0(VALU_DEP_1) | instskip(NEXT) | instid1(VALU_DEP_1)
	v_lshl_or_b32 v1, v1, 3, v11
                                        ; implicit-def: $vgpr11
	v_and_or_b32 v8, v7, 7, v1
; %bb.516:                              ;   in Loop: Header=BB10_505 Depth=1
	s_and_not1_saveexec_b32 s0, s0
; %bb.517:                              ;   in Loop: Header=BB10_505 Depth=1
	v_mov_b32_e32 v8, v11
; %bb.518:                              ;   in Loop: Header=BB10_505 Depth=1
	s_or_b32 exec_lo, exec_lo, s0
.LBB10_519:                             ;   in Loop: Header=BB10_505 Depth=1
	s_delay_alu instid0(SALU_CYCLE_1)
	s_or_b32 exec_lo, exec_lo, s18
.LBB10_520:                             ;   in Loop: Header=BB10_505 Depth=1
	s_and_not1_saveexec_b32 s0, s9
	s_delay_alu instid0(SALU_CYCLE_1)
	s_or_b32 exec_lo, exec_lo, s0
                                        ; implicit-def: $vgpr9
.LBB10_521:                             ;   in Loop: Header=BB10_505 Depth=1
	s_and_not1_saveexec_b32 s0, s8
	s_cbranch_execz .LBB10_504
; %bb.522:                              ;   in Loop: Header=BB10_505 Depth=1
	v_cmp_eq_u64_e32 vcc_lo, 0, v[1:2]
	v_or_b32_e32 v7, 0x7f, v9
	s_delay_alu instid0(VALU_DEP_1)
	v_cndmask_b32_e32 v8, v7, v8, vcc_lo
	s_branch .LBB10_504
.LBB10_523:
	s_or_b32 exec_lo, exec_lo, s3
	s_sub_i32 s4, s17, s2
	s_ashr_i32 s3, s2, 31
	s_ashr_i32 s0, s4, 31
	s_mov_b32 s8, exec_lo
	s_lshr_b32 s0, s0, 30
	s_delay_alu instid0(SALU_CYCLE_1) | instskip(NEXT) | instid1(SALU_CYCLE_1)
	s_add_i32 s0, s4, s0
	s_ashr_i32 s5, s0, 2
	s_delay_alu instid0(SALU_CYCLE_1)
	v_cmpx_gt_i32_e64 s5, v0
	s_cbranch_execz .LBB10_582
; %bb.524:
	s_add_u32 s0, s2, s22
	s_addc_u32 s9, s3, s15
	s_add_u32 s0, s0, s14
	s_addc_u32 s9, s9, s23
	;; [unrolled: 2-line block ×3, first 2 shown]
	s_lshl_b64 s[18:19], s[2:3], 2
	s_lshl_b32 s9, s16, 2
	v_dual_mov_b32 v15, v0 :: v_dual_lshlrev_b32 v2, 4, v0
	s_add_u32 s18, s6, s18
	s_addc_u32 s19, s7, s19
	s_add_u32 s18, s18, s12
	v_dual_mov_b32 v10, 0 :: v_dual_lshlrev_b32 v1, 2, v0
	s_addc_u32 s19, s19, s13
	v_add_co_u32 v2, s18, s18, v2
	s_delay_alu instid0(VALU_DEP_1) | instskip(NEXT) | instid1(VALU_DEP_3)
	v_add_co_ci_u32_e64 v3, null, s19, 0, s18
	v_add_co_u32 v5, s0, s0, v1
	s_delay_alu instid0(VALU_DEP_3) | instskip(SKIP_1) | instid1(VALU_DEP_4)
	v_add_co_u32 v7, vcc_lo, v2, 8
	v_add_co_ci_u32_e64 v6, null, s20, 0, s0
	v_add_co_ci_u32_e32 v8, vcc_lo, 0, v3, vcc_lo
	s_mov_b32 s18, 0
	s_lshl_b32 s19, s16, 4
	s_branch .LBB10_526
.LBB10_525:                             ;   in Loop: Header=BB10_526 Depth=1
	s_or_b32 exec_lo, exec_lo, s0
	v_lshlrev_b32_e32 v2, 16, v11
	v_lshlrev_b32_e32 v3, 8, v14
	v_and_b32_e32 v4, 0xff, v13
	v_add_nc_u32_e32 v15, s16, v15
	s_delay_alu instid0(VALU_DEP_4) | instskip(NEXT) | instid1(VALU_DEP_4)
	v_perm_b32 v1, v1, v2, 0x4020c0c
	v_and_b32_e32 v2, 0xff00, v3
	s_delay_alu instid0(VALU_DEP_3) | instskip(NEXT) | instid1(VALU_DEP_2)
	v_cmp_le_i32_e32 vcc_lo, s5, v15
	v_or3_b32 v1, v1, v2, v4
	s_or_b32 s18, vcc_lo, s18
	global_store_b32 v[5:6], v1, off
	v_add_co_u32 v5, s0, v5, s9
	s_delay_alu instid0(VALU_DEP_1) | instskip(SKIP_1) | instid1(VALU_DEP_1)
	v_add_co_ci_u32_e64 v6, s0, 0, v6, s0
	v_add_co_u32 v7, s0, v7, s19
	v_add_co_ci_u32_e64 v8, s0, 0, v8, s0
	s_and_not1_b32 exec_lo, exec_lo, s18
	s_cbranch_execz .LBB10_582
.LBB10_526:                             ; =>This Inner Loop Header: Depth=1
	global_load_b128 v[1:4], v[7:8], off offset:-8
	s_waitcnt vmcnt(0)
	v_div_scale_f32 v9, null, s1, s1, v1
	s_delay_alu instid0(VALU_DEP_1) | instskip(SKIP_2) | instid1(VALU_DEP_1)
	v_rcp_f32_e32 v11, v9
	s_waitcnt_depctr 0xfff
	v_fma_f32 v12, -v9, v11, 1.0
	v_fmac_f32_e32 v11, v12, v11
	v_div_scale_f32 v12, vcc_lo, v1, s1, v1
	s_delay_alu instid0(VALU_DEP_1) | instskip(NEXT) | instid1(VALU_DEP_1)
	v_mul_f32_e32 v13, v12, v11
	v_fma_f32 v14, -v9, v13, v12
	s_delay_alu instid0(VALU_DEP_1) | instskip(SKIP_1) | instid1(VALU_DEP_2)
	v_fmac_f32_e32 v13, v14, v11
	v_mov_b32_e32 v14, v10
	v_fma_f32 v9, -v9, v13, v12
	s_delay_alu instid0(VALU_DEP_1) | instskip(NEXT) | instid1(VALU_DEP_1)
	v_div_fmas_f32 v9, v9, v11, v13
	v_div_fixup_f32 v11, v9, s1, v1
	s_delay_alu instid0(VALU_DEP_1) | instskip(SKIP_2) | instid1(VALU_DEP_3)
	v_lshrrev_b32_e32 v12, 24, v11
	v_and_b32_e32 v13, 0x7f800000, v11
	v_and_b32_e32 v9, 0x7fffff, v11
	;; [unrolled: 1-line block ×3, first 2 shown]
	s_delay_alu instid0(VALU_DEP_3) | instskip(NEXT) | instid1(VALU_DEP_2)
	v_cmp_ne_u64_e32 vcc_lo, 0x7f800000, v[13:14]
	v_or_b32_e32 v13, 0x7e, v1
	s_and_saveexec_b32 s0, vcc_lo
	s_delay_alu instid0(SALU_CYCLE_1)
	s_xor_b32 s20, exec_lo, s0
	s_cbranch_execz .LBB10_538
; %bb.527:                              ;   in Loop: Header=BB10_526 Depth=1
	v_dual_mov_b32 v17, v10 :: v_dual_and_b32 v16, 0x7fffffff, v11
	s_mov_b32 s21, exec_lo
	s_delay_alu instid0(VALU_DEP_1)
	v_cmpx_gt_u64_e32 0x43e00001, v[16:17]
	s_cbranch_execz .LBB10_537
; %bb.528:                              ;   in Loop: Header=BB10_526 Depth=1
	v_mov_b32_e32 v13, 0
	s_mov_b32 s24, exec_lo
	v_cmpx_ne_u32_e32 0, v11
	s_cbranch_execz .LBB10_536
; %bb.529:                              ;   in Loop: Header=BB10_526 Depth=1
	v_bfe_u32 v16, v11, 23, 8
	v_or_b32_e32 v13, 0x800000, v9
	s_delay_alu instid0(VALU_DEP_2) | instskip(SKIP_1) | instid1(VALU_DEP_2)
	v_sub_nc_u32_e32 v11, 0x79, v16
	v_cmp_gt_u32_e32 vcc_lo, 0x7a, v16
	v_cndmask_b32_e32 v11, 0, v11, vcc_lo
	v_cmp_eq_u32_e32 vcc_lo, 0, v16
	s_delay_alu instid0(VALU_DEP_2) | instskip(SKIP_1) | instid1(VALU_DEP_2)
	v_cndmask_b32_e64 v17, v11, 0x78, vcc_lo
	v_cndmask_b32_e32 v9, v13, v9, vcc_lo
	v_add_nc_u32_e32 v11, 20, v17
	v_add_nc_u32_e32 v13, 19, v17
	s_delay_alu instid0(VALU_DEP_2) | instskip(NEXT) | instid1(VALU_DEP_2)
	v_lshlrev_b64 v[11:12], v11, -1
	v_lshlrev_b64 v[13:14], v13, 1
	s_delay_alu instid0(VALU_DEP_2) | instskip(NEXT) | instid1(VALU_DEP_3)
	v_not_b32_e32 v12, v12
	v_not_b32_e32 v11, v11
	s_delay_alu instid0(VALU_DEP_2) | instskip(NEXT) | instid1(VALU_DEP_2)
	v_and_b32_e32 v19, 0, v12
	v_and_b32_e32 v18, v9, v11
	v_lshrrev_b64 v[11:12], v17, v[9:10]
	s_delay_alu instid0(VALU_DEP_2) | instskip(NEXT) | instid1(VALU_DEP_2)
	v_cmp_eq_u64_e64 s0, v[18:19], v[13:14]
	v_dual_mov_b32 v14, v12 :: v_dual_mov_b32 v13, v11
	s_delay_alu instid0(VALU_DEP_2)
	s_and_saveexec_b32 s25, s0
; %bb.530:                              ;   in Loop: Header=BB10_526 Depth=1
	v_bfe_u32 v9, v11, 20, 1
	s_delay_alu instid0(VALU_DEP_1) | instskip(NEXT) | instid1(VALU_DEP_1)
	v_add_co_u32 v9, s0, v11, v9
	v_add_co_u32 v13, s0, v9, -1
; %bb.531:                              ;   in Loop: Header=BB10_526 Depth=1
	s_or_b32 exec_lo, exec_lo, s25
	v_add_nc_u32_e32 v9, 0xffffff81, v16
	v_lshrrev_b32_e32 v14, 23, v11
	s_mov_b32 s0, exec_lo
	s_delay_alu instid0(VALU_DEP_2) | instskip(NEXT) | instid1(VALU_DEP_1)
	v_cndmask_b32_e64 v9, v9, 0xffffff82, vcc_lo
	v_add3_u32 v14, v17, v9, v14
	v_and_b32_e32 v9, 0xfffff, v13
	s_delay_alu instid0(VALU_DEP_2) | instskip(NEXT) | instid1(VALU_DEP_2)
	v_add_nc_u32_e32 v13, 6, v14
	v_add_co_u32 v11, vcc_lo, v9, v11
	v_add_co_ci_u32_e32 v12, vcc_lo, 0, v12, vcc_lo
                                        ; implicit-def: $vgpr9
	s_delay_alu instid0(VALU_DEP_3)
	v_cmpx_ne_u32_e32 0, v13
	s_xor_b32 s0, exec_lo, s0
; %bb.532:                              ;   in Loop: Header=BB10_526 Depth=1
	s_delay_alu instid0(VALU_DEP_2) | instskip(SKIP_1) | instid1(VALU_DEP_1)
	v_cmp_lt_u64_e32 vcc_lo, 0xffffff, v[11:12]
	v_add_nc_u32_e32 v9, 7, v14
	v_cndmask_b32_e32 v9, v13, v9, vcc_lo
	v_cndmask_b32_e64 v13, 0, 1, vcc_lo
	s_delay_alu instid0(VALU_DEP_1)
	v_lshrrev_b64 v[11:12], v13, v[11:12]
; %bb.533:                              ;   in Loop: Header=BB10_526 Depth=1
	s_and_not1_saveexec_b32 s0, s0
; %bb.534:                              ;   in Loop: Header=BB10_526 Depth=1
	s_delay_alu instid0(VALU_DEP_1)
	v_bfe_u32 v9, v11, 23, 1
; %bb.535:                              ;   in Loop: Header=BB10_526 Depth=1
	s_or_b32 exec_lo, exec_lo, s0
	s_delay_alu instid0(VALU_DEP_2) | instskip(NEXT) | instid1(VALU_DEP_2)
	v_lshrrev_b64 v[11:12], 20, v[11:12]
	v_cmp_gt_i32_e32 vcc_lo, 16, v9
	v_min_i32_e32 v13, 15, v9
	v_cmp_eq_u32_e64 s0, 0, v9
	s_delay_alu instid0(VALU_DEP_4) | instskip(NEXT) | instid1(VALU_DEP_3)
	v_dual_cndmask_b32 v12, 0, v12 :: v_dual_cndmask_b32 v11, 7, v11
	v_lshlrev_b32_e32 v13, 3, v13
	s_delay_alu instid0(VALU_DEP_2) | instskip(NEXT) | instid1(VALU_DEP_2)
	v_cmp_eq_u64_e32 vcc_lo, 0, v[11:12]
	v_and_or_b32 v9, v11, 7, v13
	s_and_b32 s0, s0, vcc_lo
	s_delay_alu instid0(VALU_DEP_1) | instid1(SALU_CYCLE_1)
	v_cndmask_b32_e64 v9, v9, 0, s0
	s_delay_alu instid0(VALU_DEP_1)
	v_or_b32_e32 v13, v9, v1
.LBB10_536:                             ;   in Loop: Header=BB10_526 Depth=1
	s_or_b32 exec_lo, exec_lo, s24
.LBB10_537:                             ;   in Loop: Header=BB10_526 Depth=1
	s_delay_alu instid0(SALU_CYCLE_1)
	s_or_b32 exec_lo, exec_lo, s21
                                        ; implicit-def: $vgpr12
.LBB10_538:                             ;   in Loop: Header=BB10_526 Depth=1
	s_and_not1_saveexec_b32 s0, s20
; %bb.539:                              ;   in Loop: Header=BB10_526 Depth=1
	v_cmp_eq_u64_e32 vcc_lo, 0, v[9:10]
	v_or_b32_e32 v1, 0x7f, v12
	s_delay_alu instid0(VALU_DEP_1)
	v_cndmask_b32_e32 v13, v1, v13, vcc_lo
; %bb.540:                              ;   in Loop: Header=BB10_526 Depth=1
	s_or_b32 exec_lo, exec_lo, s0
	v_div_scale_f32 v1, null, s1, s1, v2
	s_mov_b32 s0, exec_lo
	s_delay_alu instid0(VALU_DEP_1) | instskip(SKIP_2) | instid1(VALU_DEP_1)
	v_rcp_f32_e32 v9, v1
	s_waitcnt_depctr 0xfff
	v_fma_f32 v11, -v1, v9, 1.0
	v_fmac_f32_e32 v9, v11, v9
	v_div_scale_f32 v11, vcc_lo, v2, s1, v2
	s_delay_alu instid0(VALU_DEP_1) | instskip(NEXT) | instid1(VALU_DEP_1)
	v_mul_f32_e32 v12, v11, v9
	v_fma_f32 v14, -v1, v12, v11
	s_delay_alu instid0(VALU_DEP_1) | instskip(NEXT) | instid1(VALU_DEP_1)
	v_fmac_f32_e32 v12, v14, v9
	v_fma_f32 v1, -v1, v12, v11
	s_delay_alu instid0(VALU_DEP_1) | instskip(SKIP_1) | instid1(VALU_DEP_2)
	v_div_fmas_f32 v1, v1, v9, v12
	v_mov_b32_e32 v12, v10
	v_div_fixup_f32 v1, v1, s1, v2
	s_delay_alu instid0(VALU_DEP_1) | instskip(SKIP_2) | instid1(VALU_DEP_3)
	v_lshrrev_b32_e32 v2, 24, v1
	v_and_b32_e32 v11, 0x7f800000, v1
	v_and_b32_e32 v9, 0x7fffff, v1
	;; [unrolled: 1-line block ×3, first 2 shown]
	s_delay_alu instid0(VALU_DEP_1) | instskip(NEXT) | instid1(VALU_DEP_4)
	v_or_b32_e32 v14, 0x7e, v16
	v_cmpx_ne_u64_e32 0x7f800000, v[11:12]
	s_xor_b32 s20, exec_lo, s0
	s_cbranch_execz .LBB10_552
; %bb.541:                              ;   in Loop: Header=BB10_526 Depth=1
	v_dual_mov_b32 v12, v10 :: v_dual_and_b32 v11, 0x7fffffff, v1
	s_mov_b32 s21, exec_lo
	s_delay_alu instid0(VALU_DEP_1)
	v_cmpx_gt_u64_e32 0x43e00001, v[11:12]
	s_cbranch_execz .LBB10_551
; %bb.542:                              ;   in Loop: Header=BB10_526 Depth=1
	v_mov_b32_e32 v14, 0
	s_mov_b32 s24, exec_lo
	v_cmpx_ne_u32_e32 0, v1
	s_cbranch_execz .LBB10_550
; %bb.543:                              ;   in Loop: Header=BB10_526 Depth=1
	v_bfe_u32 v14, v1, 23, 8
	v_or_b32_e32 v11, 0x800000, v9
	s_delay_alu instid0(VALU_DEP_2) | instskip(SKIP_1) | instid1(VALU_DEP_2)
	v_sub_nc_u32_e32 v1, 0x79, v14
	v_cmp_gt_u32_e32 vcc_lo, 0x7a, v14
	v_cndmask_b32_e32 v1, 0, v1, vcc_lo
	v_cmp_eq_u32_e32 vcc_lo, 0, v14
	s_delay_alu instid0(VALU_DEP_2) | instskip(SKIP_1) | instid1(VALU_DEP_2)
	v_cndmask_b32_e64 v17, v1, 0x78, vcc_lo
	v_cndmask_b32_e32 v9, v11, v9, vcc_lo
	v_add_nc_u32_e32 v1, 20, v17
	v_add_nc_u32_e32 v11, 19, v17
	s_delay_alu instid0(VALU_DEP_2) | instskip(NEXT) | instid1(VALU_DEP_2)
	v_lshlrev_b64 v[1:2], v1, -1
	v_lshlrev_b64 v[11:12], v11, 1
	s_delay_alu instid0(VALU_DEP_2) | instskip(NEXT) | instid1(VALU_DEP_3)
	v_not_b32_e32 v2, v2
	v_not_b32_e32 v1, v1
	s_delay_alu instid0(VALU_DEP_2) | instskip(NEXT) | instid1(VALU_DEP_2)
	v_and_b32_e32 v19, 0, v2
	v_and_b32_e32 v18, v9, v1
	v_lshrrev_b64 v[1:2], v17, v[9:10]
	s_delay_alu instid0(VALU_DEP_2) | instskip(NEXT) | instid1(VALU_DEP_2)
	v_cmp_eq_u64_e64 s0, v[18:19], v[11:12]
	v_dual_mov_b32 v12, v2 :: v_dual_mov_b32 v11, v1
	s_delay_alu instid0(VALU_DEP_2)
	s_and_saveexec_b32 s25, s0
; %bb.544:                              ;   in Loop: Header=BB10_526 Depth=1
	v_bfe_u32 v9, v1, 20, 1
	s_delay_alu instid0(VALU_DEP_1) | instskip(NEXT) | instid1(VALU_DEP_1)
	v_add_co_u32 v9, s0, v1, v9
	v_add_co_u32 v11, s0, v9, -1
; %bb.545:                              ;   in Loop: Header=BB10_526 Depth=1
	s_or_b32 exec_lo, exec_lo, s25
	v_add_nc_u32_e32 v9, 0xffffff81, v14
	v_lshrrev_b32_e32 v12, 23, v1
	s_mov_b32 s0, exec_lo
	s_delay_alu instid0(VALU_DEP_2) | instskip(NEXT) | instid1(VALU_DEP_1)
	v_cndmask_b32_e64 v9, v9, 0xffffff82, vcc_lo
	v_add3_u32 v12, v17, v9, v12
	v_and_b32_e32 v9, 0xfffff, v11
	s_delay_alu instid0(VALU_DEP_2) | instskip(NEXT) | instid1(VALU_DEP_2)
	v_add_nc_u32_e32 v11, 6, v12
	v_add_co_u32 v1, vcc_lo, v9, v1
	v_add_co_ci_u32_e32 v2, vcc_lo, 0, v2, vcc_lo
                                        ; implicit-def: $vgpr9
	s_delay_alu instid0(VALU_DEP_3)
	v_cmpx_ne_u32_e32 0, v11
	s_xor_b32 s0, exec_lo, s0
; %bb.546:                              ;   in Loop: Header=BB10_526 Depth=1
	s_delay_alu instid0(VALU_DEP_2) | instskip(SKIP_1) | instid1(VALU_DEP_1)
	v_cmp_lt_u64_e32 vcc_lo, 0xffffff, v[1:2]
	v_add_nc_u32_e32 v9, 7, v12
	v_cndmask_b32_e32 v9, v11, v9, vcc_lo
	v_cndmask_b32_e64 v11, 0, 1, vcc_lo
	s_delay_alu instid0(VALU_DEP_1)
	v_lshrrev_b64 v[1:2], v11, v[1:2]
; %bb.547:                              ;   in Loop: Header=BB10_526 Depth=1
	s_and_not1_saveexec_b32 s0, s0
; %bb.548:                              ;   in Loop: Header=BB10_526 Depth=1
	s_delay_alu instid0(VALU_DEP_1)
	v_bfe_u32 v9, v1, 23, 1
; %bb.549:                              ;   in Loop: Header=BB10_526 Depth=1
	s_or_b32 exec_lo, exec_lo, s0
	s_delay_alu instid0(VALU_DEP_2) | instskip(NEXT) | instid1(VALU_DEP_2)
	v_lshrrev_b64 v[1:2], 20, v[1:2]
	v_cmp_gt_i32_e32 vcc_lo, 16, v9
	v_min_i32_e32 v11, 15, v9
	v_cmp_eq_u32_e64 s0, 0, v9
	s_delay_alu instid0(VALU_DEP_4) | instskip(NEXT) | instid1(VALU_DEP_3)
	v_dual_cndmask_b32 v2, 0, v2 :: v_dual_cndmask_b32 v1, 7, v1
	v_lshlrev_b32_e32 v11, 3, v11
	s_delay_alu instid0(VALU_DEP_2) | instskip(NEXT) | instid1(VALU_DEP_2)
	v_cmp_eq_u64_e32 vcc_lo, 0, v[1:2]
	v_and_or_b32 v1, v1, 7, v11
	s_and_b32 s0, s0, vcc_lo
	s_delay_alu instid0(VALU_DEP_1) | instid1(SALU_CYCLE_1)
	v_cndmask_b32_e64 v1, v1, 0, s0
	s_delay_alu instid0(VALU_DEP_1)
	v_or_b32_e32 v14, v1, v16
.LBB10_550:                             ;   in Loop: Header=BB10_526 Depth=1
	s_or_b32 exec_lo, exec_lo, s24
.LBB10_551:                             ;   in Loop: Header=BB10_526 Depth=1
	s_delay_alu instid0(SALU_CYCLE_1)
	s_or_b32 exec_lo, exec_lo, s21
                                        ; implicit-def: $vgpr2
.LBB10_552:                             ;   in Loop: Header=BB10_526 Depth=1
	s_and_not1_saveexec_b32 s0, s20
; %bb.553:                              ;   in Loop: Header=BB10_526 Depth=1
	v_cmp_eq_u64_e32 vcc_lo, 0, v[9:10]
	v_or_b32_e32 v1, 0x7f, v2
	s_delay_alu instid0(VALU_DEP_1)
	v_cndmask_b32_e32 v14, v1, v14, vcc_lo
; %bb.554:                              ;   in Loop: Header=BB10_526 Depth=1
	s_or_b32 exec_lo, exec_lo, s0
	v_div_scale_f32 v1, null, s1, s1, v3
	s_delay_alu instid0(VALU_DEP_1) | instskip(SKIP_2) | instid1(VALU_DEP_1)
	v_rcp_f32_e32 v2, v1
	s_waitcnt_depctr 0xfff
	v_fma_f32 v9, -v1, v2, 1.0
	v_fmac_f32_e32 v2, v9, v2
	v_div_scale_f32 v9, vcc_lo, v3, s1, v3
	s_delay_alu instid0(VALU_DEP_1) | instskip(NEXT) | instid1(VALU_DEP_1)
	v_mul_f32_e32 v11, v9, v2
	v_fma_f32 v12, -v1, v11, v9
	s_delay_alu instid0(VALU_DEP_1) | instskip(NEXT) | instid1(VALU_DEP_1)
	v_dual_fmac_f32 v11, v12, v2 :: v_dual_mov_b32 v12, v10
	v_fma_f32 v1, -v1, v11, v9
	s_delay_alu instid0(VALU_DEP_1) | instskip(NEXT) | instid1(VALU_DEP_1)
	v_div_fmas_f32 v1, v1, v2, v11
	v_div_fixup_f32 v1, v1, s1, v3
	s_delay_alu instid0(VALU_DEP_1) | instskip(SKIP_2) | instid1(VALU_DEP_3)
	v_lshrrev_b32_e32 v2, 24, v1
	v_and_b32_e32 v11, 0x7f800000, v1
	v_and_b32_e32 v9, 0x7fffff, v1
	;; [unrolled: 1-line block ×3, first 2 shown]
	s_delay_alu instid0(VALU_DEP_3) | instskip(NEXT) | instid1(VALU_DEP_2)
	v_cmp_ne_u64_e32 vcc_lo, 0x7f800000, v[11:12]
	v_or_b32_e32 v11, 0x7e, v3
	s_and_saveexec_b32 s0, vcc_lo
	s_delay_alu instid0(SALU_CYCLE_1)
	s_xor_b32 s20, exec_lo, s0
	s_cbranch_execz .LBB10_566
; %bb.555:                              ;   in Loop: Header=BB10_526 Depth=1
	v_dual_mov_b32 v17, v10 :: v_dual_and_b32 v16, 0x7fffffff, v1
	s_mov_b32 s21, exec_lo
	s_delay_alu instid0(VALU_DEP_1)
	v_cmpx_gt_u64_e32 0x43e00001, v[16:17]
	s_cbranch_execz .LBB10_565
; %bb.556:                              ;   in Loop: Header=BB10_526 Depth=1
	v_mov_b32_e32 v11, 0
	s_mov_b32 s24, exec_lo
	v_cmpx_ne_u32_e32 0, v1
	s_cbranch_execz .LBB10_564
; %bb.557:                              ;   in Loop: Header=BB10_526 Depth=1
	v_bfe_u32 v16, v1, 23, 8
	v_or_b32_e32 v11, 0x800000, v9
	s_delay_alu instid0(VALU_DEP_2) | instskip(SKIP_1) | instid1(VALU_DEP_2)
	v_sub_nc_u32_e32 v1, 0x79, v16
	v_cmp_gt_u32_e32 vcc_lo, 0x7a, v16
	v_cndmask_b32_e32 v1, 0, v1, vcc_lo
	v_cmp_eq_u32_e32 vcc_lo, 0, v16
	s_delay_alu instid0(VALU_DEP_2) | instskip(SKIP_1) | instid1(VALU_DEP_2)
	v_cndmask_b32_e64 v17, v1, 0x78, vcc_lo
	v_cndmask_b32_e32 v9, v11, v9, vcc_lo
	v_add_nc_u32_e32 v1, 20, v17
	v_add_nc_u32_e32 v11, 19, v17
	s_delay_alu instid0(VALU_DEP_2) | instskip(NEXT) | instid1(VALU_DEP_2)
	v_lshlrev_b64 v[1:2], v1, -1
	v_lshlrev_b64 v[11:12], v11, 1
	s_delay_alu instid0(VALU_DEP_2) | instskip(NEXT) | instid1(VALU_DEP_3)
	v_not_b32_e32 v2, v2
	v_not_b32_e32 v1, v1
	s_delay_alu instid0(VALU_DEP_2) | instskip(NEXT) | instid1(VALU_DEP_2)
	v_and_b32_e32 v19, 0, v2
	v_and_b32_e32 v18, v9, v1
	v_lshrrev_b64 v[1:2], v17, v[9:10]
	s_delay_alu instid0(VALU_DEP_2) | instskip(NEXT) | instid1(VALU_DEP_2)
	v_cmp_eq_u64_e64 s0, v[18:19], v[11:12]
	v_dual_mov_b32 v12, v2 :: v_dual_mov_b32 v11, v1
	s_delay_alu instid0(VALU_DEP_2)
	s_and_saveexec_b32 s25, s0
; %bb.558:                              ;   in Loop: Header=BB10_526 Depth=1
	v_bfe_u32 v9, v1, 20, 1
	s_delay_alu instid0(VALU_DEP_1) | instskip(NEXT) | instid1(VALU_DEP_1)
	v_add_co_u32 v9, s0, v1, v9
	v_add_co_u32 v11, s0, v9, -1
; %bb.559:                              ;   in Loop: Header=BB10_526 Depth=1
	s_or_b32 exec_lo, exec_lo, s25
	v_add_nc_u32_e32 v9, 0xffffff81, v16
	v_lshrrev_b32_e32 v12, 23, v1
	s_mov_b32 s0, exec_lo
	s_delay_alu instid0(VALU_DEP_2) | instskip(NEXT) | instid1(VALU_DEP_1)
	v_cndmask_b32_e64 v9, v9, 0xffffff82, vcc_lo
	v_add3_u32 v12, v17, v9, v12
	v_and_b32_e32 v9, 0xfffff, v11
	s_delay_alu instid0(VALU_DEP_2) | instskip(NEXT) | instid1(VALU_DEP_2)
	v_add_nc_u32_e32 v11, 6, v12
	v_add_co_u32 v1, vcc_lo, v9, v1
	v_add_co_ci_u32_e32 v2, vcc_lo, 0, v2, vcc_lo
                                        ; implicit-def: $vgpr9
	s_delay_alu instid0(VALU_DEP_3)
	v_cmpx_ne_u32_e32 0, v11
	s_xor_b32 s0, exec_lo, s0
; %bb.560:                              ;   in Loop: Header=BB10_526 Depth=1
	s_delay_alu instid0(VALU_DEP_2) | instskip(SKIP_1) | instid1(VALU_DEP_1)
	v_cmp_lt_u64_e32 vcc_lo, 0xffffff, v[1:2]
	v_add_nc_u32_e32 v9, 7, v12
	v_cndmask_b32_e32 v9, v11, v9, vcc_lo
	v_cndmask_b32_e64 v11, 0, 1, vcc_lo
	s_delay_alu instid0(VALU_DEP_1)
	v_lshrrev_b64 v[1:2], v11, v[1:2]
; %bb.561:                              ;   in Loop: Header=BB10_526 Depth=1
	s_and_not1_saveexec_b32 s0, s0
; %bb.562:                              ;   in Loop: Header=BB10_526 Depth=1
	s_delay_alu instid0(VALU_DEP_1)
	v_bfe_u32 v9, v1, 23, 1
; %bb.563:                              ;   in Loop: Header=BB10_526 Depth=1
	s_or_b32 exec_lo, exec_lo, s0
	s_delay_alu instid0(VALU_DEP_2) | instskip(NEXT) | instid1(VALU_DEP_2)
	v_lshrrev_b64 v[1:2], 20, v[1:2]
	v_cmp_gt_i32_e32 vcc_lo, 16, v9
	v_min_i32_e32 v11, 15, v9
	v_cmp_eq_u32_e64 s0, 0, v9
	s_delay_alu instid0(VALU_DEP_4) | instskip(NEXT) | instid1(VALU_DEP_3)
	v_dual_cndmask_b32 v2, 0, v2 :: v_dual_cndmask_b32 v1, 7, v1
	v_lshlrev_b32_e32 v11, 3, v11
	s_delay_alu instid0(VALU_DEP_2) | instskip(NEXT) | instid1(VALU_DEP_2)
	v_cmp_eq_u64_e32 vcc_lo, 0, v[1:2]
	v_and_or_b32 v1, v1, 7, v11
	s_and_b32 s0, s0, vcc_lo
	s_delay_alu instid0(VALU_DEP_1) | instid1(SALU_CYCLE_1)
	v_cndmask_b32_e64 v1, v1, 0, s0
	s_delay_alu instid0(VALU_DEP_1)
	v_or_b32_e32 v11, v1, v3
.LBB10_564:                             ;   in Loop: Header=BB10_526 Depth=1
	s_or_b32 exec_lo, exec_lo, s24
.LBB10_565:                             ;   in Loop: Header=BB10_526 Depth=1
	s_delay_alu instid0(SALU_CYCLE_1)
	s_or_b32 exec_lo, exec_lo, s21
                                        ; implicit-def: $vgpr2
.LBB10_566:                             ;   in Loop: Header=BB10_526 Depth=1
	s_and_not1_saveexec_b32 s0, s20
; %bb.567:                              ;   in Loop: Header=BB10_526 Depth=1
	v_cmp_eq_u64_e32 vcc_lo, 0, v[9:10]
	v_or_b32_e32 v1, 0x7f, v2
	s_delay_alu instid0(VALU_DEP_1)
	v_cndmask_b32_e32 v11, v1, v11, vcc_lo
; %bb.568:                              ;   in Loop: Header=BB10_526 Depth=1
	s_or_b32 exec_lo, exec_lo, s0
	v_div_scale_f32 v1, null, s1, s1, v4
	s_mov_b32 s0, exec_lo
	v_mov_b32_e32 v17, v10
	s_delay_alu instid0(VALU_DEP_2) | instskip(SKIP_2) | instid1(VALU_DEP_1)
	v_rcp_f32_e32 v2, v1
	s_waitcnt_depctr 0xfff
	v_fma_f32 v3, -v1, v2, 1.0
	v_fmac_f32_e32 v2, v3, v2
	v_div_scale_f32 v3, vcc_lo, v4, s1, v4
	s_delay_alu instid0(VALU_DEP_1) | instskip(NEXT) | instid1(VALU_DEP_1)
	v_mul_f32_e32 v9, v3, v2
	v_fma_f32 v12, -v1, v9, v3
	s_delay_alu instid0(VALU_DEP_1) | instskip(NEXT) | instid1(VALU_DEP_1)
	v_fmac_f32_e32 v9, v12, v2
	v_fma_f32 v1, -v1, v9, v3
	s_delay_alu instid0(VALU_DEP_1) | instskip(NEXT) | instid1(VALU_DEP_1)
	v_div_fmas_f32 v1, v1, v2, v9
	v_div_fixup_f32 v2, v1, s1, v4
	s_delay_alu instid0(VALU_DEP_1) | instskip(SKIP_2) | instid1(VALU_DEP_3)
	v_lshrrev_b32_e32 v3, 24, v2
	v_and_b32_e32 v16, 0x7f800000, v2
	v_and_b32_e32 v9, 0x7fffff, v2
	;; [unrolled: 1-line block ×3, first 2 shown]
	s_delay_alu instid0(VALU_DEP_1) | instskip(NEXT) | instid1(VALU_DEP_4)
	v_or_b32_e32 v1, 0x7e, v12
	v_cmpx_ne_u64_e32 0x7f800000, v[16:17]
	s_xor_b32 s20, exec_lo, s0
	s_cbranch_execz .LBB10_580
; %bb.569:                              ;   in Loop: Header=BB10_526 Depth=1
	v_dual_mov_b32 v4, v10 :: v_dual_and_b32 v3, 0x7fffffff, v2
	s_mov_b32 s21, exec_lo
	s_delay_alu instid0(VALU_DEP_1)
	v_cmpx_gt_u64_e32 0x43e00001, v[3:4]
	s_cbranch_execz .LBB10_579
; %bb.570:                              ;   in Loop: Header=BB10_526 Depth=1
	v_mov_b32_e32 v1, 0
	s_mov_b32 s24, exec_lo
	v_cmpx_ne_u32_e32 0, v2
	s_cbranch_execz .LBB10_578
; %bb.571:                              ;   in Loop: Header=BB10_526 Depth=1
	v_bfe_u32 v16, v2, 23, 8
	v_or_b32_e32 v3, 0x800000, v9
	s_delay_alu instid0(VALU_DEP_2) | instskip(SKIP_1) | instid1(VALU_DEP_2)
	v_sub_nc_u32_e32 v1, 0x79, v16
	v_cmp_gt_u32_e32 vcc_lo, 0x7a, v16
	v_cndmask_b32_e32 v1, 0, v1, vcc_lo
	v_cmp_eq_u32_e32 vcc_lo, 0, v16
	s_delay_alu instid0(VALU_DEP_2) | instskip(SKIP_1) | instid1(VALU_DEP_2)
	v_cndmask_b32_e64 v17, v1, 0x78, vcc_lo
	v_cndmask_b32_e32 v9, v3, v9, vcc_lo
	v_add_nc_u32_e32 v1, 20, v17
	v_add_nc_u32_e32 v3, 19, v17
	s_delay_alu instid0(VALU_DEP_2) | instskip(NEXT) | instid1(VALU_DEP_2)
	v_lshlrev_b64 v[1:2], v1, -1
	v_lshlrev_b64 v[3:4], v3, 1
	s_delay_alu instid0(VALU_DEP_2) | instskip(NEXT) | instid1(VALU_DEP_3)
	v_not_b32_e32 v2, v2
	v_not_b32_e32 v1, v1
	s_delay_alu instid0(VALU_DEP_2) | instskip(NEXT) | instid1(VALU_DEP_2)
	v_and_b32_e32 v19, 0, v2
	v_and_b32_e32 v18, v9, v1
	v_lshrrev_b64 v[1:2], v17, v[9:10]
	s_delay_alu instid0(VALU_DEP_2) | instskip(NEXT) | instid1(VALU_DEP_2)
	v_cmp_eq_u64_e64 s0, v[18:19], v[3:4]
	v_dual_mov_b32 v4, v2 :: v_dual_mov_b32 v3, v1
	s_delay_alu instid0(VALU_DEP_2)
	s_and_saveexec_b32 s25, s0
; %bb.572:                              ;   in Loop: Header=BB10_526 Depth=1
	v_bfe_u32 v3, v1, 20, 1
	s_delay_alu instid0(VALU_DEP_1) | instskip(NEXT) | instid1(VALU_DEP_1)
	v_add_co_u32 v3, s0, v1, v3
	v_add_co_u32 v3, s0, v3, -1
; %bb.573:                              ;   in Loop: Header=BB10_526 Depth=1
	s_or_b32 exec_lo, exec_lo, s25
	v_add_nc_u32_e32 v4, 0xffffff81, v16
	v_lshrrev_b32_e32 v9, 23, v1
	s_delay_alu instid0(VALU_DEP_3) | instskip(SKIP_1) | instid1(VALU_DEP_3)
	v_and_b32_e32 v3, 0xfffff, v3
	s_mov_b32 s0, exec_lo
	v_cndmask_b32_e64 v4, v4, 0xffffff82, vcc_lo
	s_delay_alu instid0(VALU_DEP_2) | instskip(SKIP_1) | instid1(VALU_DEP_3)
	v_add_co_u32 v1, vcc_lo, v3, v1
	v_add_co_ci_u32_e32 v2, vcc_lo, 0, v2, vcc_lo
	v_add3_u32 v4, v17, v4, v9
                                        ; implicit-def: $vgpr3
	s_delay_alu instid0(VALU_DEP_1) | instskip(NEXT) | instid1(VALU_DEP_1)
	v_add_nc_u32_e32 v9, 6, v4
	v_cmpx_ne_u32_e32 0, v9
	s_xor_b32 s0, exec_lo, s0
; %bb.574:                              ;   in Loop: Header=BB10_526 Depth=1
	v_cmp_lt_u64_e32 vcc_lo, 0xffffff, v[1:2]
	v_add_nc_u32_e32 v3, 7, v4
	v_cndmask_b32_e64 v4, 0, 1, vcc_lo
	s_delay_alu instid0(VALU_DEP_2) | instskip(NEXT) | instid1(VALU_DEP_2)
	v_cndmask_b32_e32 v3, v9, v3, vcc_lo
	v_lshrrev_b64 v[1:2], v4, v[1:2]
; %bb.575:                              ;   in Loop: Header=BB10_526 Depth=1
	s_and_not1_saveexec_b32 s0, s0
; %bb.576:                              ;   in Loop: Header=BB10_526 Depth=1
	s_delay_alu instid0(VALU_DEP_1)
	v_bfe_u32 v3, v1, 23, 1
; %bb.577:                              ;   in Loop: Header=BB10_526 Depth=1
	s_or_b32 exec_lo, exec_lo, s0
	s_delay_alu instid0(VALU_DEP_2) | instskip(NEXT) | instid1(VALU_DEP_2)
	v_lshrrev_b64 v[1:2], 20, v[1:2]
	v_cmp_gt_i32_e32 vcc_lo, 16, v3
	v_min_i32_e32 v4, 15, v3
	v_cmp_eq_u32_e64 s0, 0, v3
	s_delay_alu instid0(VALU_DEP_4) | instskip(NEXT) | instid1(VALU_DEP_3)
	v_dual_cndmask_b32 v2, 0, v2 :: v_dual_cndmask_b32 v1, 7, v1
	v_lshlrev_b32_e32 v4, 3, v4
	s_delay_alu instid0(VALU_DEP_2) | instskip(NEXT) | instid1(VALU_DEP_2)
	v_cmp_eq_u64_e32 vcc_lo, 0, v[1:2]
	v_and_or_b32 v1, v1, 7, v4
	s_and_b32 s0, s0, vcc_lo
	s_delay_alu instid0(VALU_DEP_1) | instid1(SALU_CYCLE_1)
	v_cndmask_b32_e64 v1, v1, 0, s0
	s_delay_alu instid0(VALU_DEP_1)
	v_or_b32_e32 v1, v1, v12
.LBB10_578:                             ;   in Loop: Header=BB10_526 Depth=1
	s_or_b32 exec_lo, exec_lo, s24
.LBB10_579:                             ;   in Loop: Header=BB10_526 Depth=1
	s_delay_alu instid0(SALU_CYCLE_1)
	s_or_b32 exec_lo, exec_lo, s21
                                        ; implicit-def: $vgpr3
.LBB10_580:                             ;   in Loop: Header=BB10_526 Depth=1
	s_and_not1_saveexec_b32 s0, s20
	s_cbranch_execz .LBB10_525
; %bb.581:                              ;   in Loop: Header=BB10_526 Depth=1
	v_cmp_eq_u64_e32 vcc_lo, 0, v[9:10]
	v_or_b32_e32 v2, 0x7f, v3
	s_delay_alu instid0(VALU_DEP_1)
	v_cndmask_b32_e32 v1, v2, v1, vcc_lo
	s_branch .LBB10_525
.LBB10_582:
	s_or_b32 exec_lo, exec_lo, s8
	v_lshl_add_u32 v1, s5, 2, v0
	s_mov_b32 s5, exec_lo
	s_delay_alu instid0(VALU_DEP_1)
	v_cmpx_gt_i32_e64 s4, v1
	s_cbranch_execz .LBB10_603
; %bb.583:
	v_ashrrev_i32_e32 v2, 31, v1
	s_lshl_b64 s[8:9], s[2:3], 2
	v_mov_b32_e32 v3, 0
	s_add_u32 s0, s12, s8
	s_addc_u32 s8, s13, s9
	v_lshlrev_b64 v[4:5], 2, v[1:2]
	s_add_u32 s0, s6, s0
	s_addc_u32 s8, s7, s8
	s_mov_b32 s9, 0
	s_delay_alu instid0(VALU_DEP_1) | instskip(NEXT) | instid1(VALU_DEP_2)
	v_add_co_u32 v4, vcc_lo, s0, v4
	v_add_co_ci_u32_e32 v5, vcc_lo, s8, v5, vcc_lo
	s_lshl_b32 s8, s16, 2
	s_add_u32 s0, s2, s22
	s_addc_u32 s2, s3, s15
	s_add_u32 s0, s0, s14
	s_addc_u32 s2, s2, s23
	;; [unrolled: 2-line block ×3, first 2 shown]
	v_add_co_u32 v10, vcc_lo, s0, v1
	v_add_co_ci_u32_e32 v11, vcc_lo, s2, v2, vcc_lo
	s_mov_b64 s[2:3], 0
	s_branch .LBB10_585
.LBB10_584:                             ;   in Loop: Header=BB10_585 Depth=1
	s_or_b32 exec_lo, exec_lo, s0
	v_add_co_u32 v8, vcc_lo, v10, s2
	s_add_u32 s2, s2, s16
	v_add_co_ci_u32_e32 v9, vcc_lo, s3, v11, vcc_lo
	v_add_nc_u32_e32 v2, s2, v1
	v_add_co_u32 v4, s0, v4, s8
	s_delay_alu instid0(VALU_DEP_1) | instskip(NEXT) | instid1(VALU_DEP_3)
	v_add_co_ci_u32_e64 v5, s0, 0, v5, s0
	v_cmp_le_i32_e32 vcc_lo, s4, v2
	s_addc_u32 s3, s3, 0
	global_store_b8 v[8:9], v7, off
	s_or_b32 s9, vcc_lo, s9
	s_delay_alu instid0(SALU_CYCLE_1)
	s_and_not1_b32 exec_lo, exec_lo, s9
	s_cbranch_execz .LBB10_603
.LBB10_585:                             ; =>This Inner Loop Header: Depth=1
	global_load_b32 v2, v[4:5], off
	s_mov_b32 s0, exec_lo
	v_mov_b32_e32 v14, v3
	s_waitcnt vmcnt(0)
	v_div_scale_f32 v6, null, s1, s1, v2
	s_delay_alu instid0(VALU_DEP_1) | instskip(SKIP_2) | instid1(VALU_DEP_1)
	v_rcp_f32_e32 v7, v6
	s_waitcnt_depctr 0xfff
	v_fma_f32 v8, -v6, v7, 1.0
	v_fmac_f32_e32 v7, v8, v7
	v_div_scale_f32 v8, vcc_lo, v2, s1, v2
	s_delay_alu instid0(VALU_DEP_1) | instskip(NEXT) | instid1(VALU_DEP_1)
	v_mul_f32_e32 v9, v8, v7
	v_fma_f32 v12, -v6, v9, v8
	s_delay_alu instid0(VALU_DEP_1) | instskip(NEXT) | instid1(VALU_DEP_1)
	v_fmac_f32_e32 v9, v12, v7
	v_fma_f32 v6, -v6, v9, v8
	s_delay_alu instid0(VALU_DEP_1) | instskip(NEXT) | instid1(VALU_DEP_1)
	v_div_fmas_f32 v6, v6, v7, v9
	v_div_fixup_f32 v6, v6, s1, v2
	s_delay_alu instid0(VALU_DEP_1) | instskip(SKIP_2) | instid1(VALU_DEP_2)
	v_and_b32_e32 v2, 0x7fffff, v6
	v_lshrrev_b32_e32 v8, 24, v6
	v_and_b32_e32 v13, 0x7f800000, v6
	v_and_b32_e32 v12, 0x80, v8
	s_delay_alu instid0(VALU_DEP_1) | instskip(NEXT) | instid1(VALU_DEP_3)
	v_or_b32_e32 v7, 0x7e, v12
	v_cmpx_ne_u64_e32 0x7f800000, v[13:14]
	s_xor_b32 s18, exec_lo, s0
	s_cbranch_execz .LBB10_601
; %bb.586:                              ;   in Loop: Header=BB10_585 Depth=1
	v_dual_mov_b32 v9, v3 :: v_dual_and_b32 v8, 0x7fffffff, v6
	s_mov_b32 s0, exec_lo
	s_delay_alu instid0(VALU_DEP_1)
	v_cmpx_gt_u64_e32 0x43e00001, v[8:9]
	s_xor_b32 s19, exec_lo, s0
	s_cbranch_execz .LBB10_600
; %bb.587:                              ;   in Loop: Header=BB10_585 Depth=1
	v_mov_b32_e32 v7, 0
	s_mov_b32 s20, exec_lo
	v_cmpx_ne_u32_e32 0, v6
	s_cbranch_execz .LBB10_599
; %bb.588:                              ;   in Loop: Header=BB10_585 Depth=1
	v_bfe_u32 v13, v6, 23, 8
	v_or_b32_e32 v8, 0x800000, v2
	s_delay_alu instid0(VALU_DEP_2) | instskip(SKIP_1) | instid1(VALU_DEP_2)
	v_sub_nc_u32_e32 v6, 0x79, v13
	v_cmp_gt_u32_e32 vcc_lo, 0x7a, v13
	v_cndmask_b32_e32 v6, 0, v6, vcc_lo
	v_cmp_eq_u32_e32 vcc_lo, 0, v13
	s_delay_alu instid0(VALU_DEP_2) | instskip(SKIP_1) | instid1(VALU_DEP_2)
	v_cndmask_b32_e64 v14, v6, 0x78, vcc_lo
	v_cndmask_b32_e32 v2, v8, v2, vcc_lo
	v_add_nc_u32_e32 v6, 20, v14
	v_add_nc_u32_e32 v8, 19, v14
	s_delay_alu instid0(VALU_DEP_2) | instskip(NEXT) | instid1(VALU_DEP_2)
	v_lshlrev_b64 v[6:7], v6, -1
	v_lshlrev_b64 v[8:9], v8, 1
	s_delay_alu instid0(VALU_DEP_2) | instskip(NEXT) | instid1(VALU_DEP_3)
	v_not_b32_e32 v7, v7
	v_not_b32_e32 v6, v6
	s_delay_alu instid0(VALU_DEP_2) | instskip(NEXT) | instid1(VALU_DEP_2)
	v_and_b32_e32 v16, 0, v7
	v_and_b32_e32 v15, v2, v6
	v_lshrrev_b64 v[6:7], v14, v[2:3]
	s_delay_alu instid0(VALU_DEP_2) | instskip(NEXT) | instid1(VALU_DEP_2)
	v_cmp_eq_u64_e64 s0, v[15:16], v[8:9]
	v_dual_mov_b32 v9, v7 :: v_dual_mov_b32 v8, v6
	s_delay_alu instid0(VALU_DEP_2)
	s_and_saveexec_b32 s21, s0
; %bb.589:                              ;   in Loop: Header=BB10_585 Depth=1
	v_bfe_u32 v2, v6, 20, 1
	s_delay_alu instid0(VALU_DEP_1) | instskip(NEXT) | instid1(VALU_DEP_1)
	v_add_co_u32 v2, s0, v6, v2
	v_add_co_u32 v8, s0, v2, -1
; %bb.590:                              ;   in Loop: Header=BB10_585 Depth=1
	s_or_b32 exec_lo, exec_lo, s21
	v_add_nc_u32_e32 v2, 0xffffff81, v13
	v_lshrrev_b32_e32 v9, 23, v6
	s_mov_b32 s0, exec_lo
	s_delay_alu instid0(VALU_DEP_2) | instskip(NEXT) | instid1(VALU_DEP_1)
	v_cndmask_b32_e64 v2, v2, 0xffffff82, vcc_lo
	v_add3_u32 v9, v14, v2, v9
	v_and_b32_e32 v2, 0xfffff, v8
	s_delay_alu instid0(VALU_DEP_2) | instskip(NEXT) | instid1(VALU_DEP_2)
	v_add_nc_u32_e32 v8, 6, v9
	v_add_co_u32 v6, vcc_lo, v2, v6
	v_add_co_ci_u32_e32 v7, vcc_lo, 0, v7, vcc_lo
                                        ; implicit-def: $vgpr2
	s_delay_alu instid0(VALU_DEP_3)
	v_cmpx_ne_u32_e32 0, v8
	s_xor_b32 s0, exec_lo, s0
; %bb.591:                              ;   in Loop: Header=BB10_585 Depth=1
	s_delay_alu instid0(VALU_DEP_2) | instskip(SKIP_1) | instid1(VALU_DEP_1)
	v_cmp_lt_u64_e32 vcc_lo, 0xffffff, v[6:7]
	v_add_nc_u32_e32 v2, 7, v9
	v_cndmask_b32_e32 v2, v8, v2, vcc_lo
	v_cndmask_b32_e64 v8, 0, 1, vcc_lo
	s_delay_alu instid0(VALU_DEP_1)
	v_lshrrev_b64 v[6:7], v8, v[6:7]
; %bb.592:                              ;   in Loop: Header=BB10_585 Depth=1
	s_and_not1_saveexec_b32 s0, s0
; %bb.593:                              ;   in Loop: Header=BB10_585 Depth=1
	s_delay_alu instid0(VALU_DEP_1)
	v_bfe_u32 v2, v6, 23, 1
; %bb.594:                              ;   in Loop: Header=BB10_585 Depth=1
	s_or_b32 exec_lo, exec_lo, s0
	s_delay_alu instid0(VALU_DEP_2) | instskip(NEXT) | instid1(VALU_DEP_2)
	v_lshrrev_b64 v[6:7], 20, v[6:7]
	v_cmp_gt_i32_e32 vcc_lo, 16, v2
	v_cmp_ne_u32_e64 s0, 0, v2
	s_delay_alu instid0(VALU_DEP_3) | instskip(NEXT) | instid1(VALU_DEP_1)
	v_dual_cndmask_b32 v7, 0, v7 :: v_dual_cndmask_b32 v6, 7, v6
	v_cmp_ne_u64_e32 vcc_lo, 0, v[6:7]
                                        ; implicit-def: $vgpr7
	s_delay_alu instid0(VALU_DEP_3) | instskip(NEXT) | instid1(SALU_CYCLE_1)
	s_or_b32 s0, s0, vcc_lo
	s_and_saveexec_b32 s21, s0
	s_delay_alu instid0(SALU_CYCLE_1)
	s_xor_b32 s0, exec_lo, s21
; %bb.595:                              ;   in Loop: Header=BB10_585 Depth=1
	v_min_i32_e32 v2, 15, v2
	s_delay_alu instid0(VALU_DEP_1) | instskip(NEXT) | instid1(VALU_DEP_1)
	v_lshl_or_b32 v2, v2, 3, v12
                                        ; implicit-def: $vgpr12
	v_and_or_b32 v7, v6, 7, v2
; %bb.596:                              ;   in Loop: Header=BB10_585 Depth=1
	s_and_not1_saveexec_b32 s0, s0
; %bb.597:                              ;   in Loop: Header=BB10_585 Depth=1
	v_mov_b32_e32 v7, v12
; %bb.598:                              ;   in Loop: Header=BB10_585 Depth=1
	s_or_b32 exec_lo, exec_lo, s0
.LBB10_599:                             ;   in Loop: Header=BB10_585 Depth=1
	s_delay_alu instid0(SALU_CYCLE_1)
	s_or_b32 exec_lo, exec_lo, s20
.LBB10_600:                             ;   in Loop: Header=BB10_585 Depth=1
	s_and_not1_saveexec_b32 s0, s19
	s_delay_alu instid0(SALU_CYCLE_1)
	s_or_b32 exec_lo, exec_lo, s0
                                        ; implicit-def: $vgpr8
.LBB10_601:                             ;   in Loop: Header=BB10_585 Depth=1
	s_and_not1_saveexec_b32 s0, s18
	s_cbranch_execz .LBB10_584
; %bb.602:                              ;   in Loop: Header=BB10_585 Depth=1
	v_cmp_eq_u64_e32 vcc_lo, 0, v[2:3]
	v_or_b32_e32 v6, 0x7f, v8
	s_delay_alu instid0(VALU_DEP_1)
	v_cndmask_b32_e32 v7, v6, v7, vcc_lo
	s_branch .LBB10_584
.LBB10_603:
	s_or_b32 exec_lo, exec_lo, s5
	s_mov_b32 s0, 0
.LBB10_604:
	s_delay_alu instid0(SALU_CYCLE_1)
	s_and_b32 vcc_lo, exec_lo, s0
	s_cbranch_vccz .LBB10_664
; %bb.605:
	s_ashr_i32 s2, s17, 2
	s_mov_b32 s0, exec_lo
	v_cmpx_gt_i32_e64 s2, v0
	s_cbranch_execz .LBB10_664
; %bb.606:
	s_add_u32 s0, s22, s14
	s_addc_u32 s3, s15, s23
	v_lshlrev_b32_e32 v2, 4, v0
	s_add_u32 s0, s10, s0
	s_addc_u32 s4, s11, s3
	s_lshl_b32 s3, s16, 2
	s_add_u32 s5, s6, s12
	v_dual_mov_b32 v10, 0 :: v_dual_lshlrev_b32 v1, 2, v0
	s_addc_u32 s6, s7, s13
	v_add_co_u32 v2, s5, s5, v2
	s_delay_alu instid0(VALU_DEP_1) | instskip(NEXT) | instid1(VALU_DEP_3)
	v_add_co_ci_u32_e64 v3, null, s6, 0, s5
	v_add_co_u32 v5, s0, s0, v1
	s_delay_alu instid0(VALU_DEP_3) | instskip(SKIP_1) | instid1(VALU_DEP_4)
	v_add_co_u32 v7, vcc_lo, v2, 8
	v_add_co_ci_u32_e64 v6, null, s4, 0, s0
	v_add_co_ci_u32_e32 v8, vcc_lo, 0, v3, vcc_lo
	s_mov_b32 s4, 0
	s_lshl_b32 s5, s16, 4
	s_branch .LBB10_608
.LBB10_607:                             ;   in Loop: Header=BB10_608 Depth=1
	s_or_b32 exec_lo, exec_lo, s0
	v_lshlrev_b32_e32 v2, 16, v11
	v_lshlrev_b32_e32 v3, 8, v14
	v_and_b32_e32 v4, 0xff, v13
	v_add_nc_u32_e32 v0, s16, v0
	s_delay_alu instid0(VALU_DEP_4) | instskip(NEXT) | instid1(VALU_DEP_4)
	v_perm_b32 v1, v1, v2, 0x4020c0c
	v_and_b32_e32 v2, 0xff00, v3
	s_delay_alu instid0(VALU_DEP_3) | instskip(NEXT) | instid1(VALU_DEP_2)
	v_cmp_le_i32_e32 vcc_lo, s2, v0
	v_or3_b32 v1, v1, v2, v4
	s_or_b32 s4, vcc_lo, s4
	global_store_b32 v[5:6], v1, off
	v_add_co_u32 v5, s0, v5, s3
	s_delay_alu instid0(VALU_DEP_1) | instskip(SKIP_1) | instid1(VALU_DEP_1)
	v_add_co_ci_u32_e64 v6, s0, 0, v6, s0
	v_add_co_u32 v7, s0, v7, s5
	v_add_co_ci_u32_e64 v8, s0, 0, v8, s0
	s_and_not1_b32 exec_lo, exec_lo, s4
	s_cbranch_execz .LBB10_664
.LBB10_608:                             ; =>This Inner Loop Header: Depth=1
	global_load_b128 v[1:4], v[7:8], off offset:-8
	s_waitcnt vmcnt(0)
	v_div_scale_f32 v9, null, s1, s1, v1
	s_delay_alu instid0(VALU_DEP_1) | instskip(SKIP_2) | instid1(VALU_DEP_1)
	v_rcp_f32_e32 v11, v9
	s_waitcnt_depctr 0xfff
	v_fma_f32 v12, -v9, v11, 1.0
	v_fmac_f32_e32 v11, v12, v11
	v_div_scale_f32 v12, vcc_lo, v1, s1, v1
	s_delay_alu instid0(VALU_DEP_1) | instskip(NEXT) | instid1(VALU_DEP_1)
	v_mul_f32_e32 v13, v12, v11
	v_fma_f32 v14, -v9, v13, v12
	s_delay_alu instid0(VALU_DEP_1) | instskip(SKIP_1) | instid1(VALU_DEP_2)
	v_fmac_f32_e32 v13, v14, v11
	v_mov_b32_e32 v14, v10
	v_fma_f32 v9, -v9, v13, v12
	s_delay_alu instid0(VALU_DEP_1) | instskip(NEXT) | instid1(VALU_DEP_1)
	v_div_fmas_f32 v9, v9, v11, v13
	v_div_fixup_f32 v11, v9, s1, v1
	s_delay_alu instid0(VALU_DEP_1) | instskip(SKIP_2) | instid1(VALU_DEP_3)
	v_lshrrev_b32_e32 v12, 24, v11
	v_and_b32_e32 v13, 0x7f800000, v11
	v_and_b32_e32 v9, 0x7fffff, v11
	v_and_b32_e32 v1, 0x80, v12
	s_delay_alu instid0(VALU_DEP_3) | instskip(NEXT) | instid1(VALU_DEP_2)
	v_cmp_ne_u64_e32 vcc_lo, 0x7f800000, v[13:14]
	v_or_b32_e32 v13, 0x7e, v1
	s_and_saveexec_b32 s0, vcc_lo
	s_delay_alu instid0(SALU_CYCLE_1)
	s_xor_b32 s6, exec_lo, s0
	s_cbranch_execz .LBB10_620
; %bb.609:                              ;   in Loop: Header=BB10_608 Depth=1
	v_dual_mov_b32 v15, v10 :: v_dual_and_b32 v14, 0x7fffffff, v11
	s_mov_b32 s7, exec_lo
	s_delay_alu instid0(VALU_DEP_1)
	v_cmpx_gt_u64_e32 0x43e00001, v[14:15]
	s_cbranch_execz .LBB10_619
; %bb.610:                              ;   in Loop: Header=BB10_608 Depth=1
	v_mov_b32_e32 v13, 0
	s_mov_b32 s8, exec_lo
	v_cmpx_ne_u32_e32 0, v11
	s_cbranch_execz .LBB10_618
; %bb.611:                              ;   in Loop: Header=BB10_608 Depth=1
	v_bfe_u32 v15, v11, 23, 8
	v_or_b32_e32 v13, 0x800000, v9
	s_delay_alu instid0(VALU_DEP_2) | instskip(SKIP_1) | instid1(VALU_DEP_2)
	v_sub_nc_u32_e32 v11, 0x79, v15
	v_cmp_gt_u32_e32 vcc_lo, 0x7a, v15
	v_cndmask_b32_e32 v11, 0, v11, vcc_lo
	v_cmp_eq_u32_e32 vcc_lo, 0, v15
	s_delay_alu instid0(VALU_DEP_2) | instskip(SKIP_1) | instid1(VALU_DEP_2)
	v_cndmask_b32_e64 v16, v11, 0x78, vcc_lo
	v_cndmask_b32_e32 v9, v13, v9, vcc_lo
	v_add_nc_u32_e32 v11, 20, v16
	v_add_nc_u32_e32 v13, 19, v16
	s_delay_alu instid0(VALU_DEP_2) | instskip(NEXT) | instid1(VALU_DEP_2)
	v_lshlrev_b64 v[11:12], v11, -1
	v_lshlrev_b64 v[13:14], v13, 1
	s_delay_alu instid0(VALU_DEP_2) | instskip(NEXT) | instid1(VALU_DEP_3)
	v_not_b32_e32 v12, v12
	v_not_b32_e32 v11, v11
	s_delay_alu instid0(VALU_DEP_2) | instskip(NEXT) | instid1(VALU_DEP_2)
	v_and_b32_e32 v18, 0, v12
	v_and_b32_e32 v17, v9, v11
	v_lshrrev_b64 v[11:12], v16, v[9:10]
	s_delay_alu instid0(VALU_DEP_2) | instskip(NEXT) | instid1(VALU_DEP_2)
	v_cmp_eq_u64_e64 s0, v[17:18], v[13:14]
	v_dual_mov_b32 v14, v12 :: v_dual_mov_b32 v13, v11
	s_delay_alu instid0(VALU_DEP_2)
	s_and_saveexec_b32 s9, s0
; %bb.612:                              ;   in Loop: Header=BB10_608 Depth=1
	v_bfe_u32 v9, v11, 20, 1
	s_delay_alu instid0(VALU_DEP_1) | instskip(NEXT) | instid1(VALU_DEP_1)
	v_add_co_u32 v9, s0, v11, v9
	v_add_co_u32 v13, s0, v9, -1
; %bb.613:                              ;   in Loop: Header=BB10_608 Depth=1
	s_or_b32 exec_lo, exec_lo, s9
	v_add_nc_u32_e32 v9, 0xffffff81, v15
	v_lshrrev_b32_e32 v14, 23, v11
	s_mov_b32 s0, exec_lo
	s_delay_alu instid0(VALU_DEP_2) | instskip(NEXT) | instid1(VALU_DEP_1)
	v_cndmask_b32_e64 v9, v9, 0xffffff82, vcc_lo
	v_add3_u32 v14, v16, v9, v14
	v_and_b32_e32 v9, 0xfffff, v13
	s_delay_alu instid0(VALU_DEP_2) | instskip(NEXT) | instid1(VALU_DEP_2)
	v_add_nc_u32_e32 v13, 6, v14
	v_add_co_u32 v11, vcc_lo, v9, v11
	v_add_co_ci_u32_e32 v12, vcc_lo, 0, v12, vcc_lo
                                        ; implicit-def: $vgpr9
	s_delay_alu instid0(VALU_DEP_3)
	v_cmpx_ne_u32_e32 0, v13
	s_xor_b32 s0, exec_lo, s0
; %bb.614:                              ;   in Loop: Header=BB10_608 Depth=1
	s_delay_alu instid0(VALU_DEP_2) | instskip(SKIP_1) | instid1(VALU_DEP_1)
	v_cmp_lt_u64_e32 vcc_lo, 0xffffff, v[11:12]
	v_add_nc_u32_e32 v9, 7, v14
	v_cndmask_b32_e32 v9, v13, v9, vcc_lo
	v_cndmask_b32_e64 v13, 0, 1, vcc_lo
	s_delay_alu instid0(VALU_DEP_1)
	v_lshrrev_b64 v[11:12], v13, v[11:12]
; %bb.615:                              ;   in Loop: Header=BB10_608 Depth=1
	s_and_not1_saveexec_b32 s0, s0
; %bb.616:                              ;   in Loop: Header=BB10_608 Depth=1
	s_delay_alu instid0(VALU_DEP_1)
	v_bfe_u32 v9, v11, 23, 1
; %bb.617:                              ;   in Loop: Header=BB10_608 Depth=1
	s_or_b32 exec_lo, exec_lo, s0
	s_delay_alu instid0(VALU_DEP_2) | instskip(NEXT) | instid1(VALU_DEP_2)
	v_lshrrev_b64 v[11:12], 20, v[11:12]
	v_cmp_gt_i32_e32 vcc_lo, 16, v9
	v_min_i32_e32 v13, 15, v9
	v_cmp_eq_u32_e64 s0, 0, v9
	s_delay_alu instid0(VALU_DEP_4) | instskip(NEXT) | instid1(VALU_DEP_3)
	v_dual_cndmask_b32 v12, 0, v12 :: v_dual_cndmask_b32 v11, 7, v11
	v_lshlrev_b32_e32 v13, 3, v13
	s_delay_alu instid0(VALU_DEP_2) | instskip(NEXT) | instid1(VALU_DEP_2)
	v_cmp_eq_u64_e32 vcc_lo, 0, v[11:12]
	v_and_or_b32 v9, v11, 7, v13
	s_and_b32 s0, s0, vcc_lo
	s_delay_alu instid0(VALU_DEP_1) | instid1(SALU_CYCLE_1)
	v_cndmask_b32_e64 v9, v9, 0, s0
	s_delay_alu instid0(VALU_DEP_1)
	v_or_b32_e32 v13, v9, v1
.LBB10_618:                             ;   in Loop: Header=BB10_608 Depth=1
	s_or_b32 exec_lo, exec_lo, s8
.LBB10_619:                             ;   in Loop: Header=BB10_608 Depth=1
	s_delay_alu instid0(SALU_CYCLE_1)
	s_or_b32 exec_lo, exec_lo, s7
                                        ; implicit-def: $vgpr12
.LBB10_620:                             ;   in Loop: Header=BB10_608 Depth=1
	s_and_not1_saveexec_b32 s0, s6
; %bb.621:                              ;   in Loop: Header=BB10_608 Depth=1
	v_cmp_eq_u64_e32 vcc_lo, 0, v[9:10]
	v_or_b32_e32 v1, 0x7f, v12
	s_delay_alu instid0(VALU_DEP_1)
	v_cndmask_b32_e32 v13, v1, v13, vcc_lo
; %bb.622:                              ;   in Loop: Header=BB10_608 Depth=1
	s_or_b32 exec_lo, exec_lo, s0
	v_div_scale_f32 v1, null, s1, s1, v2
	s_mov_b32 s0, exec_lo
	s_delay_alu instid0(VALU_DEP_1) | instskip(SKIP_2) | instid1(VALU_DEP_1)
	v_rcp_f32_e32 v9, v1
	s_waitcnt_depctr 0xfff
	v_fma_f32 v11, -v1, v9, 1.0
	v_fmac_f32_e32 v9, v11, v9
	v_div_scale_f32 v11, vcc_lo, v2, s1, v2
	s_delay_alu instid0(VALU_DEP_1) | instskip(NEXT) | instid1(VALU_DEP_1)
	v_mul_f32_e32 v12, v11, v9
	v_fma_f32 v14, -v1, v12, v11
	s_delay_alu instid0(VALU_DEP_1) | instskip(NEXT) | instid1(VALU_DEP_1)
	v_fmac_f32_e32 v12, v14, v9
	v_fma_f32 v1, -v1, v12, v11
	s_delay_alu instid0(VALU_DEP_1) | instskip(SKIP_1) | instid1(VALU_DEP_2)
	v_div_fmas_f32 v1, v1, v9, v12
	v_mov_b32_e32 v12, v10
	v_div_fixup_f32 v1, v1, s1, v2
	s_delay_alu instid0(VALU_DEP_1) | instskip(SKIP_2) | instid1(VALU_DEP_3)
	v_lshrrev_b32_e32 v2, 24, v1
	v_and_b32_e32 v11, 0x7f800000, v1
	v_and_b32_e32 v9, 0x7fffff, v1
	;; [unrolled: 1-line block ×3, first 2 shown]
	s_delay_alu instid0(VALU_DEP_1) | instskip(NEXT) | instid1(VALU_DEP_4)
	v_or_b32_e32 v14, 0x7e, v15
	v_cmpx_ne_u64_e32 0x7f800000, v[11:12]
	s_xor_b32 s6, exec_lo, s0
	s_cbranch_execz .LBB10_634
; %bb.623:                              ;   in Loop: Header=BB10_608 Depth=1
	v_dual_mov_b32 v12, v10 :: v_dual_and_b32 v11, 0x7fffffff, v1
	s_mov_b32 s7, exec_lo
	s_delay_alu instid0(VALU_DEP_1)
	v_cmpx_gt_u64_e32 0x43e00001, v[11:12]
	s_cbranch_execz .LBB10_633
; %bb.624:                              ;   in Loop: Header=BB10_608 Depth=1
	v_mov_b32_e32 v14, 0
	s_mov_b32 s8, exec_lo
	v_cmpx_ne_u32_e32 0, v1
	s_cbranch_execz .LBB10_632
; %bb.625:                              ;   in Loop: Header=BB10_608 Depth=1
	v_bfe_u32 v14, v1, 23, 8
	v_or_b32_e32 v11, 0x800000, v9
	s_delay_alu instid0(VALU_DEP_2) | instskip(SKIP_1) | instid1(VALU_DEP_2)
	v_sub_nc_u32_e32 v1, 0x79, v14
	v_cmp_gt_u32_e32 vcc_lo, 0x7a, v14
	v_cndmask_b32_e32 v1, 0, v1, vcc_lo
	v_cmp_eq_u32_e32 vcc_lo, 0, v14
	s_delay_alu instid0(VALU_DEP_2) | instskip(SKIP_1) | instid1(VALU_DEP_2)
	v_cndmask_b32_e64 v16, v1, 0x78, vcc_lo
	v_cndmask_b32_e32 v9, v11, v9, vcc_lo
	v_add_nc_u32_e32 v1, 20, v16
	v_add_nc_u32_e32 v11, 19, v16
	s_delay_alu instid0(VALU_DEP_2) | instskip(NEXT) | instid1(VALU_DEP_2)
	v_lshlrev_b64 v[1:2], v1, -1
	v_lshlrev_b64 v[11:12], v11, 1
	s_delay_alu instid0(VALU_DEP_2) | instskip(NEXT) | instid1(VALU_DEP_3)
	v_not_b32_e32 v2, v2
	v_not_b32_e32 v1, v1
	s_delay_alu instid0(VALU_DEP_2) | instskip(NEXT) | instid1(VALU_DEP_2)
	v_and_b32_e32 v18, 0, v2
	v_and_b32_e32 v17, v9, v1
	v_lshrrev_b64 v[1:2], v16, v[9:10]
	s_delay_alu instid0(VALU_DEP_2) | instskip(NEXT) | instid1(VALU_DEP_2)
	v_cmp_eq_u64_e64 s0, v[17:18], v[11:12]
	v_dual_mov_b32 v12, v2 :: v_dual_mov_b32 v11, v1
	s_delay_alu instid0(VALU_DEP_2)
	s_and_saveexec_b32 s9, s0
; %bb.626:                              ;   in Loop: Header=BB10_608 Depth=1
	v_bfe_u32 v9, v1, 20, 1
	s_delay_alu instid0(VALU_DEP_1) | instskip(NEXT) | instid1(VALU_DEP_1)
	v_add_co_u32 v9, s0, v1, v9
	v_add_co_u32 v11, s0, v9, -1
; %bb.627:                              ;   in Loop: Header=BB10_608 Depth=1
	s_or_b32 exec_lo, exec_lo, s9
	v_add_nc_u32_e32 v9, 0xffffff81, v14
	v_lshrrev_b32_e32 v12, 23, v1
	s_mov_b32 s0, exec_lo
	s_delay_alu instid0(VALU_DEP_2) | instskip(NEXT) | instid1(VALU_DEP_1)
	v_cndmask_b32_e64 v9, v9, 0xffffff82, vcc_lo
	v_add3_u32 v12, v16, v9, v12
	v_and_b32_e32 v9, 0xfffff, v11
	s_delay_alu instid0(VALU_DEP_2) | instskip(NEXT) | instid1(VALU_DEP_2)
	v_add_nc_u32_e32 v11, 6, v12
	v_add_co_u32 v1, vcc_lo, v9, v1
	v_add_co_ci_u32_e32 v2, vcc_lo, 0, v2, vcc_lo
                                        ; implicit-def: $vgpr9
	s_delay_alu instid0(VALU_DEP_3)
	v_cmpx_ne_u32_e32 0, v11
	s_xor_b32 s0, exec_lo, s0
; %bb.628:                              ;   in Loop: Header=BB10_608 Depth=1
	s_delay_alu instid0(VALU_DEP_2) | instskip(SKIP_1) | instid1(VALU_DEP_1)
	v_cmp_lt_u64_e32 vcc_lo, 0xffffff, v[1:2]
	v_add_nc_u32_e32 v9, 7, v12
	v_cndmask_b32_e32 v9, v11, v9, vcc_lo
	v_cndmask_b32_e64 v11, 0, 1, vcc_lo
	s_delay_alu instid0(VALU_DEP_1)
	v_lshrrev_b64 v[1:2], v11, v[1:2]
; %bb.629:                              ;   in Loop: Header=BB10_608 Depth=1
	s_and_not1_saveexec_b32 s0, s0
; %bb.630:                              ;   in Loop: Header=BB10_608 Depth=1
	s_delay_alu instid0(VALU_DEP_1)
	v_bfe_u32 v9, v1, 23, 1
; %bb.631:                              ;   in Loop: Header=BB10_608 Depth=1
	s_or_b32 exec_lo, exec_lo, s0
	s_delay_alu instid0(VALU_DEP_2) | instskip(NEXT) | instid1(VALU_DEP_2)
	v_lshrrev_b64 v[1:2], 20, v[1:2]
	v_cmp_gt_i32_e32 vcc_lo, 16, v9
	v_min_i32_e32 v11, 15, v9
	v_cmp_eq_u32_e64 s0, 0, v9
	s_delay_alu instid0(VALU_DEP_4) | instskip(NEXT) | instid1(VALU_DEP_3)
	v_dual_cndmask_b32 v2, 0, v2 :: v_dual_cndmask_b32 v1, 7, v1
	v_lshlrev_b32_e32 v11, 3, v11
	s_delay_alu instid0(VALU_DEP_2) | instskip(NEXT) | instid1(VALU_DEP_2)
	v_cmp_eq_u64_e32 vcc_lo, 0, v[1:2]
	v_and_or_b32 v1, v1, 7, v11
	s_and_b32 s0, s0, vcc_lo
	s_delay_alu instid0(VALU_DEP_1) | instid1(SALU_CYCLE_1)
	v_cndmask_b32_e64 v1, v1, 0, s0
	s_delay_alu instid0(VALU_DEP_1)
	v_or_b32_e32 v14, v1, v15
.LBB10_632:                             ;   in Loop: Header=BB10_608 Depth=1
	s_or_b32 exec_lo, exec_lo, s8
.LBB10_633:                             ;   in Loop: Header=BB10_608 Depth=1
	s_delay_alu instid0(SALU_CYCLE_1)
	s_or_b32 exec_lo, exec_lo, s7
                                        ; implicit-def: $vgpr2
.LBB10_634:                             ;   in Loop: Header=BB10_608 Depth=1
	s_and_not1_saveexec_b32 s0, s6
; %bb.635:                              ;   in Loop: Header=BB10_608 Depth=1
	v_cmp_eq_u64_e32 vcc_lo, 0, v[9:10]
	v_or_b32_e32 v1, 0x7f, v2
	s_delay_alu instid0(VALU_DEP_1)
	v_cndmask_b32_e32 v14, v1, v14, vcc_lo
; %bb.636:                              ;   in Loop: Header=BB10_608 Depth=1
	s_or_b32 exec_lo, exec_lo, s0
	v_div_scale_f32 v1, null, s1, s1, v3
	s_delay_alu instid0(VALU_DEP_1) | instskip(SKIP_2) | instid1(VALU_DEP_1)
	v_rcp_f32_e32 v2, v1
	s_waitcnt_depctr 0xfff
	v_fma_f32 v9, -v1, v2, 1.0
	v_fmac_f32_e32 v2, v9, v2
	v_div_scale_f32 v9, vcc_lo, v3, s1, v3
	s_delay_alu instid0(VALU_DEP_1) | instskip(NEXT) | instid1(VALU_DEP_1)
	v_mul_f32_e32 v11, v9, v2
	v_fma_f32 v12, -v1, v11, v9
	s_delay_alu instid0(VALU_DEP_1) | instskip(NEXT) | instid1(VALU_DEP_1)
	v_dual_fmac_f32 v11, v12, v2 :: v_dual_mov_b32 v12, v10
	v_fma_f32 v1, -v1, v11, v9
	s_delay_alu instid0(VALU_DEP_1) | instskip(NEXT) | instid1(VALU_DEP_1)
	v_div_fmas_f32 v1, v1, v2, v11
	v_div_fixup_f32 v1, v1, s1, v3
	s_delay_alu instid0(VALU_DEP_1) | instskip(SKIP_2) | instid1(VALU_DEP_3)
	v_lshrrev_b32_e32 v2, 24, v1
	v_and_b32_e32 v11, 0x7f800000, v1
	v_and_b32_e32 v9, 0x7fffff, v1
	v_and_b32_e32 v3, 0x80, v2
	s_delay_alu instid0(VALU_DEP_3) | instskip(NEXT) | instid1(VALU_DEP_2)
	v_cmp_ne_u64_e32 vcc_lo, 0x7f800000, v[11:12]
	v_or_b32_e32 v11, 0x7e, v3
	s_and_saveexec_b32 s0, vcc_lo
	s_delay_alu instid0(SALU_CYCLE_1)
	s_xor_b32 s6, exec_lo, s0
	s_cbranch_execz .LBB10_648
; %bb.637:                              ;   in Loop: Header=BB10_608 Depth=1
	v_dual_mov_b32 v16, v10 :: v_dual_and_b32 v15, 0x7fffffff, v1
	s_mov_b32 s7, exec_lo
	s_delay_alu instid0(VALU_DEP_1)
	v_cmpx_gt_u64_e32 0x43e00001, v[15:16]
	s_cbranch_execz .LBB10_647
; %bb.638:                              ;   in Loop: Header=BB10_608 Depth=1
	v_mov_b32_e32 v11, 0
	s_mov_b32 s8, exec_lo
	v_cmpx_ne_u32_e32 0, v1
	s_cbranch_execz .LBB10_646
; %bb.639:                              ;   in Loop: Header=BB10_608 Depth=1
	v_bfe_u32 v15, v1, 23, 8
	v_or_b32_e32 v11, 0x800000, v9
	s_delay_alu instid0(VALU_DEP_2) | instskip(SKIP_1) | instid1(VALU_DEP_2)
	v_sub_nc_u32_e32 v1, 0x79, v15
	v_cmp_gt_u32_e32 vcc_lo, 0x7a, v15
	v_cndmask_b32_e32 v1, 0, v1, vcc_lo
	v_cmp_eq_u32_e32 vcc_lo, 0, v15
	s_delay_alu instid0(VALU_DEP_2) | instskip(SKIP_1) | instid1(VALU_DEP_2)
	v_cndmask_b32_e64 v16, v1, 0x78, vcc_lo
	v_cndmask_b32_e32 v9, v11, v9, vcc_lo
	v_add_nc_u32_e32 v1, 20, v16
	v_add_nc_u32_e32 v11, 19, v16
	s_delay_alu instid0(VALU_DEP_2) | instskip(NEXT) | instid1(VALU_DEP_2)
	v_lshlrev_b64 v[1:2], v1, -1
	v_lshlrev_b64 v[11:12], v11, 1
	s_delay_alu instid0(VALU_DEP_2) | instskip(NEXT) | instid1(VALU_DEP_3)
	v_not_b32_e32 v2, v2
	v_not_b32_e32 v1, v1
	s_delay_alu instid0(VALU_DEP_2) | instskip(NEXT) | instid1(VALU_DEP_2)
	v_and_b32_e32 v18, 0, v2
	v_and_b32_e32 v17, v9, v1
	v_lshrrev_b64 v[1:2], v16, v[9:10]
	s_delay_alu instid0(VALU_DEP_2) | instskip(NEXT) | instid1(VALU_DEP_2)
	v_cmp_eq_u64_e64 s0, v[17:18], v[11:12]
	v_dual_mov_b32 v12, v2 :: v_dual_mov_b32 v11, v1
	s_delay_alu instid0(VALU_DEP_2)
	s_and_saveexec_b32 s9, s0
; %bb.640:                              ;   in Loop: Header=BB10_608 Depth=1
	v_bfe_u32 v9, v1, 20, 1
	s_delay_alu instid0(VALU_DEP_1) | instskip(NEXT) | instid1(VALU_DEP_1)
	v_add_co_u32 v9, s0, v1, v9
	v_add_co_u32 v11, s0, v9, -1
; %bb.641:                              ;   in Loop: Header=BB10_608 Depth=1
	s_or_b32 exec_lo, exec_lo, s9
	v_add_nc_u32_e32 v9, 0xffffff81, v15
	v_lshrrev_b32_e32 v12, 23, v1
	s_mov_b32 s0, exec_lo
	s_delay_alu instid0(VALU_DEP_2) | instskip(NEXT) | instid1(VALU_DEP_1)
	v_cndmask_b32_e64 v9, v9, 0xffffff82, vcc_lo
	v_add3_u32 v12, v16, v9, v12
	v_and_b32_e32 v9, 0xfffff, v11
	s_delay_alu instid0(VALU_DEP_2) | instskip(NEXT) | instid1(VALU_DEP_2)
	v_add_nc_u32_e32 v11, 6, v12
	v_add_co_u32 v1, vcc_lo, v9, v1
	v_add_co_ci_u32_e32 v2, vcc_lo, 0, v2, vcc_lo
                                        ; implicit-def: $vgpr9
	s_delay_alu instid0(VALU_DEP_3)
	v_cmpx_ne_u32_e32 0, v11
	s_xor_b32 s0, exec_lo, s0
; %bb.642:                              ;   in Loop: Header=BB10_608 Depth=1
	s_delay_alu instid0(VALU_DEP_2) | instskip(SKIP_1) | instid1(VALU_DEP_1)
	v_cmp_lt_u64_e32 vcc_lo, 0xffffff, v[1:2]
	v_add_nc_u32_e32 v9, 7, v12
	v_cndmask_b32_e32 v9, v11, v9, vcc_lo
	v_cndmask_b32_e64 v11, 0, 1, vcc_lo
	s_delay_alu instid0(VALU_DEP_1)
	v_lshrrev_b64 v[1:2], v11, v[1:2]
; %bb.643:                              ;   in Loop: Header=BB10_608 Depth=1
	s_and_not1_saveexec_b32 s0, s0
; %bb.644:                              ;   in Loop: Header=BB10_608 Depth=1
	s_delay_alu instid0(VALU_DEP_1)
	v_bfe_u32 v9, v1, 23, 1
; %bb.645:                              ;   in Loop: Header=BB10_608 Depth=1
	s_or_b32 exec_lo, exec_lo, s0
	s_delay_alu instid0(VALU_DEP_2) | instskip(NEXT) | instid1(VALU_DEP_2)
	v_lshrrev_b64 v[1:2], 20, v[1:2]
	v_cmp_gt_i32_e32 vcc_lo, 16, v9
	v_min_i32_e32 v11, 15, v9
	v_cmp_eq_u32_e64 s0, 0, v9
	s_delay_alu instid0(VALU_DEP_4) | instskip(NEXT) | instid1(VALU_DEP_3)
	v_dual_cndmask_b32 v2, 0, v2 :: v_dual_cndmask_b32 v1, 7, v1
	v_lshlrev_b32_e32 v11, 3, v11
	s_delay_alu instid0(VALU_DEP_2) | instskip(NEXT) | instid1(VALU_DEP_2)
	v_cmp_eq_u64_e32 vcc_lo, 0, v[1:2]
	v_and_or_b32 v1, v1, 7, v11
	s_and_b32 s0, s0, vcc_lo
	s_delay_alu instid0(VALU_DEP_1) | instid1(SALU_CYCLE_1)
	v_cndmask_b32_e64 v1, v1, 0, s0
	s_delay_alu instid0(VALU_DEP_1)
	v_or_b32_e32 v11, v1, v3
.LBB10_646:                             ;   in Loop: Header=BB10_608 Depth=1
	s_or_b32 exec_lo, exec_lo, s8
.LBB10_647:                             ;   in Loop: Header=BB10_608 Depth=1
	s_delay_alu instid0(SALU_CYCLE_1)
	s_or_b32 exec_lo, exec_lo, s7
                                        ; implicit-def: $vgpr2
.LBB10_648:                             ;   in Loop: Header=BB10_608 Depth=1
	s_and_not1_saveexec_b32 s0, s6
; %bb.649:                              ;   in Loop: Header=BB10_608 Depth=1
	v_cmp_eq_u64_e32 vcc_lo, 0, v[9:10]
	v_or_b32_e32 v1, 0x7f, v2
	s_delay_alu instid0(VALU_DEP_1)
	v_cndmask_b32_e32 v11, v1, v11, vcc_lo
; %bb.650:                              ;   in Loop: Header=BB10_608 Depth=1
	s_or_b32 exec_lo, exec_lo, s0
	v_div_scale_f32 v1, null, s1, s1, v4
	s_mov_b32 s0, exec_lo
	v_mov_b32_e32 v16, v10
	s_delay_alu instid0(VALU_DEP_2) | instskip(SKIP_2) | instid1(VALU_DEP_1)
	v_rcp_f32_e32 v2, v1
	s_waitcnt_depctr 0xfff
	v_fma_f32 v3, -v1, v2, 1.0
	v_fmac_f32_e32 v2, v3, v2
	v_div_scale_f32 v3, vcc_lo, v4, s1, v4
	s_delay_alu instid0(VALU_DEP_1) | instskip(NEXT) | instid1(VALU_DEP_1)
	v_mul_f32_e32 v9, v3, v2
	v_fma_f32 v12, -v1, v9, v3
	s_delay_alu instid0(VALU_DEP_1) | instskip(NEXT) | instid1(VALU_DEP_1)
	v_fmac_f32_e32 v9, v12, v2
	v_fma_f32 v1, -v1, v9, v3
	s_delay_alu instid0(VALU_DEP_1) | instskip(NEXT) | instid1(VALU_DEP_1)
	v_div_fmas_f32 v1, v1, v2, v9
	v_div_fixup_f32 v2, v1, s1, v4
	s_delay_alu instid0(VALU_DEP_1) | instskip(SKIP_2) | instid1(VALU_DEP_3)
	v_lshrrev_b32_e32 v3, 24, v2
	v_and_b32_e32 v15, 0x7f800000, v2
	v_and_b32_e32 v9, 0x7fffff, v2
	;; [unrolled: 1-line block ×3, first 2 shown]
	s_delay_alu instid0(VALU_DEP_1) | instskip(NEXT) | instid1(VALU_DEP_4)
	v_or_b32_e32 v1, 0x7e, v12
	v_cmpx_ne_u64_e32 0x7f800000, v[15:16]
	s_xor_b32 s6, exec_lo, s0
	s_cbranch_execz .LBB10_662
; %bb.651:                              ;   in Loop: Header=BB10_608 Depth=1
	v_dual_mov_b32 v4, v10 :: v_dual_and_b32 v3, 0x7fffffff, v2
	s_mov_b32 s7, exec_lo
	s_delay_alu instid0(VALU_DEP_1)
	v_cmpx_gt_u64_e32 0x43e00001, v[3:4]
	s_cbranch_execz .LBB10_661
; %bb.652:                              ;   in Loop: Header=BB10_608 Depth=1
	v_mov_b32_e32 v1, 0
	s_mov_b32 s8, exec_lo
	v_cmpx_ne_u32_e32 0, v2
	s_cbranch_execz .LBB10_660
; %bb.653:                              ;   in Loop: Header=BB10_608 Depth=1
	v_bfe_u32 v15, v2, 23, 8
	v_or_b32_e32 v3, 0x800000, v9
	s_delay_alu instid0(VALU_DEP_2) | instskip(SKIP_1) | instid1(VALU_DEP_2)
	v_sub_nc_u32_e32 v1, 0x79, v15
	v_cmp_gt_u32_e32 vcc_lo, 0x7a, v15
	v_cndmask_b32_e32 v1, 0, v1, vcc_lo
	v_cmp_eq_u32_e32 vcc_lo, 0, v15
	s_delay_alu instid0(VALU_DEP_2) | instskip(SKIP_1) | instid1(VALU_DEP_2)
	v_cndmask_b32_e64 v16, v1, 0x78, vcc_lo
	v_cndmask_b32_e32 v9, v3, v9, vcc_lo
	v_add_nc_u32_e32 v1, 20, v16
	v_add_nc_u32_e32 v3, 19, v16
	s_delay_alu instid0(VALU_DEP_2) | instskip(NEXT) | instid1(VALU_DEP_2)
	v_lshlrev_b64 v[1:2], v1, -1
	v_lshlrev_b64 v[3:4], v3, 1
	s_delay_alu instid0(VALU_DEP_2) | instskip(NEXT) | instid1(VALU_DEP_3)
	v_not_b32_e32 v2, v2
	v_not_b32_e32 v1, v1
	s_delay_alu instid0(VALU_DEP_2) | instskip(NEXT) | instid1(VALU_DEP_2)
	v_and_b32_e32 v18, 0, v2
	v_and_b32_e32 v17, v9, v1
	v_lshrrev_b64 v[1:2], v16, v[9:10]
	s_delay_alu instid0(VALU_DEP_2) | instskip(NEXT) | instid1(VALU_DEP_2)
	v_cmp_eq_u64_e64 s0, v[17:18], v[3:4]
	v_dual_mov_b32 v4, v2 :: v_dual_mov_b32 v3, v1
	s_delay_alu instid0(VALU_DEP_2)
	s_and_saveexec_b32 s9, s0
; %bb.654:                              ;   in Loop: Header=BB10_608 Depth=1
	v_bfe_u32 v3, v1, 20, 1
	s_delay_alu instid0(VALU_DEP_1) | instskip(NEXT) | instid1(VALU_DEP_1)
	v_add_co_u32 v3, s0, v1, v3
	v_add_co_u32 v3, s0, v3, -1
; %bb.655:                              ;   in Loop: Header=BB10_608 Depth=1
	s_or_b32 exec_lo, exec_lo, s9
	v_add_nc_u32_e32 v4, 0xffffff81, v15
	v_lshrrev_b32_e32 v9, 23, v1
	s_delay_alu instid0(VALU_DEP_3) | instskip(SKIP_1) | instid1(VALU_DEP_3)
	v_and_b32_e32 v3, 0xfffff, v3
	s_mov_b32 s0, exec_lo
	v_cndmask_b32_e64 v4, v4, 0xffffff82, vcc_lo
	s_delay_alu instid0(VALU_DEP_2) | instskip(SKIP_1) | instid1(VALU_DEP_3)
	v_add_co_u32 v1, vcc_lo, v3, v1
	v_add_co_ci_u32_e32 v2, vcc_lo, 0, v2, vcc_lo
	v_add3_u32 v4, v16, v4, v9
                                        ; implicit-def: $vgpr3
	s_delay_alu instid0(VALU_DEP_1) | instskip(NEXT) | instid1(VALU_DEP_1)
	v_add_nc_u32_e32 v9, 6, v4
	v_cmpx_ne_u32_e32 0, v9
	s_xor_b32 s0, exec_lo, s0
; %bb.656:                              ;   in Loop: Header=BB10_608 Depth=1
	v_cmp_lt_u64_e32 vcc_lo, 0xffffff, v[1:2]
	v_add_nc_u32_e32 v3, 7, v4
	v_cndmask_b32_e64 v4, 0, 1, vcc_lo
	s_delay_alu instid0(VALU_DEP_2) | instskip(NEXT) | instid1(VALU_DEP_2)
	v_cndmask_b32_e32 v3, v9, v3, vcc_lo
	v_lshrrev_b64 v[1:2], v4, v[1:2]
; %bb.657:                              ;   in Loop: Header=BB10_608 Depth=1
	s_and_not1_saveexec_b32 s0, s0
; %bb.658:                              ;   in Loop: Header=BB10_608 Depth=1
	s_delay_alu instid0(VALU_DEP_1)
	v_bfe_u32 v3, v1, 23, 1
; %bb.659:                              ;   in Loop: Header=BB10_608 Depth=1
	s_or_b32 exec_lo, exec_lo, s0
	s_delay_alu instid0(VALU_DEP_2) | instskip(NEXT) | instid1(VALU_DEP_2)
	v_lshrrev_b64 v[1:2], 20, v[1:2]
	v_cmp_gt_i32_e32 vcc_lo, 16, v3
	v_min_i32_e32 v4, 15, v3
	v_cmp_eq_u32_e64 s0, 0, v3
	s_delay_alu instid0(VALU_DEP_4) | instskip(NEXT) | instid1(VALU_DEP_3)
	v_dual_cndmask_b32 v2, 0, v2 :: v_dual_cndmask_b32 v1, 7, v1
	v_lshlrev_b32_e32 v4, 3, v4
	s_delay_alu instid0(VALU_DEP_2) | instskip(NEXT) | instid1(VALU_DEP_2)
	v_cmp_eq_u64_e32 vcc_lo, 0, v[1:2]
	v_and_or_b32 v1, v1, 7, v4
	s_and_b32 s0, s0, vcc_lo
	s_delay_alu instid0(VALU_DEP_1) | instid1(SALU_CYCLE_1)
	v_cndmask_b32_e64 v1, v1, 0, s0
	s_delay_alu instid0(VALU_DEP_1)
	v_or_b32_e32 v1, v1, v12
.LBB10_660:                             ;   in Loop: Header=BB10_608 Depth=1
	s_or_b32 exec_lo, exec_lo, s8
.LBB10_661:                             ;   in Loop: Header=BB10_608 Depth=1
	s_delay_alu instid0(SALU_CYCLE_1)
	s_or_b32 exec_lo, exec_lo, s7
                                        ; implicit-def: $vgpr3
.LBB10_662:                             ;   in Loop: Header=BB10_608 Depth=1
	s_and_not1_saveexec_b32 s0, s6
	s_cbranch_execz .LBB10_607
; %bb.663:                              ;   in Loop: Header=BB10_608 Depth=1
	v_cmp_eq_u64_e32 vcc_lo, 0, v[9:10]
	v_or_b32_e32 v2, 0x7f, v3
	s_delay_alu instid0(VALU_DEP_1)
	v_cndmask_b32_e32 v1, v2, v1, vcc_lo
	s_branch .LBB10_607
.LBB10_664:
	s_nop 0
	s_sendmsg sendmsg(MSG_DEALLOC_VGPRS)
	s_endpgm
	.section	.rodata,"a",@progbits
	.p2align	6, 0x0
	.amdhsa_kernel _ZN4vllm30reshape_and_cache_flash_kernelIfhLNS_18Fp8KVCacheDataTypeE1EEEvPKT_S4_PT0_S6_PKlllllliiiPKfSA_i
		.amdhsa_group_segment_fixed_size 0
		.amdhsa_private_segment_fixed_size 0
		.amdhsa_kernarg_size 376
		.amdhsa_user_sgpr_count 15
		.amdhsa_user_sgpr_dispatch_ptr 0
		.amdhsa_user_sgpr_queue_ptr 0
		.amdhsa_user_sgpr_kernarg_segment_ptr 1
		.amdhsa_user_sgpr_dispatch_id 0
		.amdhsa_user_sgpr_private_segment_size 0
		.amdhsa_wavefront_size32 1
		.amdhsa_uses_dynamic_stack 0
		.amdhsa_enable_private_segment 0
		.amdhsa_system_sgpr_workgroup_id_x 1
		.amdhsa_system_sgpr_workgroup_id_y 0
		.amdhsa_system_sgpr_workgroup_id_z 0
		.amdhsa_system_sgpr_workgroup_info 0
		.amdhsa_system_vgpr_workitem_id 0
		.amdhsa_next_free_vgpr 54
		.amdhsa_next_free_sgpr 57
		.amdhsa_reserve_vcc 1
		.amdhsa_float_round_mode_32 0
		.amdhsa_float_round_mode_16_64 0
		.amdhsa_float_denorm_mode_32 3
		.amdhsa_float_denorm_mode_16_64 3
		.amdhsa_dx10_clamp 1
		.amdhsa_ieee_mode 1
		.amdhsa_fp16_overflow 0
		.amdhsa_workgroup_processor_mode 1
		.amdhsa_memory_ordered 1
		.amdhsa_forward_progress 0
		.amdhsa_shared_vgpr_count 0
		.amdhsa_exception_fp_ieee_invalid_op 0
		.amdhsa_exception_fp_denorm_src 0
		.amdhsa_exception_fp_ieee_div_zero 0
		.amdhsa_exception_fp_ieee_overflow 0
		.amdhsa_exception_fp_ieee_underflow 0
		.amdhsa_exception_fp_ieee_inexact 0
		.amdhsa_exception_int_div_zero 0
	.end_amdhsa_kernel
	.section	.text._ZN4vllm30reshape_and_cache_flash_kernelIfhLNS_18Fp8KVCacheDataTypeE1EEEvPKT_S4_PT0_S6_PKlllllliiiPKfSA_i,"axG",@progbits,_ZN4vllm30reshape_and_cache_flash_kernelIfhLNS_18Fp8KVCacheDataTypeE1EEEvPKT_S4_PT0_S6_PKlllllliiiPKfSA_i,comdat
.Lfunc_end10:
	.size	_ZN4vllm30reshape_and_cache_flash_kernelIfhLNS_18Fp8KVCacheDataTypeE1EEEvPKT_S4_PT0_S6_PKlllllliiiPKfSA_i, .Lfunc_end10-_ZN4vllm30reshape_and_cache_flash_kernelIfhLNS_18Fp8KVCacheDataTypeE1EEEvPKT_S4_PT0_S6_PKlllllliiiPKfSA_i
                                        ; -- End function
	.section	.AMDGPU.csdata,"",@progbits
; Kernel info:
; codeLenInByte = 31944
; NumSgprs: 59
; NumVgprs: 54
; ScratchSize: 0
; MemoryBound: 0
; FloatMode: 240
; IeeeMode: 1
; LDSByteSize: 0 bytes/workgroup (compile time only)
; SGPRBlocks: 7
; VGPRBlocks: 6
; NumSGPRsForWavesPerEU: 59
; NumVGPRsForWavesPerEU: 54
; Occupancy: 16
; WaveLimiterHint : 0
; COMPUTE_PGM_RSRC2:SCRATCH_EN: 0
; COMPUTE_PGM_RSRC2:USER_SGPR: 15
; COMPUTE_PGM_RSRC2:TRAP_HANDLER: 0
; COMPUTE_PGM_RSRC2:TGID_X_EN: 1
; COMPUTE_PGM_RSRC2:TGID_Y_EN: 0
; COMPUTE_PGM_RSRC2:TGID_Z_EN: 0
; COMPUTE_PGM_RSRC2:TIDIG_COMP_CNT: 0
	.section	.text._ZN4vllm30reshape_and_cache_flash_kernelIthLNS_18Fp8KVCacheDataTypeE1EEEvPKT_S4_PT0_S6_PKlllllliiiPKfSA_i,"axG",@progbits,_ZN4vllm30reshape_and_cache_flash_kernelIthLNS_18Fp8KVCacheDataTypeE1EEEvPKT_S4_PT0_S6_PKlllllliiiPKfSA_i,comdat
	.protected	_ZN4vllm30reshape_and_cache_flash_kernelIthLNS_18Fp8KVCacheDataTypeE1EEEvPKT_S4_PT0_S6_PKlllllliiiPKfSA_i ; -- Begin function _ZN4vllm30reshape_and_cache_flash_kernelIthLNS_18Fp8KVCacheDataTypeE1EEEvPKT_S4_PT0_S6_PKlllllliiiPKfSA_i
	.globl	_ZN4vllm30reshape_and_cache_flash_kernelIthLNS_18Fp8KVCacheDataTypeE1EEEvPKT_S4_PT0_S6_PKlllllliiiPKfSA_i
	.p2align	8
	.type	_ZN4vllm30reshape_and_cache_flash_kernelIthLNS_18Fp8KVCacheDataTypeE1EEEvPKT_S4_PT0_S6_PKlllllliiiPKfSA_i,@function
_ZN4vllm30reshape_and_cache_flash_kernelIthLNS_18Fp8KVCacheDataTypeE1EEEvPKT_S4_PT0_S6_PKlllllliiiPKfSA_i: ; @_ZN4vllm30reshape_and_cache_flash_kernelIthLNS_18Fp8KVCacheDataTypeE1EEEvPKT_S4_PT0_S6_PKlllllliiiPKfSA_i
; %bb.0:
	s_load_b64 s[4:5], s[0:1], 0x20
	s_mov_b32 s2, s15
	s_mov_b32 s3, 0
	s_delay_alu instid0(SALU_CYCLE_1)
	s_lshl_b64 s[6:7], s[2:3], 3
	s_waitcnt lgkmcnt(0)
	s_add_u32 s4, s4, s6
	s_addc_u32 s5, s5, s7
	s_load_b64 s[28:29], s[4:5], 0x0
	s_waitcnt lgkmcnt(0)
	v_cmp_lt_i64_e64 s4, s[28:29], 0
	s_delay_alu instid0(VALU_DEP_1)
	s_and_b32 vcc_lo, exec_lo, s4
	s_cbranch_vccnz .LBB11_1378
; %bb.1:
	s_clause 0x1
	s_load_b128 s[12:15], s[0:1], 0x50
	s_load_b256 s[16:23], s[0:1], 0x0
	s_waitcnt lgkmcnt(0)
	s_ashr_i32 s15, s14, 31
	s_delay_alu instid0(SALU_CYCLE_1) | instskip(SKIP_1) | instid1(SALU_CYCLE_1)
	s_or_b64 s[4:5], s[28:29], s[14:15]
	s_mov_b32 s4, s3
	s_cmp_lg_u64 s[4:5], 0
	s_cbranch_scc0 .LBB11_710
; %bb.2:
	s_add_u32 s6, s14, s15
	s_mov_b32 s4, s15
	s_mov_b32 s5, s15
	s_addc_u32 s7, s15, s15
	s_delay_alu instid0(SALU_CYCLE_1) | instskip(NEXT) | instid1(SALU_CYCLE_1)
	s_xor_b64 s[6:7], s[6:7], s[4:5]
	v_cvt_f32_u32_e32 v1, s6
	v_cvt_f32_u32_e32 v2, s7
	s_sub_u32 s9, 0, s6
	s_subb_u32 s10, 0, s7
	s_delay_alu instid0(VALU_DEP_1) | instskip(NEXT) | instid1(VALU_DEP_1)
	v_fmamk_f32 v1, v2, 0x4f800000, v1
	v_rcp_f32_e32 v1, v1
	s_waitcnt_depctr 0xfff
	v_mul_f32_e32 v1, 0x5f7ffffc, v1
	s_delay_alu instid0(VALU_DEP_1) | instskip(NEXT) | instid1(VALU_DEP_1)
	v_mul_f32_e32 v2, 0x2f800000, v1
	v_trunc_f32_e32 v2, v2
	s_delay_alu instid0(VALU_DEP_1) | instskip(SKIP_1) | instid1(VALU_DEP_2)
	v_fmamk_f32 v1, v2, 0xcf800000, v1
	v_cvt_u32_f32_e32 v2, v2
	v_cvt_u32_f32_e32 v1, v1
	s_delay_alu instid0(VALU_DEP_2) | instskip(NEXT) | instid1(VALU_DEP_2)
	v_readfirstlane_b32 s3, v2
	v_readfirstlane_b32 s8, v1
	s_delay_alu instid0(VALU_DEP_2) | instskip(NEXT) | instid1(VALU_DEP_1)
	s_mul_i32 s11, s9, s3
	s_mul_hi_u32 s25, s9, s8
	s_mul_i32 s24, s10, s8
	s_add_i32 s11, s25, s11
	s_mul_i32 s26, s9, s8
	s_add_i32 s11, s11, s24
	s_mul_hi_u32 s25, s8, s26
	s_mul_hi_u32 s27, s3, s26
	s_mul_i32 s24, s3, s26
	s_mul_hi_u32 s26, s8, s11
	s_mul_i32 s8, s8, s11
	s_mul_hi_u32 s30, s3, s11
	s_add_u32 s8, s25, s8
	s_addc_u32 s25, 0, s26
	s_add_u32 s8, s8, s24
	s_mul_i32 s11, s3, s11
	s_addc_u32 s8, s25, s27
	s_addc_u32 s24, s30, 0
	s_add_u32 s8, s8, s11
	s_addc_u32 s11, 0, s24
	v_add_co_u32 v1, s8, v1, s8
	s_delay_alu instid0(VALU_DEP_1) | instskip(SKIP_1) | instid1(VALU_DEP_1)
	s_cmp_lg_u32 s8, 0
	s_addc_u32 s3, s3, s11
	v_readfirstlane_b32 s8, v1
	s_mul_i32 s11, s9, s3
	s_delay_alu instid0(VALU_DEP_1)
	s_mul_hi_u32 s24, s9, s8
	s_mul_i32 s10, s10, s8
	s_add_i32 s11, s24, s11
	s_mul_i32 s9, s9, s8
	s_add_i32 s11, s11, s10
	s_mul_hi_u32 s24, s3, s9
	s_mul_i32 s25, s3, s9
	s_mul_hi_u32 s9, s8, s9
	s_mul_hi_u32 s26, s8, s11
	s_mul_i32 s8, s8, s11
	s_mul_hi_u32 s10, s3, s11
	s_add_u32 s8, s9, s8
	s_addc_u32 s9, 0, s26
	s_add_u32 s8, s8, s25
	s_mul_i32 s11, s3, s11
	s_addc_u32 s8, s9, s24
	s_addc_u32 s9, s10, 0
	s_add_u32 s8, s8, s11
	s_addc_u32 s9, 0, s9
	v_add_co_u32 v1, s8, v1, s8
	s_delay_alu instid0(VALU_DEP_1) | instskip(SKIP_2) | instid1(VALU_DEP_1)
	s_cmp_lg_u32 s8, 0
	s_addc_u32 s3, s3, s9
	s_ashr_i32 s8, s29, 31
	v_readfirstlane_b32 s24, v1
	s_add_u32 s10, s28, s8
	s_mov_b32 s9, s8
	s_addc_u32 s11, s29, s8
	s_delay_alu instid0(SALU_CYCLE_1) | instskip(NEXT) | instid1(SALU_CYCLE_1)
	s_xor_b64 s[10:11], s[10:11], s[8:9]
	s_mul_i32 s26, s10, s3
	s_mul_hi_u32 s27, s10, s24
	s_mul_hi_u32 s25, s10, s3
	;; [unrolled: 1-line block ×3, first 2 shown]
	s_mul_i32 s24, s11, s24
	s_add_u32 s26, s27, s26
	s_addc_u32 s25, 0, s25
	s_mul_hi_u32 s30, s11, s3
	s_add_u32 s24, s26, s24
	s_mul_i32 s3, s11, s3
	s_addc_u32 s24, s25, s31
	s_addc_u32 s25, s30, 0
	s_add_u32 s3, s24, s3
	s_addc_u32 s24, 0, s25
	s_mul_i32 s30, s6, s3
	s_mul_hi_u32 s25, s6, s3
	s_mul_i32 s27, s6, s24
	v_sub_co_u32 v1, s10, s10, s30
	s_mul_i32 s26, s7, s3
	s_add_i32 s25, s25, s27
	s_delay_alu instid0(SALU_CYCLE_1) | instskip(NEXT) | instid1(VALU_DEP_1)
	s_add_i32 s25, s25, s26
	v_sub_co_u32 v2, s27, v1, s6
	s_sub_i32 s26, s11, s25
	s_cmp_lg_u32 s10, 0
	s_subb_u32 s26, s26, s7
	s_cmp_lg_u32 s27, 0
	v_readfirstlane_b32 s27, v2
	s_subb_u32 s26, s26, 0
	s_delay_alu instid0(SALU_CYCLE_1) | instskip(SKIP_1) | instid1(VALU_DEP_1)
	s_cmp_ge_u32 s26, s7
	s_cselect_b32 s30, -1, 0
	s_cmp_ge_u32 s27, s6
	s_cselect_b32 s27, -1, 0
	s_cmp_eq_u32 s26, s7
	s_cselect_b32 s26, s27, s30
	s_add_u32 s27, s3, 1
	s_addc_u32 s30, s24, 0
	s_add_u32 s31, s3, 2
	s_addc_u32 s33, s24, 0
	s_cmp_lg_u32 s26, 0
	s_cselect_b32 s26, s31, s27
	s_cselect_b32 s27, s33, s30
	s_cmp_lg_u32 s10, 0
	v_readfirstlane_b32 s10, v1
	s_subb_u32 s11, s11, s25
	s_delay_alu instid0(SALU_CYCLE_1) | instskip(SKIP_1) | instid1(VALU_DEP_1)
	s_cmp_ge_u32 s11, s7
	s_cselect_b32 s25, -1, 0
	s_cmp_ge_u32 s10, s6
	s_cselect_b32 s6, -1, 0
	s_cmp_eq_u32 s11, s7
	s_cselect_b32 s6, s6, s25
	s_delay_alu instid0(SALU_CYCLE_1) | instskip(SKIP_3) | instid1(SALU_CYCLE_1)
	s_cmp_lg_u32 s6, 0
	s_cselect_b32 s7, s27, s24
	s_cselect_b32 s6, s26, s3
	s_xor_b64 s[4:5], s[8:9], s[4:5]
	s_xor_b64 s[6:7], s[6:7], s[4:5]
	s_delay_alu instid0(SALU_CYCLE_1)
	s_sub_u32 s30, s6, s4
	s_subb_u32 s31, s7, s5
	s_cbranch_execnz .LBB11_4
.LBB11_3:
	v_cvt_f32_u32_e32 v1, s14
	s_sub_i32 s4, 0, s14
	s_mov_b32 s31, 0
	s_delay_alu instid0(VALU_DEP_1) | instskip(SKIP_2) | instid1(VALU_DEP_1)
	v_rcp_iflag_f32_e32 v1, v1
	s_waitcnt_depctr 0xfff
	v_mul_f32_e32 v1, 0x4f7ffffe, v1
	v_cvt_u32_f32_e32 v1, v1
	s_delay_alu instid0(VALU_DEP_1) | instskip(NEXT) | instid1(VALU_DEP_1)
	v_readfirstlane_b32 s3, v1
	s_mul_i32 s4, s4, s3
	s_delay_alu instid0(SALU_CYCLE_1) | instskip(NEXT) | instid1(SALU_CYCLE_1)
	s_mul_hi_u32 s4, s3, s4
	s_add_i32 s3, s3, s4
	s_delay_alu instid0(SALU_CYCLE_1) | instskip(NEXT) | instid1(SALU_CYCLE_1)
	s_mul_hi_u32 s3, s28, s3
	s_mul_i32 s4, s3, s14
	s_add_i32 s5, s3, 1
	s_sub_i32 s4, s28, s4
	s_delay_alu instid0(SALU_CYCLE_1)
	s_sub_i32 s6, s4, s14
	s_cmp_ge_u32 s4, s14
	s_cselect_b32 s3, s5, s3
	s_cselect_b32 s4, s6, s4
	s_add_i32 s5, s3, 1
	s_cmp_ge_u32 s4, s14
	s_cselect_b32 s30, s5, s3
.LBB11_4:
	s_clause 0x3
	s_load_b256 s[4:11], s[0:1], 0x28
	s_load_b64 s[34:35], s[0:1], 0x48
	s_load_b128 s[24:27], s[0:1], 0x60
	s_load_b32 s39, s[0:1], 0x70
	s_mul_i32 s3, s30, s15
	s_mul_hi_u32 s15, s30, s14
	s_mul_i32 s33, s31, s14
	s_add_i32 s3, s15, s3
	s_mul_i32 s14, s30, s14
	s_add_i32 s3, s3, s33
	s_sub_u32 s33, s28, s14
	s_subb_u32 s37, s29, s3
	s_waitcnt lgkmcnt(0)
	s_mul_i32 s3, s2, s11
	s_mul_hi_u32 s11, s2, s10
	s_mul_i32 s10, s2, s10
	s_add_i32 s11, s11, s3
	s_mul_i32 s14, s2, s35
	s_lshl_b64 s[28:29], s[10:11], 1
	s_mul_hi_u32 s15, s2, s34
	s_mul_i32 s2, s2, s34
	s_mul_i32 s34, s30, s5
	s_add_u32 s5, s16, s28
	s_addc_u32 s10, s17, s29
	s_add_i32 s3, s15, s14
	s_mul_hi_u32 s38, s30, s4
	s_lshl_b64 s[14:15], s[2:3], 1
	s_mul_i32 s11, s31, s4
	s_add_u32 s35, s18, s14
	s_addc_u32 s36, s19, s15
	s_add_i32 s3, s38, s34
	s_mul_i32 s30, s30, s4
	s_mul_i32 s2, s33, s7
	s_mul_hi_u32 s4, s33, s6
	s_add_i32 s31, s3, s11
	s_add_u32 s3, s20, s30
	s_addc_u32 s7, s21, s31
	s_add_i32 s2, s4, s2
	s_mul_i32 s37, s37, s6
	s_mul_i32 s34, s33, s6
	s_add_i32 s33, s2, s37
	s_add_u32 s4, s3, s34
	s_addc_u32 s6, s7, s33
	s_add_u32 s2, s22, s30
	s_addc_u32 s3, s23, s31
	;; [unrolled: 2-line block ×3, first 2 shown]
	s_ashr_i32 s3, s13, 31
	s_mov_b32 s2, s13
	s_delay_alu instid0(SALU_CYCLE_1) | instskip(SKIP_3) | instid1(SALU_CYCLE_1)
	s_cmp_lg_u64 s[2:3], s[8:9]
	s_cselect_b32 s2, -1, 0
	s_cmp_lg_u32 s39, 0
	s_cselect_b32 s3, -1, 0
	s_or_b32 s2, s2, s3
	s_delay_alu instid0(SALU_CYCLE_1)
	s_and_b32 vcc_lo, exec_lo, s2
	s_mov_b32 s2, -1
	s_cbranch_vccz .LBB11_687
; %bb.5:
	v_lshrrev_b32_e32 v35, 5, v0
	s_mov_b32 s7, exec_lo
	s_delay_alu instid0(VALU_DEP_1)
	v_cmpx_gt_i32_e64 s12, v35
	s_cbranch_execz .LBB11_686
; %bb.6:
	s_load_b32 s2, s[0:1], 0x84
	s_and_b32 s3, s13, 7
	v_and_b32_e32 v36, 31, v0
	v_mov_b32_e32 v6, 0
	v_mul_lo_u32 v7, s13, v35
	s_mov_b32 s41, 0
	s_delay_alu instid0(VALU_DEP_3)
	v_lshlrev_b32_e32 v5, 3, v36
	v_lshlrev_b32_e32 v8, 4, v36
	;; [unrolled: 1-line block ×3, first 2 shown]
	s_waitcnt lgkmcnt(0)
	s_bfe_u32 s11, s2, 0xb0005
	s_cmp_eq_u32 s3, 0
	s_mul_hi_u32 s42, s8, s11
	s_cselect_b32 s49, -1, 0
	s_ashr_i32 s40, s13, 3
	s_add_u32 s2, s34, s30
	s_addc_u32 s3, s33, s31
	s_mul_i32 s47, s8, s11
	v_mad_u64_u32 v[1:2], null, s8, v35, s[2:3]
	s_mul_i32 s3, s9, s11
	v_cmp_gt_i32_e64 s2, s40, v36
	s_add_i32 s42, s42, s3
	s_add_u32 s43, s16, s28
	s_addc_u32 s44, s17, s29
	s_add_u32 s45, s18, s14
	s_delay_alu instid0(VALU_DEP_2) | instskip(SKIP_1) | instid1(VALU_DEP_1)
	v_mad_u64_u32 v[3:4], null, s9, v35, v[2:3]
	v_add_co_u32 v37, s3, s43, v8
	v_add_co_ci_u32_e64 v38, null, s44, 0, s3
	s_addc_u32 s46, s19, s15
	v_add_co_u32 v39, s3, s45, v8
	s_delay_alu instid0(VALU_DEP_4) | instskip(SKIP_2) | instid1(VALU_DEP_3)
	v_mov_b32_e32 v2, v3
	v_add_co_u32 v3, vcc_lo, v1, v5
	v_add_co_ci_u32_e64 v40, null, s46, 0, s3
	v_add_co_ci_u32_e32 v4, vcc_lo, 0, v2, vcc_lo
	v_add_co_u32 v41, vcc_lo, s20, v1
	v_add_co_ci_u32_e32 v42, vcc_lo, s21, v2, vcc_lo
	v_add_co_u32 v43, vcc_lo, s22, v1
	v_add_co_ci_u32_e32 v44, vcc_lo, s23, v2, vcc_lo
	v_add_co_u32 v9, vcc_lo, s20, v3
	v_add_co_ci_u32_e32 v10, vcc_lo, s21, v4, vcc_lo
	v_add_co_u32 v11, vcc_lo, s22, v3
	v_add_co_ci_u32_e32 v12, vcc_lo, s23, v4, vcc_lo
	s_mul_i32 s48, s13, s11
	s_xor_b32 s49, s49, -1
	s_branch .LBB11_9
.LBB11_7:                               ;   in Loop: Header=BB11_9 Depth=1
	s_or_b32 exec_lo, exec_lo, s51
.LBB11_8:                               ;   in Loop: Header=BB11_9 Depth=1
	s_delay_alu instid0(SALU_CYCLE_1)
	s_or_b32 exec_lo, exec_lo, s50
	v_add_co_u32 v9, vcc_lo, v9, s47
	v_add_co_ci_u32_e32 v10, vcc_lo, s42, v10, vcc_lo
	v_add_co_u32 v41, vcc_lo, v41, s47
	v_add_nc_u32_e32 v35, s11, v35
	v_add_co_ci_u32_e32 v42, vcc_lo, s42, v42, vcc_lo
	v_add_co_u32 v11, vcc_lo, v11, s47
	v_add_co_ci_u32_e32 v12, vcc_lo, s42, v12, vcc_lo
	s_delay_alu instid0(VALU_DEP_4) | instskip(SKIP_4) | instid1(SALU_CYCLE_1)
	v_cmp_le_i32_e32 vcc_lo, s12, v35
	v_add_co_u32 v43, s3, v43, s47
	v_add_nc_u32_e32 v7, s48, v7
	v_add_co_ci_u32_e64 v44, s3, s42, v44, s3
	s_or_b32 s41, vcc_lo, s41
	s_and_not1_b32 exec_lo, exec_lo, s41
	s_cbranch_execz .LBB11_686
.LBB11_9:                               ; =>This Loop Header: Depth=1
                                        ;     Child Loop BB11_33 Depth 2
                                        ;     Child Loop BB11_180 Depth 2
	;; [unrolled: 1-line block ×6, first 2 shown]
	v_mul_lo_u32 v1, v35, s39
	v_mad_u64_u32 v[15:16], null, v35, s8, 0
	v_ashrrev_i32_e32 v8, 31, v7
	s_delay_alu instid0(VALU_DEP_1) | instskip(NEXT) | instid1(VALU_DEP_4)
	v_lshlrev_b64 v[13:14], 1, v[7:8]
	v_ashrrev_i32_e32 v2, 31, v1
	s_delay_alu instid0(VALU_DEP_1) | instskip(NEXT) | instid1(VALU_DEP_1)
	v_lshlrev_b64 v[1:2], 2, v[1:2]
	v_add_co_u32 v3, vcc_lo, s24, v1
	s_delay_alu instid0(VALU_DEP_2)
	v_add_co_ci_u32_e32 v4, vcc_lo, s25, v2, vcc_lo
	v_add_co_u32 v1, vcc_lo, s26, v1
	v_add_co_ci_u32_e32 v2, vcc_lo, s27, v2, vcc_lo
	global_load_b32 v48, v[3:4], off
	global_load_b32 v46, v[1:2], off
	v_mul_lo_u32 v1, v35, s13
	v_mov_b32_e32 v3, v16
	s_delay_alu instid0(VALU_DEP_1) | instskip(NEXT) | instid1(VALU_DEP_3)
	v_mad_u64_u32 v[4:5], null, v35, s9, v[3:4]
	v_ashrrev_i32_e32 v2, 31, v1
	s_delay_alu instid0(VALU_DEP_1) | instskip(NEXT) | instid1(VALU_DEP_3)
	v_lshlrev_b64 v[17:18], 1, v[1:2]
	v_mov_b32_e32 v47, v4
	s_delay_alu instid0(VALU_DEP_2) | instskip(NEXT) | instid1(VALU_DEP_3)
	v_add_co_u32 v1, vcc_lo, s5, v17
	v_add_co_ci_u32_e32 v2, vcc_lo, s10, v18, vcc_lo
	s_delay_alu instid0(VALU_DEP_2) | instskip(NEXT) | instid1(VALU_DEP_1)
	v_and_b32_e32 v5, 15, v1
	v_cmp_ne_u64_e32 vcc_lo, 0, v[5:6]
	s_or_b32 s3, s49, vcc_lo
	s_delay_alu instid0(SALU_CYCLE_1) | instskip(NEXT) | instid1(SALU_CYCLE_1)
	s_and_saveexec_b32 s50, s3
	s_xor_b32 s50, exec_lo, s50
	s_cbranch_execz .LBB11_199
; %bb.10:                               ;   in Loop: Header=BB11_9 Depth=1
	v_sub_nc_u32_e32 v3, 0, v1
	s_mov_b32 s51, exec_lo
	s_delay_alu instid0(VALU_DEP_1) | instskip(NEXT) | instid1(VALU_DEP_1)
	v_bfe_u32 v3, v3, 1, 3
	v_min_i32_e32 v19, s13, v3
	s_delay_alu instid0(VALU_DEP_1)
	v_cmpx_gt_i32_e64 v19, v36
	s_cbranch_execz .LBB11_30
; %bb.11:                               ;   in Loop: Header=BB11_9 Depth=1
	v_add_co_u32 v1, vcc_lo, v1, v45
	v_add_co_ci_u32_e32 v2, vcc_lo, 0, v2, vcc_lo
	s_mov_b32 s3, exec_lo
	global_load_u16 v1, v[1:2], off
	s_waitcnt vmcnt(0)
	v_cvt_f32_f16_e32 v1, v1
	s_delay_alu instid0(VALU_DEP_1) | instskip(NEXT) | instid1(VALU_DEP_1)
	v_div_scale_f32 v2, null, v48, v48, v1
	v_rcp_f32_e32 v3, v2
	s_waitcnt_depctr 0xfff
	v_fma_f32 v4, -v2, v3, 1.0
	s_delay_alu instid0(VALU_DEP_1) | instskip(SKIP_1) | instid1(VALU_DEP_1)
	v_fmac_f32_e32 v3, v4, v3
	v_div_scale_f32 v4, vcc_lo, v1, v48, v1
	v_mul_f32_e32 v5, v4, v3
	s_delay_alu instid0(VALU_DEP_1) | instskip(NEXT) | instid1(VALU_DEP_1)
	v_fma_f32 v8, -v2, v5, v4
	v_fmac_f32_e32 v5, v8, v3
	s_delay_alu instid0(VALU_DEP_1) | instskip(NEXT) | instid1(VALU_DEP_1)
	v_fma_f32 v2, -v2, v5, v4
	v_div_fmas_f32 v2, v2, v3, v5
	s_delay_alu instid0(VALU_DEP_1) | instskip(NEXT) | instid1(VALU_DEP_1)
	v_div_fixup_f32 v1, v2, v48, v1
	v_cvt_f16_f32_e32 v1, v1
	s_delay_alu instid0(VALU_DEP_1) | instskip(NEXT) | instid1(VALU_DEP_1)
	v_cvt_f32_f16_e32 v1, v1
	v_and_b32_e32 v20, 0x7f800000, v1
	v_lshrrev_b32_e32 v3, 24, v1
	v_mov_b32_e32 v21, v6
	v_and_b32_e32 v5, 0x7fffff, v1
	s_delay_alu instid0(VALU_DEP_3) | instskip(NEXT) | instid1(VALU_DEP_1)
	v_and_b32_e32 v8, 0x80, v3
	v_or_b32_e32 v2, 0x7e, v8
	s_delay_alu instid0(VALU_DEP_4)
	v_cmpx_ne_u64_e32 0x7f800000, v[20:21]
	s_xor_b32 s52, exec_lo, s3
	s_cbranch_execz .LBB11_27
; %bb.12:                               ;   in Loop: Header=BB11_9 Depth=1
	v_dual_mov_b32 v4, v6 :: v_dual_and_b32 v3, 0x7fffffff, v1
	s_mov_b32 s3, exec_lo
	s_delay_alu instid0(VALU_DEP_1)
	v_cmpx_gt_u64_e32 0x43e00001, v[3:4]
	s_xor_b32 s53, exec_lo, s3
	s_cbranch_execz .LBB11_26
; %bb.13:                               ;   in Loop: Header=BB11_9 Depth=1
	v_mov_b32_e32 v2, 0
	s_mov_b32 s54, exec_lo
	v_cmpx_ne_u32_e32 0, v1
	s_cbranch_execz .LBB11_25
; %bb.14:                               ;   in Loop: Header=BB11_9 Depth=1
	v_bfe_u32 v16, v1, 23, 8
	v_or_b32_e32 v3, 0x800000, v5
	s_delay_alu instid0(VALU_DEP_2) | instskip(SKIP_1) | instid1(VALU_DEP_2)
	v_sub_nc_u32_e32 v1, 0x79, v16
	v_cmp_gt_u32_e32 vcc_lo, 0x7a, v16
	v_cndmask_b32_e32 v1, 0, v1, vcc_lo
	v_cmp_eq_u32_e32 vcc_lo, 0, v16
	s_delay_alu instid0(VALU_DEP_2) | instskip(SKIP_1) | instid1(VALU_DEP_2)
	v_cndmask_b32_e64 v20, v1, 0x78, vcc_lo
	v_cndmask_b32_e32 v5, v3, v5, vcc_lo
	v_add_nc_u32_e32 v1, 20, v20
	v_add_nc_u32_e32 v3, 19, v20
	s_delay_alu instid0(VALU_DEP_2) | instskip(NEXT) | instid1(VALU_DEP_2)
	v_lshlrev_b64 v[1:2], v1, -1
	v_lshlrev_b64 v[3:4], v3, 1
	s_delay_alu instid0(VALU_DEP_2) | instskip(NEXT) | instid1(VALU_DEP_3)
	v_not_b32_e32 v2, v2
	v_not_b32_e32 v1, v1
	s_delay_alu instid0(VALU_DEP_2) | instskip(NEXT) | instid1(VALU_DEP_2)
	v_and_b32_e32 v22, 0, v2
	v_and_b32_e32 v21, v5, v1
	v_lshrrev_b64 v[1:2], v20, v[5:6]
	s_delay_alu instid0(VALU_DEP_2) | instskip(NEXT) | instid1(VALU_DEP_2)
	v_cmp_eq_u64_e64 s3, v[21:22], v[3:4]
	v_dual_mov_b32 v4, v2 :: v_dual_mov_b32 v3, v1
	s_delay_alu instid0(VALU_DEP_2)
	s_and_saveexec_b32 s55, s3
; %bb.15:                               ;   in Loop: Header=BB11_9 Depth=1
	v_bfe_u32 v3, v1, 20, 1
	s_delay_alu instid0(VALU_DEP_1) | instskip(NEXT) | instid1(VALU_DEP_1)
	v_add_co_u32 v3, s3, v1, v3
	v_add_co_u32 v3, s3, v3, -1
; %bb.16:                               ;   in Loop: Header=BB11_9 Depth=1
	s_or_b32 exec_lo, exec_lo, s55
	v_add_nc_u32_e32 v4, 0xffffff81, v16
	v_lshrrev_b32_e32 v5, 23, v1
	s_delay_alu instid0(VALU_DEP_3) | instskip(SKIP_1) | instid1(VALU_DEP_3)
	v_and_b32_e32 v3, 0xfffff, v3
	s_mov_b32 s3, exec_lo
	v_cndmask_b32_e64 v4, v4, 0xffffff82, vcc_lo
	s_delay_alu instid0(VALU_DEP_2) | instskip(SKIP_1) | instid1(VALU_DEP_3)
	v_add_co_u32 v1, vcc_lo, v3, v1
	v_add_co_ci_u32_e32 v2, vcc_lo, 0, v2, vcc_lo
	v_add3_u32 v4, v20, v4, v5
                                        ; implicit-def: $vgpr3
	s_delay_alu instid0(VALU_DEP_1) | instskip(NEXT) | instid1(VALU_DEP_1)
	v_add_nc_u32_e32 v5, 6, v4
	v_cmpx_ne_u32_e32 0, v5
	s_xor_b32 s3, exec_lo, s3
; %bb.17:                               ;   in Loop: Header=BB11_9 Depth=1
	v_cmp_lt_u64_e32 vcc_lo, 0xffffff, v[1:2]
	v_add_nc_u32_e32 v3, 7, v4
	v_cndmask_b32_e64 v4, 0, 1, vcc_lo
	s_delay_alu instid0(VALU_DEP_2) | instskip(NEXT) | instid1(VALU_DEP_2)
	v_cndmask_b32_e32 v3, v5, v3, vcc_lo
	v_lshrrev_b64 v[1:2], v4, v[1:2]
; %bb.18:                               ;   in Loop: Header=BB11_9 Depth=1
	s_and_not1_saveexec_b32 s3, s3
; %bb.19:                               ;   in Loop: Header=BB11_9 Depth=1
	s_delay_alu instid0(VALU_DEP_1)
	v_bfe_u32 v3, v1, 23, 1
; %bb.20:                               ;   in Loop: Header=BB11_9 Depth=1
	s_or_b32 exec_lo, exec_lo, s3
	s_delay_alu instid0(VALU_DEP_2) | instskip(NEXT) | instid1(VALU_DEP_2)
	v_lshrrev_b64 v[1:2], 20, v[1:2]
	v_cmp_gt_i32_e32 vcc_lo, 16, v3
	v_cmp_ne_u32_e64 s3, 0, v3
	s_delay_alu instid0(VALU_DEP_3) | instskip(NEXT) | instid1(VALU_DEP_1)
	v_dual_cndmask_b32 v2, 0, v2 :: v_dual_cndmask_b32 v1, 7, v1
	v_cmp_ne_u64_e32 vcc_lo, 0, v[1:2]
                                        ; implicit-def: $vgpr2
	s_delay_alu instid0(VALU_DEP_3) | instskip(NEXT) | instid1(SALU_CYCLE_1)
	s_or_b32 s3, s3, vcc_lo
	s_and_saveexec_b32 s55, s3
	s_delay_alu instid0(SALU_CYCLE_1)
	s_xor_b32 s3, exec_lo, s55
; %bb.21:                               ;   in Loop: Header=BB11_9 Depth=1
	v_min_i32_e32 v2, 15, v3
	s_delay_alu instid0(VALU_DEP_1) | instskip(NEXT) | instid1(VALU_DEP_1)
	v_lshl_or_b32 v2, v2, 3, v8
                                        ; implicit-def: $vgpr8
	v_and_or_b32 v2, v1, 7, v2
; %bb.22:                               ;   in Loop: Header=BB11_9 Depth=1
	s_and_not1_saveexec_b32 s3, s3
; %bb.23:                               ;   in Loop: Header=BB11_9 Depth=1
	v_mov_b32_e32 v2, v8
; %bb.24:                               ;   in Loop: Header=BB11_9 Depth=1
	s_or_b32 exec_lo, exec_lo, s3
.LBB11_25:                              ;   in Loop: Header=BB11_9 Depth=1
	s_delay_alu instid0(SALU_CYCLE_1)
	s_or_b32 exec_lo, exec_lo, s54
.LBB11_26:                              ;   in Loop: Header=BB11_9 Depth=1
	s_and_not1_saveexec_b32 s3, s53
	s_delay_alu instid0(SALU_CYCLE_1)
	s_or_b32 exec_lo, exec_lo, s3
                                        ; implicit-def: $vgpr3
.LBB11_27:                              ;   in Loop: Header=BB11_9 Depth=1
	s_and_not1_saveexec_b32 s3, s52
; %bb.28:                               ;   in Loop: Header=BB11_9 Depth=1
	v_cmp_eq_u64_e32 vcc_lo, 0, v[5:6]
	v_or_b32_e32 v1, 0x7f, v3
	s_delay_alu instid0(VALU_DEP_1)
	v_cndmask_b32_e32 v2, v1, v2, vcc_lo
; %bb.29:                               ;   in Loop: Header=BB11_9 Depth=1
	s_or_b32 exec_lo, exec_lo, s3
	v_add_co_u32 v1, vcc_lo, s4, v15
	v_add_co_ci_u32_e32 v4, vcc_lo, s6, v47, vcc_lo
	s_delay_alu instid0(VALU_DEP_2) | instskip(NEXT) | instid1(VALU_DEP_2)
	v_add_co_u32 v3, vcc_lo, v1, v36
	v_add_co_ci_u32_e32 v4, vcc_lo, 0, v4, vcc_lo
	global_store_b8 v[3:4], v2, off
.LBB11_30:                              ;   in Loop: Header=BB11_9 Depth=1
	s_or_b32 exec_lo, exec_lo, s51
	v_sub_nc_u32_e32 v16, s13, v19
	v_ashrrev_i32_e32 v20, 31, v19
	s_mov_b32 s51, exec_lo
	s_delay_alu instid0(VALU_DEP_2) | instskip(NEXT) | instid1(VALU_DEP_2)
	v_ashrrev_i32_e32 v1, 31, v16
	v_lshlrev_b64 v[21:22], 1, v[19:20]
	s_delay_alu instid0(VALU_DEP_2) | instskip(NEXT) | instid1(VALU_DEP_1)
	v_lshrrev_b32_e32 v1, 29, v1
	v_add_nc_u32_e32 v1, v16, v1
	s_delay_alu instid0(VALU_DEP_1) | instskip(NEXT) | instid1(VALU_DEP_1)
	v_ashrrev_i32_e32 v49, 3, v1
	v_cmpx_gt_i32_e64 v49, v36
	s_cbranch_execz .LBB11_177
; %bb.31:                               ;   in Loop: Header=BB11_9 Depth=1
	v_add_co_u32 v1, vcc_lo, v21, v13
	v_add_co_ci_u32_e32 v2, vcc_lo, v22, v14, vcc_lo
	v_add_co_u32 v23, vcc_lo, v9, v19
	v_add_co_ci_u32_e32 v24, vcc_lo, v10, v20, vcc_lo
	s_delay_alu instid0(VALU_DEP_4) | instskip(NEXT) | instid1(VALU_DEP_4)
	v_add_co_u32 v25, vcc_lo, v37, v1
	v_add_co_ci_u32_e32 v26, vcc_lo, v38, v2, vcc_lo
	v_mov_b32_e32 v50, v36
	s_mov_b32 s52, 0
	s_branch .LBB11_33
.LBB11_32:                              ;   in Loop: Header=BB11_33 Depth=2
	s_or_b32 exec_lo, exec_lo, s3
	v_lshlrev_b32_e32 v3, 16, v31
	v_lshlrev_b32_e32 v4, 16, v29
	;; [unrolled: 1-line block ×5, first 2 shown]
	v_and_b32_e32 v3, 0xff0000, v3
	v_perm_b32 v1, v1, v4, 0x4020c0c
	v_and_b32_e32 v4, 0xff, v30
	v_and_b32_e32 v27, 0xff, v27
	v_and_b32_e32 v2, 0xff00, v2
	v_or_b32_e32 v3, v5, v3
	v_and_or_b32 v1, 0xff00, v8, v1
	v_add_nc_u32_e32 v50, 32, v50
	s_delay_alu instid0(VALU_DEP_3) | instskip(NEXT) | instid1(VALU_DEP_3)
	v_or3_b32 v2, v3, v2, v4
	v_or_b32_e32 v1, v1, v27
	s_delay_alu instid0(VALU_DEP_3) | instskip(SKIP_2) | instid1(VALU_DEP_1)
	v_cmp_ge_i32_e32 vcc_lo, v50, v49
	global_store_b64 v[23:24], v[1:2], off
	v_add_co_u32 v23, s3, 0x100, v23
	v_add_co_ci_u32_e64 v24, s3, 0, v24, s3
	v_add_co_u32 v25, s3, 0x200, v25
	s_delay_alu instid0(VALU_DEP_1) | instskip(SKIP_1) | instid1(SALU_CYCLE_1)
	v_add_co_ci_u32_e64 v26, s3, 0, v26, s3
	s_or_b32 s52, vcc_lo, s52
	s_and_not1_b32 exec_lo, exec_lo, s52
	s_cbranch_execz .LBB11_177
.LBB11_33:                              ;   Parent Loop BB11_9 Depth=1
                                        ; =>  This Inner Loop Header: Depth=2
	global_load_b128 v[1:4], v[25:26], off
	v_mov_b32_e32 v31, v6
	s_mov_b32 s3, exec_lo
	s_waitcnt vmcnt(0)
	v_cvt_f32_f16_e32 v5, v1
	s_delay_alu instid0(VALU_DEP_1) | instskip(NEXT) | instid1(VALU_DEP_1)
	v_div_scale_f32 v8, null, v48, v48, v5
	v_rcp_f32_e32 v27, v8
	s_waitcnt_depctr 0xfff
	v_fma_f32 v28, -v8, v27, 1.0
	s_delay_alu instid0(VALU_DEP_1) | instskip(SKIP_1) | instid1(VALU_DEP_1)
	v_fmac_f32_e32 v27, v28, v27
	v_div_scale_f32 v28, vcc_lo, v5, v48, v5
	v_mul_f32_e32 v29, v28, v27
	s_delay_alu instid0(VALU_DEP_1) | instskip(NEXT) | instid1(VALU_DEP_1)
	v_fma_f32 v30, -v8, v29, v28
	v_fmac_f32_e32 v29, v30, v27
	s_delay_alu instid0(VALU_DEP_1) | instskip(NEXT) | instid1(VALU_DEP_1)
	v_fma_f32 v8, -v8, v29, v28
	v_div_fmas_f32 v8, v8, v27, v29
	s_delay_alu instid0(VALU_DEP_1) | instskip(NEXT) | instid1(VALU_DEP_1)
	v_div_fixup_f32 v5, v8, v48, v5
	v_cvt_f16_f32_e32 v5, v5
	s_delay_alu instid0(VALU_DEP_1) | instskip(NEXT) | instid1(VALU_DEP_1)
	v_cvt_f32_f16_e32 v29, v5
	v_lshrrev_b32_e32 v28, 24, v29
	v_and_b32_e32 v30, 0x7f800000, v29
	v_and_b32_e32 v5, 0x7fffff, v29
	s_delay_alu instid0(VALU_DEP_3) | instskip(NEXT) | instid1(VALU_DEP_1)
	v_and_b32_e32 v8, 0x80, v28
	v_or_b32_e32 v27, 0x7e, v8
	s_delay_alu instid0(VALU_DEP_4)
	v_cmpx_ne_u64_e32 0x7f800000, v[30:31]
	s_xor_b32 s53, exec_lo, s3
	s_cbranch_execz .LBB11_49
; %bb.34:                               ;   in Loop: Header=BB11_33 Depth=2
	v_dual_mov_b32 v31, v6 :: v_dual_and_b32 v30, 0x7fffffff, v29
	s_mov_b32 s3, exec_lo
	s_delay_alu instid0(VALU_DEP_1)
	v_cmpx_gt_u64_e32 0x43e00001, v[30:31]
	s_xor_b32 s54, exec_lo, s3
	s_cbranch_execz .LBB11_48
; %bb.35:                               ;   in Loop: Header=BB11_33 Depth=2
	s_mov_b32 s55, exec_lo
	v_mov_b32_e32 v27, 0
	v_mov_b32_e32 v28, 0
	v_cmpx_ne_u32_e32 0, v29
	s_cbranch_execz .LBB11_47
; %bb.36:                               ;   in Loop: Header=BB11_33 Depth=2
	v_bfe_u32 v31, v29, 23, 8
	v_or_b32_e32 v29, 0x800000, v5
	s_delay_alu instid0(VALU_DEP_2) | instskip(SKIP_1) | instid1(VALU_DEP_2)
	v_sub_nc_u32_e32 v27, 0x79, v31
	v_cmp_gt_u32_e32 vcc_lo, 0x7a, v31
	v_cndmask_b32_e32 v27, 0, v27, vcc_lo
	v_cmp_eq_u32_e32 vcc_lo, 0, v31
	s_delay_alu instid0(VALU_DEP_2) | instskip(SKIP_1) | instid1(VALU_DEP_2)
	v_cndmask_b32_e64 v32, v27, 0x78, vcc_lo
	v_cndmask_b32_e32 v5, v29, v5, vcc_lo
	v_add_nc_u32_e32 v27, 20, v32
	v_add_nc_u32_e32 v29, 19, v32
	s_delay_alu instid0(VALU_DEP_2) | instskip(NEXT) | instid1(VALU_DEP_2)
	v_lshlrev_b64 v[27:28], v27, -1
	v_lshlrev_b64 v[29:30], v29, 1
	s_delay_alu instid0(VALU_DEP_2) | instskip(NEXT) | instid1(VALU_DEP_3)
	v_not_b32_e32 v28, v28
	v_not_b32_e32 v27, v27
	s_delay_alu instid0(VALU_DEP_2) | instskip(NEXT) | instid1(VALU_DEP_2)
	v_and_b32_e32 v34, 0, v28
	v_and_b32_e32 v33, v5, v27
	v_lshrrev_b64 v[27:28], v32, v[5:6]
	s_delay_alu instid0(VALU_DEP_2) | instskip(NEXT) | instid1(VALU_DEP_2)
	v_cmp_eq_u64_e64 s3, v[33:34], v[29:30]
	v_dual_mov_b32 v30, v28 :: v_dual_mov_b32 v29, v27
	s_delay_alu instid0(VALU_DEP_2)
	s_and_saveexec_b32 s56, s3
; %bb.37:                               ;   in Loop: Header=BB11_33 Depth=2
	v_bfe_u32 v5, v27, 20, 1
	s_delay_alu instid0(VALU_DEP_1) | instskip(NEXT) | instid1(VALU_DEP_1)
	v_add_co_u32 v5, s3, v27, v5
	v_add_co_u32 v29, s3, v5, -1
; %bb.38:                               ;   in Loop: Header=BB11_33 Depth=2
	s_or_b32 exec_lo, exec_lo, s56
	v_add_nc_u32_e32 v5, 0xffffff81, v31
	v_lshrrev_b32_e32 v30, 23, v27
	s_mov_b32 s3, exec_lo
	s_delay_alu instid0(VALU_DEP_2) | instskip(NEXT) | instid1(VALU_DEP_1)
	v_cndmask_b32_e64 v5, v5, 0xffffff82, vcc_lo
	v_add3_u32 v30, v32, v5, v30
	v_and_b32_e32 v5, 0xfffff, v29
	s_delay_alu instid0(VALU_DEP_2) | instskip(NEXT) | instid1(VALU_DEP_2)
	v_add_nc_u32_e32 v29, 6, v30
	v_add_co_u32 v27, vcc_lo, v5, v27
	v_add_co_ci_u32_e32 v28, vcc_lo, 0, v28, vcc_lo
                                        ; implicit-def: $vgpr5
	s_delay_alu instid0(VALU_DEP_3)
	v_cmpx_ne_u32_e32 0, v29
	s_xor_b32 s3, exec_lo, s3
; %bb.39:                               ;   in Loop: Header=BB11_33 Depth=2
	s_delay_alu instid0(VALU_DEP_2) | instskip(SKIP_1) | instid1(VALU_DEP_1)
	v_cmp_lt_u64_e32 vcc_lo, 0xffffff, v[27:28]
	v_add_nc_u32_e32 v5, 7, v30
	v_cndmask_b32_e32 v5, v29, v5, vcc_lo
	v_cndmask_b32_e64 v29, 0, 1, vcc_lo
	s_delay_alu instid0(VALU_DEP_1)
	v_lshrrev_b64 v[27:28], v29, v[27:28]
; %bb.40:                               ;   in Loop: Header=BB11_33 Depth=2
	s_and_not1_saveexec_b32 s3, s3
; %bb.41:                               ;   in Loop: Header=BB11_33 Depth=2
	s_delay_alu instid0(VALU_DEP_1)
	v_bfe_u32 v5, v27, 23, 1
; %bb.42:                               ;   in Loop: Header=BB11_33 Depth=2
	s_or_b32 exec_lo, exec_lo, s3
	s_delay_alu instid0(VALU_DEP_2) | instskip(NEXT) | instid1(VALU_DEP_2)
	v_lshrrev_b64 v[27:28], 20, v[27:28]
	v_cmp_gt_i32_e32 vcc_lo, 16, v5
	v_cmp_ne_u32_e64 s3, 0, v5
	s_delay_alu instid0(VALU_DEP_3) | instskip(NEXT) | instid1(VALU_DEP_1)
	v_dual_cndmask_b32 v30, 0, v28 :: v_dual_cndmask_b32 v29, 7, v27
                                        ; implicit-def: $vgpr27_vgpr28
	v_cmp_ne_u64_e32 vcc_lo, 0, v[29:30]
	s_delay_alu instid0(VALU_DEP_3) | instskip(NEXT) | instid1(SALU_CYCLE_1)
	s_or_b32 s3, s3, vcc_lo
	s_and_saveexec_b32 s56, s3
	s_delay_alu instid0(SALU_CYCLE_1)
	s_xor_b32 s3, exec_lo, s56
; %bb.43:                               ;   in Loop: Header=BB11_33 Depth=2
	v_min_i32_e32 v5, 15, v5
	s_delay_alu instid0(VALU_DEP_1) | instskip(NEXT) | instid1(VALU_DEP_1)
	v_lshl_or_b32 v5, v5, 3, v8
                                        ; implicit-def: $vgpr8
	v_and_or_b32 v27, v29, 7, v5
; %bb.44:                               ;   in Loop: Header=BB11_33 Depth=2
	s_and_not1_saveexec_b32 s3, s3
; %bb.45:                               ;   in Loop: Header=BB11_33 Depth=2
	v_dual_mov_b32 v28, v9 :: v_dual_mov_b32 v27, v8
; %bb.46:                               ;   in Loop: Header=BB11_33 Depth=2
	s_or_b32 exec_lo, exec_lo, s3
.LBB11_47:                              ;   in Loop: Header=BB11_33 Depth=2
	s_delay_alu instid0(SALU_CYCLE_1)
	s_or_b32 exec_lo, exec_lo, s55
.LBB11_48:                              ;   in Loop: Header=BB11_33 Depth=2
	s_and_not1_saveexec_b32 s3, s54
	s_delay_alu instid0(SALU_CYCLE_1)
	s_or_b32 exec_lo, exec_lo, s3
                                        ; implicit-def: $vgpr28
.LBB11_49:                              ;   in Loop: Header=BB11_33 Depth=2
	s_and_not1_saveexec_b32 s3, s53
; %bb.50:                               ;   in Loop: Header=BB11_33 Depth=2
	v_cmp_eq_u64_e32 vcc_lo, 0, v[5:6]
	v_or_b32_e32 v8, 0x7f, v28
	s_delay_alu instid0(VALU_DEP_1)
	v_cndmask_b32_e32 v27, v8, v27, vcc_lo
; %bb.51:                               ;   in Loop: Header=BB11_33 Depth=2
	s_or_b32 exec_lo, exec_lo, s3
	v_lshrrev_b32_e32 v1, 16, v1
	s_mov_b32 s3, exec_lo
	v_mov_b32_e32 v31, v6
	s_delay_alu instid0(VALU_DEP_2) | instskip(NEXT) | instid1(VALU_DEP_1)
	v_cvt_f32_f16_e32 v1, v1
	v_div_scale_f32 v5, null, v48, v48, v1
	s_delay_alu instid0(VALU_DEP_1) | instskip(SKIP_2) | instid1(VALU_DEP_1)
	v_rcp_f32_e32 v8, v5
	s_waitcnt_depctr 0xfff
	v_fma_f32 v28, -v5, v8, 1.0
	v_fmac_f32_e32 v8, v28, v8
	v_div_scale_f32 v28, vcc_lo, v1, v48, v1
	s_delay_alu instid0(VALU_DEP_1) | instskip(NEXT) | instid1(VALU_DEP_1)
	v_mul_f32_e32 v29, v28, v8
	v_fma_f32 v30, -v5, v29, v28
	s_delay_alu instid0(VALU_DEP_1) | instskip(NEXT) | instid1(VALU_DEP_1)
	v_fmac_f32_e32 v29, v30, v8
	v_fma_f32 v5, -v5, v29, v28
	s_delay_alu instid0(VALU_DEP_1) | instskip(NEXT) | instid1(VALU_DEP_1)
	v_div_fmas_f32 v5, v5, v8, v29
	v_div_fixup_f32 v1, v5, v48, v1
	s_delay_alu instid0(VALU_DEP_1) | instskip(NEXT) | instid1(VALU_DEP_1)
	v_cvt_f16_f32_e32 v1, v1
	v_cvt_f32_f16_e32 v8, v1
	s_delay_alu instid0(VALU_DEP_1) | instskip(SKIP_2) | instid1(VALU_DEP_3)
	v_lshrrev_b32_e32 v29, 24, v8
	v_and_b32_e32 v30, 0x7f800000, v8
	v_and_b32_e32 v5, 0x7fffff, v8
	;; [unrolled: 1-line block ×3, first 2 shown]
	s_delay_alu instid0(VALU_DEP_1) | instskip(NEXT) | instid1(VALU_DEP_4)
	v_or_b32_e32 v28, 0x7e, v1
	v_cmpx_ne_u64_e32 0x7f800000, v[30:31]
	s_xor_b32 s53, exec_lo, s3
	s_cbranch_execz .LBB11_67
; %bb.52:                               ;   in Loop: Header=BB11_33 Depth=2
	v_dual_mov_b32 v30, v6 :: v_dual_and_b32 v29, 0x7fffffff, v8
	s_mov_b32 s3, exec_lo
	s_delay_alu instid0(VALU_DEP_1)
	v_cmpx_gt_u64_e32 0x43e00001, v[29:30]
	s_xor_b32 s54, exec_lo, s3
	s_cbranch_execz .LBB11_66
; %bb.53:                               ;   in Loop: Header=BB11_33 Depth=2
	s_mov_b32 s55, exec_lo
	v_mov_b32_e32 v28, 0
	v_mov_b32_e32 v29, 0
	v_cmpx_ne_u32_e32 0, v8
	s_cbranch_execz .LBB11_65
; %bb.54:                               ;   in Loop: Header=BB11_33 Depth=2
	v_bfe_u32 v8, v8, 23, 8
	v_or_b32_e32 v30, 0x800000, v5
	s_delay_alu instid0(VALU_DEP_2) | instskip(SKIP_1) | instid1(VALU_DEP_2)
	v_sub_nc_u32_e32 v28, 0x79, v8
	v_cmp_gt_u32_e32 vcc_lo, 0x7a, v8
	v_cndmask_b32_e32 v28, 0, v28, vcc_lo
	v_cmp_eq_u32_e32 vcc_lo, 0, v8
	v_cndmask_b32_e32 v5, v30, v5, vcc_lo
	s_delay_alu instid0(VALU_DEP_3) | instskip(NEXT) | instid1(VALU_DEP_1)
	v_cndmask_b32_e64 v32, v28, 0x78, vcc_lo
	v_add_nc_u32_e32 v28, 20, v32
	v_add_nc_u32_e32 v30, 19, v32
	s_delay_alu instid0(VALU_DEP_2) | instskip(NEXT) | instid1(VALU_DEP_2)
	v_lshlrev_b64 v[28:29], v28, -1
	v_lshlrev_b64 v[30:31], v30, 1
	s_delay_alu instid0(VALU_DEP_2) | instskip(NEXT) | instid1(VALU_DEP_3)
	v_not_b32_e32 v29, v29
	v_not_b32_e32 v28, v28
	s_delay_alu instid0(VALU_DEP_2) | instskip(NEXT) | instid1(VALU_DEP_2)
	v_and_b32_e32 v34, 0, v29
	v_and_b32_e32 v33, v5, v28
	v_lshrrev_b64 v[28:29], v32, v[5:6]
	s_delay_alu instid0(VALU_DEP_2) | instskip(NEXT) | instid1(VALU_DEP_2)
	v_cmp_eq_u64_e64 s3, v[33:34], v[30:31]
	v_dual_mov_b32 v31, v29 :: v_dual_mov_b32 v30, v28
	s_delay_alu instid0(VALU_DEP_2)
	s_and_saveexec_b32 s56, s3
; %bb.55:                               ;   in Loop: Header=BB11_33 Depth=2
	v_bfe_u32 v5, v28, 20, 1
	s_delay_alu instid0(VALU_DEP_1) | instskip(NEXT) | instid1(VALU_DEP_1)
	v_add_co_u32 v5, s3, v28, v5
	v_add_co_u32 v30, s3, v5, -1
; %bb.56:                               ;   in Loop: Header=BB11_33 Depth=2
	s_or_b32 exec_lo, exec_lo, s56
	v_add_nc_u32_e32 v5, 0xffffff81, v8
	v_lshrrev_b32_e32 v8, 23, v28
	s_mov_b32 s3, exec_lo
	s_delay_alu instid0(VALU_DEP_2) | instskip(NEXT) | instid1(VALU_DEP_1)
	v_cndmask_b32_e64 v5, v5, 0xffffff82, vcc_lo
	v_add3_u32 v8, v32, v5, v8
	v_and_b32_e32 v5, 0xfffff, v30
	s_delay_alu instid0(VALU_DEP_2) | instskip(NEXT) | instid1(VALU_DEP_2)
	v_add_nc_u32_e32 v30, 6, v8
	v_add_co_u32 v28, vcc_lo, v5, v28
	v_add_co_ci_u32_e32 v29, vcc_lo, 0, v29, vcc_lo
                                        ; implicit-def: $vgpr5
	s_delay_alu instid0(VALU_DEP_3)
	v_cmpx_ne_u32_e32 0, v30
	s_xor_b32 s3, exec_lo, s3
; %bb.57:                               ;   in Loop: Header=BB11_33 Depth=2
	s_delay_alu instid0(VALU_DEP_2) | instskip(SKIP_2) | instid1(VALU_DEP_2)
	v_cmp_lt_u64_e32 vcc_lo, 0xffffff, v[28:29]
	v_add_nc_u32_e32 v5, 7, v8
	v_cndmask_b32_e64 v8, 0, 1, vcc_lo
	v_cndmask_b32_e32 v5, v30, v5, vcc_lo
	s_delay_alu instid0(VALU_DEP_2)
	v_lshrrev_b64 v[28:29], v8, v[28:29]
; %bb.58:                               ;   in Loop: Header=BB11_33 Depth=2
	s_and_not1_saveexec_b32 s3, s3
; %bb.59:                               ;   in Loop: Header=BB11_33 Depth=2
	s_delay_alu instid0(VALU_DEP_1)
	v_bfe_u32 v5, v28, 23, 1
; %bb.60:                               ;   in Loop: Header=BB11_33 Depth=2
	s_or_b32 exec_lo, exec_lo, s3
	s_delay_alu instid0(VALU_DEP_2) | instskip(NEXT) | instid1(VALU_DEP_2)
	v_lshrrev_b64 v[28:29], 20, v[28:29]
	v_cmp_gt_i32_e32 vcc_lo, 16, v5
	v_cmp_ne_u32_e64 s3, 0, v5
	s_delay_alu instid0(VALU_DEP_3) | instskip(NEXT) | instid1(VALU_DEP_1)
	v_dual_cndmask_b32 v31, 0, v29 :: v_dual_cndmask_b32 v30, 7, v28
                                        ; implicit-def: $vgpr28_vgpr29
	v_cmp_ne_u64_e32 vcc_lo, 0, v[30:31]
	s_delay_alu instid0(VALU_DEP_3) | instskip(NEXT) | instid1(SALU_CYCLE_1)
	s_or_b32 s3, s3, vcc_lo
	s_and_saveexec_b32 s56, s3
	s_delay_alu instid0(SALU_CYCLE_1)
	s_xor_b32 s3, exec_lo, s56
; %bb.61:                               ;   in Loop: Header=BB11_33 Depth=2
	v_min_i32_e32 v5, 15, v5
	s_delay_alu instid0(VALU_DEP_1) | instskip(NEXT) | instid1(VALU_DEP_1)
	v_lshl_or_b32 v1, v5, 3, v1
	v_and_or_b32 v28, v30, 7, v1
                                        ; implicit-def: $vgpr1
; %bb.62:                               ;   in Loop: Header=BB11_33 Depth=2
	s_and_not1_saveexec_b32 s3, s3
; %bb.63:                               ;   in Loop: Header=BB11_33 Depth=2
	v_dual_mov_b32 v29, v2 :: v_dual_mov_b32 v28, v1
; %bb.64:                               ;   in Loop: Header=BB11_33 Depth=2
	s_or_b32 exec_lo, exec_lo, s3
.LBB11_65:                              ;   in Loop: Header=BB11_33 Depth=2
	s_delay_alu instid0(SALU_CYCLE_1)
	s_or_b32 exec_lo, exec_lo, s55
.LBB11_66:                              ;   in Loop: Header=BB11_33 Depth=2
	s_and_not1_saveexec_b32 s3, s54
	s_delay_alu instid0(SALU_CYCLE_1)
	s_or_b32 exec_lo, exec_lo, s3
                                        ; implicit-def: $vgpr29
.LBB11_67:                              ;   in Loop: Header=BB11_33 Depth=2
	s_and_not1_saveexec_b32 s3, s53
; %bb.68:                               ;   in Loop: Header=BB11_33 Depth=2
	v_cmp_eq_u64_e32 vcc_lo, 0, v[5:6]
	v_or_b32_e32 v1, 0x7f, v29
	s_delay_alu instid0(VALU_DEP_1)
	v_cndmask_b32_e32 v28, v1, v28, vcc_lo
; %bb.69:                               ;   in Loop: Header=BB11_33 Depth=2
	s_or_b32 exec_lo, exec_lo, s3
	v_cvt_f32_f16_e32 v1, v2
	s_mov_b32 s3, exec_lo
	v_mov_b32_e32 v32, v6
	s_delay_alu instid0(VALU_DEP_2) | instskip(NEXT) | instid1(VALU_DEP_1)
	v_div_scale_f32 v5, null, v48, v48, v1
	v_rcp_f32_e32 v8, v5
	s_waitcnt_depctr 0xfff
	v_fma_f32 v29, -v5, v8, 1.0
	s_delay_alu instid0(VALU_DEP_1) | instskip(SKIP_1) | instid1(VALU_DEP_1)
	v_fmac_f32_e32 v8, v29, v8
	v_div_scale_f32 v29, vcc_lo, v1, v48, v1
	v_mul_f32_e32 v30, v29, v8
	s_delay_alu instid0(VALU_DEP_1) | instskip(NEXT) | instid1(VALU_DEP_1)
	v_fma_f32 v31, -v5, v30, v29
	v_fmac_f32_e32 v30, v31, v8
	s_delay_alu instid0(VALU_DEP_1) | instskip(NEXT) | instid1(VALU_DEP_1)
	v_fma_f32 v5, -v5, v30, v29
	v_div_fmas_f32 v5, v5, v8, v30
	s_delay_alu instid0(VALU_DEP_1) | instskip(NEXT) | instid1(VALU_DEP_1)
	v_div_fixup_f32 v1, v5, v48, v1
	v_cvt_f16_f32_e32 v1, v1
	s_delay_alu instid0(VALU_DEP_1) | instskip(NEXT) | instid1(VALU_DEP_1)
	v_cvt_f32_f16_e32 v8, v1
	v_lshrrev_b32_e32 v30, 24, v8
	v_and_b32_e32 v31, 0x7f800000, v8
	v_and_b32_e32 v5, 0x7fffff, v8
	s_delay_alu instid0(VALU_DEP_3) | instskip(NEXT) | instid1(VALU_DEP_1)
	v_and_b32_e32 v1, 0x80, v30
	v_or_b32_e32 v29, 0x7e, v1
	s_delay_alu instid0(VALU_DEP_4)
	v_cmpx_ne_u64_e32 0x7f800000, v[31:32]
	s_xor_b32 s53, exec_lo, s3
	s_cbranch_execz .LBB11_85
; %bb.70:                               ;   in Loop: Header=BB11_33 Depth=2
	v_dual_mov_b32 v31, v6 :: v_dual_and_b32 v30, 0x7fffffff, v8
	s_mov_b32 s3, exec_lo
	s_delay_alu instid0(VALU_DEP_1)
	v_cmpx_gt_u64_e32 0x43e00001, v[30:31]
	s_xor_b32 s54, exec_lo, s3
	s_cbranch_execz .LBB11_84
; %bb.71:                               ;   in Loop: Header=BB11_33 Depth=2
	s_mov_b32 s55, exec_lo
	v_mov_b32_e32 v29, 0
	v_mov_b32_e32 v30, 0
	v_cmpx_ne_u32_e32 0, v8
	s_cbranch_execz .LBB11_83
; %bb.72:                               ;   in Loop: Header=BB11_33 Depth=2
	v_bfe_u32 v8, v8, 23, 8
	v_or_b32_e32 v31, 0x800000, v5
	s_delay_alu instid0(VALU_DEP_2) | instskip(SKIP_1) | instid1(VALU_DEP_2)
	v_sub_nc_u32_e32 v29, 0x79, v8
	v_cmp_gt_u32_e32 vcc_lo, 0x7a, v8
	v_cndmask_b32_e32 v29, 0, v29, vcc_lo
	v_cmp_eq_u32_e32 vcc_lo, 0, v8
	s_delay_alu instid0(VALU_DEP_2) | instskip(SKIP_1) | instid1(VALU_DEP_2)
	v_cndmask_b32_e64 v33, v29, 0x78, vcc_lo
	v_cndmask_b32_e32 v5, v31, v5, vcc_lo
	v_add_nc_u32_e32 v29, 20, v33
	v_add_nc_u32_e32 v31, 19, v33
	s_delay_alu instid0(VALU_DEP_2) | instskip(NEXT) | instid1(VALU_DEP_2)
	v_lshlrev_b64 v[29:30], v29, -1
	v_lshlrev_b64 v[31:32], v31, 1
	s_delay_alu instid0(VALU_DEP_2) | instskip(NEXT) | instid1(VALU_DEP_3)
	v_not_b32_e32 v30, v30
	v_not_b32_e32 v29, v29
	s_delay_alu instid0(VALU_DEP_2) | instskip(NEXT) | instid1(VALU_DEP_2)
	v_and_b32_e32 v52, 0, v30
	v_and_b32_e32 v51, v5, v29
	v_lshrrev_b64 v[29:30], v33, v[5:6]
	s_delay_alu instid0(VALU_DEP_2) | instskip(NEXT) | instid1(VALU_DEP_2)
	v_cmp_eq_u64_e64 s3, v[51:52], v[31:32]
	v_dual_mov_b32 v32, v30 :: v_dual_mov_b32 v31, v29
	s_delay_alu instid0(VALU_DEP_2)
	s_and_saveexec_b32 s56, s3
; %bb.73:                               ;   in Loop: Header=BB11_33 Depth=2
	v_bfe_u32 v5, v29, 20, 1
	s_delay_alu instid0(VALU_DEP_1) | instskip(NEXT) | instid1(VALU_DEP_1)
	v_add_co_u32 v5, s3, v29, v5
	v_add_co_u32 v31, s3, v5, -1
; %bb.74:                               ;   in Loop: Header=BB11_33 Depth=2
	s_or_b32 exec_lo, exec_lo, s56
	v_add_nc_u32_e32 v5, 0xffffff81, v8
	v_lshrrev_b32_e32 v8, 23, v29
	s_mov_b32 s3, exec_lo
	s_delay_alu instid0(VALU_DEP_2) | instskip(NEXT) | instid1(VALU_DEP_1)
	v_cndmask_b32_e64 v5, v5, 0xffffff82, vcc_lo
	v_add3_u32 v8, v33, v5, v8
	v_and_b32_e32 v5, 0xfffff, v31
	s_delay_alu instid0(VALU_DEP_2) | instskip(NEXT) | instid1(VALU_DEP_2)
	v_add_nc_u32_e32 v31, 6, v8
	v_add_co_u32 v29, vcc_lo, v5, v29
	v_add_co_ci_u32_e32 v30, vcc_lo, 0, v30, vcc_lo
                                        ; implicit-def: $vgpr5
	s_delay_alu instid0(VALU_DEP_3)
	v_cmpx_ne_u32_e32 0, v31
	s_xor_b32 s3, exec_lo, s3
; %bb.75:                               ;   in Loop: Header=BB11_33 Depth=2
	s_delay_alu instid0(VALU_DEP_2) | instskip(SKIP_2) | instid1(VALU_DEP_2)
	v_cmp_lt_u64_e32 vcc_lo, 0xffffff, v[29:30]
	v_add_nc_u32_e32 v5, 7, v8
	v_cndmask_b32_e64 v8, 0, 1, vcc_lo
	v_cndmask_b32_e32 v5, v31, v5, vcc_lo
	s_delay_alu instid0(VALU_DEP_2)
	v_lshrrev_b64 v[29:30], v8, v[29:30]
; %bb.76:                               ;   in Loop: Header=BB11_33 Depth=2
	s_and_not1_saveexec_b32 s3, s3
; %bb.77:                               ;   in Loop: Header=BB11_33 Depth=2
	s_delay_alu instid0(VALU_DEP_1)
	v_bfe_u32 v5, v29, 23, 1
; %bb.78:                               ;   in Loop: Header=BB11_33 Depth=2
	s_or_b32 exec_lo, exec_lo, s3
	s_delay_alu instid0(VALU_DEP_2) | instskip(NEXT) | instid1(VALU_DEP_2)
	v_lshrrev_b64 v[29:30], 20, v[29:30]
	v_cmp_gt_i32_e32 vcc_lo, 16, v5
	v_cmp_ne_u32_e64 s3, 0, v5
	s_delay_alu instid0(VALU_DEP_3) | instskip(NEXT) | instid1(VALU_DEP_1)
	v_dual_cndmask_b32 v32, 0, v30 :: v_dual_cndmask_b32 v31, 7, v29
                                        ; implicit-def: $vgpr29_vgpr30
	v_cmp_ne_u64_e32 vcc_lo, 0, v[31:32]
	s_delay_alu instid0(VALU_DEP_3) | instskip(NEXT) | instid1(SALU_CYCLE_1)
	s_or_b32 s3, s3, vcc_lo
	s_and_saveexec_b32 s56, s3
	s_delay_alu instid0(SALU_CYCLE_1)
	s_xor_b32 s3, exec_lo, s56
; %bb.79:                               ;   in Loop: Header=BB11_33 Depth=2
	v_min_i32_e32 v5, 15, v5
	s_delay_alu instid0(VALU_DEP_1) | instskip(NEXT) | instid1(VALU_DEP_1)
	v_lshl_or_b32 v1, v5, 3, v1
	v_and_or_b32 v29, v31, 7, v1
                                        ; implicit-def: $vgpr1
; %bb.80:                               ;   in Loop: Header=BB11_33 Depth=2
	s_and_not1_saveexec_b32 s3, s3
; %bb.81:                               ;   in Loop: Header=BB11_33 Depth=2
	v_dual_mov_b32 v30, v2 :: v_dual_mov_b32 v29, v1
; %bb.82:                               ;   in Loop: Header=BB11_33 Depth=2
	s_or_b32 exec_lo, exec_lo, s3
.LBB11_83:                              ;   in Loop: Header=BB11_33 Depth=2
	s_delay_alu instid0(SALU_CYCLE_1)
	s_or_b32 exec_lo, exec_lo, s55
.LBB11_84:                              ;   in Loop: Header=BB11_33 Depth=2
	s_and_not1_saveexec_b32 s3, s54
	s_delay_alu instid0(SALU_CYCLE_1)
	s_or_b32 exec_lo, exec_lo, s3
                                        ; implicit-def: $vgpr30
.LBB11_85:                              ;   in Loop: Header=BB11_33 Depth=2
	s_and_not1_saveexec_b32 s3, s53
; %bb.86:                               ;   in Loop: Header=BB11_33 Depth=2
	v_cmp_eq_u64_e32 vcc_lo, 0, v[5:6]
	v_or_b32_e32 v1, 0x7f, v30
	s_delay_alu instid0(VALU_DEP_1)
	v_cndmask_b32_e32 v29, v1, v29, vcc_lo
; %bb.87:                               ;   in Loop: Header=BB11_33 Depth=2
	s_or_b32 exec_lo, exec_lo, s3
	v_lshrrev_b32_e32 v1, 16, v2
	s_mov_b32 s3, exec_lo
	v_mov_b32_e32 v32, v6
	s_delay_alu instid0(VALU_DEP_2) | instskip(NEXT) | instid1(VALU_DEP_1)
	v_cvt_f32_f16_e32 v1, v1
	v_div_scale_f32 v2, null, v48, v48, v1
	s_delay_alu instid0(VALU_DEP_1) | instskip(SKIP_2) | instid1(VALU_DEP_1)
	v_rcp_f32_e32 v5, v2
	s_waitcnt_depctr 0xfff
	v_fma_f32 v8, -v2, v5, 1.0
	v_fmac_f32_e32 v5, v8, v5
	v_div_scale_f32 v8, vcc_lo, v1, v48, v1
	s_delay_alu instid0(VALU_DEP_1) | instskip(NEXT) | instid1(VALU_DEP_1)
	v_mul_f32_e32 v30, v8, v5
	v_fma_f32 v31, -v2, v30, v8
	s_delay_alu instid0(VALU_DEP_1) | instskip(NEXT) | instid1(VALU_DEP_1)
	v_fmac_f32_e32 v30, v31, v5
	v_fma_f32 v2, -v2, v30, v8
	s_delay_alu instid0(VALU_DEP_1) | instskip(NEXT) | instid1(VALU_DEP_1)
	v_div_fmas_f32 v2, v2, v5, v30
	v_div_fixup_f32 v1, v2, v48, v1
	s_delay_alu instid0(VALU_DEP_1) | instskip(NEXT) | instid1(VALU_DEP_1)
	v_cvt_f16_f32_e32 v1, v1
	v_cvt_f32_f16_e32 v30, v1
	s_delay_alu instid0(VALU_DEP_1) | instskip(SKIP_2) | instid1(VALU_DEP_3)
	v_lshrrev_b32_e32 v2, 24, v30
	v_and_b32_e32 v31, 0x7f800000, v30
	v_and_b32_e32 v5, 0x7fffff, v30
	v_and_b32_e32 v8, 0x80, v2
	s_delay_alu instid0(VALU_DEP_1) | instskip(NEXT) | instid1(VALU_DEP_4)
	v_or_b32_e32 v1, 0x7e, v8
	v_cmpx_ne_u64_e32 0x7f800000, v[31:32]
	s_xor_b32 s53, exec_lo, s3
	s_cbranch_execz .LBB11_103
; %bb.88:                               ;   in Loop: Header=BB11_33 Depth=2
	v_dual_mov_b32 v32, v6 :: v_dual_and_b32 v31, 0x7fffffff, v30
	s_mov_b32 s3, exec_lo
	s_delay_alu instid0(VALU_DEP_1)
	v_cmpx_gt_u64_e32 0x43e00001, v[31:32]
	s_xor_b32 s54, exec_lo, s3
	s_cbranch_execz .LBB11_102
; %bb.89:                               ;   in Loop: Header=BB11_33 Depth=2
	s_mov_b32 s55, exec_lo
	v_mov_b32_e32 v1, 0
	v_mov_b32_e32 v2, 0
	v_cmpx_ne_u32_e32 0, v30
	s_cbranch_execz .LBB11_101
; %bb.90:                               ;   in Loop: Header=BB11_33 Depth=2
	v_bfe_u32 v32, v30, 23, 8
	v_or_b32_e32 v30, 0x800000, v5
	s_delay_alu instid0(VALU_DEP_2) | instskip(SKIP_1) | instid1(VALU_DEP_2)
	v_sub_nc_u32_e32 v1, 0x79, v32
	v_cmp_gt_u32_e32 vcc_lo, 0x7a, v32
	v_cndmask_b32_e32 v1, 0, v1, vcc_lo
	v_cmp_eq_u32_e32 vcc_lo, 0, v32
	s_delay_alu instid0(VALU_DEP_2) | instskip(SKIP_1) | instid1(VALU_DEP_2)
	v_cndmask_b32_e64 v33, v1, 0x78, vcc_lo
	v_cndmask_b32_e32 v5, v30, v5, vcc_lo
	v_add_nc_u32_e32 v1, 20, v33
	v_add_nc_u32_e32 v30, 19, v33
	s_delay_alu instid0(VALU_DEP_2) | instskip(NEXT) | instid1(VALU_DEP_2)
	v_lshlrev_b64 v[1:2], v1, -1
	v_lshlrev_b64 v[30:31], v30, 1
	s_delay_alu instid0(VALU_DEP_2) | instskip(NEXT) | instid1(VALU_DEP_3)
	v_not_b32_e32 v2, v2
	v_not_b32_e32 v1, v1
	s_delay_alu instid0(VALU_DEP_2) | instskip(NEXT) | instid1(VALU_DEP_2)
	v_and_b32_e32 v52, 0, v2
	v_and_b32_e32 v51, v5, v1
	v_lshrrev_b64 v[1:2], v33, v[5:6]
	s_delay_alu instid0(VALU_DEP_2) | instskip(NEXT) | instid1(VALU_DEP_2)
	v_cmp_eq_u64_e64 s3, v[51:52], v[30:31]
	v_dual_mov_b32 v31, v2 :: v_dual_mov_b32 v30, v1
	s_delay_alu instid0(VALU_DEP_2)
	s_and_saveexec_b32 s56, s3
; %bb.91:                               ;   in Loop: Header=BB11_33 Depth=2
	v_bfe_u32 v5, v1, 20, 1
	s_delay_alu instid0(VALU_DEP_1) | instskip(NEXT) | instid1(VALU_DEP_1)
	v_add_co_u32 v5, s3, v1, v5
	v_add_co_u32 v30, s3, v5, -1
; %bb.92:                               ;   in Loop: Header=BB11_33 Depth=2
	s_or_b32 exec_lo, exec_lo, s56
	v_add_nc_u32_e32 v5, 0xffffff81, v32
	v_lshrrev_b32_e32 v31, 23, v1
	s_mov_b32 s3, exec_lo
	s_delay_alu instid0(VALU_DEP_2) | instskip(NEXT) | instid1(VALU_DEP_1)
	v_cndmask_b32_e64 v5, v5, 0xffffff82, vcc_lo
	v_add3_u32 v31, v33, v5, v31
	v_and_b32_e32 v5, 0xfffff, v30
	s_delay_alu instid0(VALU_DEP_2) | instskip(NEXT) | instid1(VALU_DEP_2)
	v_add_nc_u32_e32 v30, 6, v31
	v_add_co_u32 v1, vcc_lo, v5, v1
	v_add_co_ci_u32_e32 v2, vcc_lo, 0, v2, vcc_lo
                                        ; implicit-def: $vgpr5
	s_delay_alu instid0(VALU_DEP_3)
	v_cmpx_ne_u32_e32 0, v30
	s_xor_b32 s3, exec_lo, s3
; %bb.93:                               ;   in Loop: Header=BB11_33 Depth=2
	s_delay_alu instid0(VALU_DEP_2) | instskip(SKIP_1) | instid1(VALU_DEP_1)
	v_cmp_lt_u64_e32 vcc_lo, 0xffffff, v[1:2]
	v_add_nc_u32_e32 v5, 7, v31
	v_cndmask_b32_e32 v5, v30, v5, vcc_lo
	v_cndmask_b32_e64 v30, 0, 1, vcc_lo
	s_delay_alu instid0(VALU_DEP_1)
	v_lshrrev_b64 v[1:2], v30, v[1:2]
; %bb.94:                               ;   in Loop: Header=BB11_33 Depth=2
	s_and_not1_saveexec_b32 s3, s3
; %bb.95:                               ;   in Loop: Header=BB11_33 Depth=2
	s_delay_alu instid0(VALU_DEP_1)
	v_bfe_u32 v5, v1, 23, 1
; %bb.96:                               ;   in Loop: Header=BB11_33 Depth=2
	s_or_b32 exec_lo, exec_lo, s3
	s_delay_alu instid0(VALU_DEP_2) | instskip(NEXT) | instid1(VALU_DEP_2)
	v_lshrrev_b64 v[1:2], 20, v[1:2]
	v_cmp_gt_i32_e32 vcc_lo, 16, v5
	v_cmp_ne_u32_e64 s3, 0, v5
	s_delay_alu instid0(VALU_DEP_3) | instskip(NEXT) | instid1(VALU_DEP_1)
	v_dual_cndmask_b32 v31, 0, v2 :: v_dual_cndmask_b32 v30, 7, v1
                                        ; implicit-def: $vgpr1_vgpr2
	v_cmp_ne_u64_e32 vcc_lo, 0, v[30:31]
	s_delay_alu instid0(VALU_DEP_3) | instskip(NEXT) | instid1(SALU_CYCLE_1)
	s_or_b32 s3, s3, vcc_lo
	s_and_saveexec_b32 s56, s3
	s_delay_alu instid0(SALU_CYCLE_1)
	s_xor_b32 s3, exec_lo, s56
; %bb.97:                               ;   in Loop: Header=BB11_33 Depth=2
	v_min_i32_e32 v1, 15, v5
	s_delay_alu instid0(VALU_DEP_1) | instskip(NEXT) | instid1(VALU_DEP_1)
	v_lshl_or_b32 v1, v1, 3, v8
                                        ; implicit-def: $vgpr8
	v_and_or_b32 v1, v30, 7, v1
; %bb.98:                               ;   in Loop: Header=BB11_33 Depth=2
	s_and_not1_saveexec_b32 s3, s3
; %bb.99:                               ;   in Loop: Header=BB11_33 Depth=2
	v_dual_mov_b32 v1, v8 :: v_dual_mov_b32 v2, v9
; %bb.100:                              ;   in Loop: Header=BB11_33 Depth=2
	s_or_b32 exec_lo, exec_lo, s3
.LBB11_101:                             ;   in Loop: Header=BB11_33 Depth=2
	s_delay_alu instid0(SALU_CYCLE_1)
	s_or_b32 exec_lo, exec_lo, s55
.LBB11_102:                             ;   in Loop: Header=BB11_33 Depth=2
	s_and_not1_saveexec_b32 s3, s54
	s_delay_alu instid0(SALU_CYCLE_1)
	s_or_b32 exec_lo, exec_lo, s3
                                        ; implicit-def: $vgpr2
.LBB11_103:                             ;   in Loop: Header=BB11_33 Depth=2
	s_and_not1_saveexec_b32 s3, s53
; %bb.104:                              ;   in Loop: Header=BB11_33 Depth=2
	v_cmp_eq_u64_e32 vcc_lo, 0, v[5:6]
	v_or_b32_e32 v2, 0x7f, v2
	s_delay_alu instid0(VALU_DEP_1)
	v_cndmask_b32_e32 v1, v2, v1, vcc_lo
; %bb.105:                              ;   in Loop: Header=BB11_33 Depth=2
	s_or_b32 exec_lo, exec_lo, s3
	v_cvt_f32_f16_e32 v2, v3
	s_mov_b32 s3, exec_lo
	v_mov_b32_e32 v33, v6
	s_delay_alu instid0(VALU_DEP_2) | instskip(NEXT) | instid1(VALU_DEP_1)
	v_div_scale_f32 v5, null, v48, v48, v2
	v_rcp_f32_e32 v8, v5
	s_waitcnt_depctr 0xfff
	v_fma_f32 v30, -v5, v8, 1.0
	s_delay_alu instid0(VALU_DEP_1) | instskip(SKIP_1) | instid1(VALU_DEP_1)
	v_fmac_f32_e32 v8, v30, v8
	v_div_scale_f32 v30, vcc_lo, v2, v48, v2
	v_mul_f32_e32 v31, v30, v8
	s_delay_alu instid0(VALU_DEP_1) | instskip(NEXT) | instid1(VALU_DEP_1)
	v_fma_f32 v32, -v5, v31, v30
	v_fmac_f32_e32 v31, v32, v8
	s_delay_alu instid0(VALU_DEP_1) | instskip(NEXT) | instid1(VALU_DEP_1)
	v_fma_f32 v5, -v5, v31, v30
	v_div_fmas_f32 v5, v5, v8, v31
	s_delay_alu instid0(VALU_DEP_1) | instskip(NEXT) | instid1(VALU_DEP_1)
	v_div_fixup_f32 v2, v5, v48, v2
	v_cvt_f16_f32_e32 v2, v2
	s_delay_alu instid0(VALU_DEP_1) | instskip(NEXT) | instid1(VALU_DEP_1)
	v_cvt_f32_f16_e32 v8, v2
	v_lshrrev_b32_e32 v31, 24, v8
	v_and_b32_e32 v32, 0x7f800000, v8
	v_and_b32_e32 v5, 0x7fffff, v8
	s_delay_alu instid0(VALU_DEP_3) | instskip(NEXT) | instid1(VALU_DEP_1)
	v_and_b32_e32 v2, 0x80, v31
	v_or_b32_e32 v30, 0x7e, v2
	s_delay_alu instid0(VALU_DEP_4)
	v_cmpx_ne_u64_e32 0x7f800000, v[32:33]
	s_xor_b32 s53, exec_lo, s3
	s_cbranch_execz .LBB11_121
; %bb.106:                              ;   in Loop: Header=BB11_33 Depth=2
	v_dual_mov_b32 v32, v6 :: v_dual_and_b32 v31, 0x7fffffff, v8
	s_mov_b32 s3, exec_lo
	s_delay_alu instid0(VALU_DEP_1)
	v_cmpx_gt_u64_e32 0x43e00001, v[31:32]
	s_xor_b32 s54, exec_lo, s3
	s_cbranch_execz .LBB11_120
; %bb.107:                              ;   in Loop: Header=BB11_33 Depth=2
	s_mov_b32 s55, exec_lo
	v_mov_b32_e32 v30, 0
	v_mov_b32_e32 v31, 0
	v_cmpx_ne_u32_e32 0, v8
	s_cbranch_execz .LBB11_119
; %bb.108:                              ;   in Loop: Header=BB11_33 Depth=2
	v_bfe_u32 v8, v8, 23, 8
	v_or_b32_e32 v32, 0x800000, v5
	s_delay_alu instid0(VALU_DEP_2) | instskip(SKIP_1) | instid1(VALU_DEP_2)
	v_sub_nc_u32_e32 v30, 0x79, v8
	v_cmp_gt_u32_e32 vcc_lo, 0x7a, v8
	v_cndmask_b32_e32 v30, 0, v30, vcc_lo
	v_cmp_eq_u32_e32 vcc_lo, 0, v8
	v_cndmask_b32_e32 v5, v32, v5, vcc_lo
	s_delay_alu instid0(VALU_DEP_3) | instskip(NEXT) | instid1(VALU_DEP_1)
	v_cndmask_b32_e64 v34, v30, 0x78, vcc_lo
	v_add_nc_u32_e32 v30, 20, v34
	v_add_nc_u32_e32 v32, 19, v34
	s_delay_alu instid0(VALU_DEP_2) | instskip(NEXT) | instid1(VALU_DEP_2)
	v_lshlrev_b64 v[30:31], v30, -1
	v_lshlrev_b64 v[32:33], v32, 1
	s_delay_alu instid0(VALU_DEP_2) | instskip(NEXT) | instid1(VALU_DEP_3)
	v_not_b32_e32 v31, v31
	v_not_b32_e32 v30, v30
	s_delay_alu instid0(VALU_DEP_2) | instskip(NEXT) | instid1(VALU_DEP_2)
	v_and_b32_e32 v52, 0, v31
	v_and_b32_e32 v51, v5, v30
	v_lshrrev_b64 v[30:31], v34, v[5:6]
	s_delay_alu instid0(VALU_DEP_2) | instskip(NEXT) | instid1(VALU_DEP_2)
	v_cmp_eq_u64_e64 s3, v[51:52], v[32:33]
	v_dual_mov_b32 v33, v31 :: v_dual_mov_b32 v32, v30
	s_delay_alu instid0(VALU_DEP_2)
	s_and_saveexec_b32 s56, s3
; %bb.109:                              ;   in Loop: Header=BB11_33 Depth=2
	v_bfe_u32 v5, v30, 20, 1
	s_delay_alu instid0(VALU_DEP_1) | instskip(NEXT) | instid1(VALU_DEP_1)
	v_add_co_u32 v5, s3, v30, v5
	v_add_co_u32 v32, s3, v5, -1
; %bb.110:                              ;   in Loop: Header=BB11_33 Depth=2
	s_or_b32 exec_lo, exec_lo, s56
	v_add_nc_u32_e32 v5, 0xffffff81, v8
	v_lshrrev_b32_e32 v8, 23, v30
	s_mov_b32 s3, exec_lo
	s_delay_alu instid0(VALU_DEP_2) | instskip(NEXT) | instid1(VALU_DEP_1)
	v_cndmask_b32_e64 v5, v5, 0xffffff82, vcc_lo
	v_add3_u32 v8, v34, v5, v8
	v_and_b32_e32 v5, 0xfffff, v32
	s_delay_alu instid0(VALU_DEP_2) | instskip(NEXT) | instid1(VALU_DEP_2)
	v_add_nc_u32_e32 v32, 6, v8
	v_add_co_u32 v30, vcc_lo, v5, v30
	v_add_co_ci_u32_e32 v31, vcc_lo, 0, v31, vcc_lo
                                        ; implicit-def: $vgpr5
	s_delay_alu instid0(VALU_DEP_3)
	v_cmpx_ne_u32_e32 0, v32
	s_xor_b32 s3, exec_lo, s3
; %bb.111:                              ;   in Loop: Header=BB11_33 Depth=2
	s_delay_alu instid0(VALU_DEP_2) | instskip(SKIP_2) | instid1(VALU_DEP_2)
	v_cmp_lt_u64_e32 vcc_lo, 0xffffff, v[30:31]
	v_add_nc_u32_e32 v5, 7, v8
	v_cndmask_b32_e64 v8, 0, 1, vcc_lo
	v_cndmask_b32_e32 v5, v32, v5, vcc_lo
	s_delay_alu instid0(VALU_DEP_2)
	v_lshrrev_b64 v[30:31], v8, v[30:31]
; %bb.112:                              ;   in Loop: Header=BB11_33 Depth=2
	s_and_not1_saveexec_b32 s3, s3
; %bb.113:                              ;   in Loop: Header=BB11_33 Depth=2
	s_delay_alu instid0(VALU_DEP_1)
	v_bfe_u32 v5, v30, 23, 1
; %bb.114:                              ;   in Loop: Header=BB11_33 Depth=2
	s_or_b32 exec_lo, exec_lo, s3
	s_delay_alu instid0(VALU_DEP_2) | instskip(NEXT) | instid1(VALU_DEP_2)
	v_lshrrev_b64 v[30:31], 20, v[30:31]
	v_cmp_gt_i32_e32 vcc_lo, 16, v5
	v_cmp_ne_u32_e64 s3, 0, v5
	s_delay_alu instid0(VALU_DEP_3) | instskip(NEXT) | instid1(VALU_DEP_1)
	v_dual_cndmask_b32 v33, 0, v31 :: v_dual_cndmask_b32 v32, 7, v30
                                        ; implicit-def: $vgpr30_vgpr31
	v_cmp_ne_u64_e32 vcc_lo, 0, v[32:33]
	s_delay_alu instid0(VALU_DEP_3) | instskip(NEXT) | instid1(SALU_CYCLE_1)
	s_or_b32 s3, s3, vcc_lo
	s_and_saveexec_b32 s56, s3
	s_delay_alu instid0(SALU_CYCLE_1)
	s_xor_b32 s3, exec_lo, s56
; %bb.115:                              ;   in Loop: Header=BB11_33 Depth=2
	v_min_i32_e32 v5, 15, v5
	s_delay_alu instid0(VALU_DEP_1) | instskip(NEXT) | instid1(VALU_DEP_1)
	v_lshl_or_b32 v2, v5, 3, v2
	v_and_or_b32 v30, v32, 7, v2
                                        ; implicit-def: $vgpr2
; %bb.116:                              ;   in Loop: Header=BB11_33 Depth=2
	s_and_not1_saveexec_b32 s3, s3
; %bb.117:                              ;   in Loop: Header=BB11_33 Depth=2
	v_dual_mov_b32 v31, v3 :: v_dual_mov_b32 v30, v2
; %bb.118:                              ;   in Loop: Header=BB11_33 Depth=2
	s_or_b32 exec_lo, exec_lo, s3
.LBB11_119:                             ;   in Loop: Header=BB11_33 Depth=2
	s_delay_alu instid0(SALU_CYCLE_1)
	s_or_b32 exec_lo, exec_lo, s55
.LBB11_120:                             ;   in Loop: Header=BB11_33 Depth=2
	s_and_not1_saveexec_b32 s3, s54
	s_delay_alu instid0(SALU_CYCLE_1)
	s_or_b32 exec_lo, exec_lo, s3
                                        ; implicit-def: $vgpr31
.LBB11_121:                             ;   in Loop: Header=BB11_33 Depth=2
	s_and_not1_saveexec_b32 s3, s53
; %bb.122:                              ;   in Loop: Header=BB11_33 Depth=2
	v_cmp_eq_u64_e32 vcc_lo, 0, v[5:6]
	v_or_b32_e32 v2, 0x7f, v31
	s_delay_alu instid0(VALU_DEP_1)
	v_cndmask_b32_e32 v30, v2, v30, vcc_lo
; %bb.123:                              ;   in Loop: Header=BB11_33 Depth=2
	s_or_b32 exec_lo, exec_lo, s3
	v_lshrrev_b32_e32 v2, 16, v3
	v_mov_b32_e32 v33, v6
	s_mov_b32 s3, exec_lo
	s_delay_alu instid0(VALU_DEP_2) | instskip(NEXT) | instid1(VALU_DEP_1)
	v_cvt_f32_f16_e32 v2, v2
	v_div_scale_f32 v3, null, v48, v48, v2
	s_delay_alu instid0(VALU_DEP_1) | instskip(SKIP_2) | instid1(VALU_DEP_1)
	v_rcp_f32_e32 v5, v3
	s_waitcnt_depctr 0xfff
	v_fma_f32 v8, -v3, v5, 1.0
	v_fmac_f32_e32 v5, v8, v5
	v_div_scale_f32 v8, vcc_lo, v2, v48, v2
	s_delay_alu instid0(VALU_DEP_1) | instskip(NEXT) | instid1(VALU_DEP_1)
	v_mul_f32_e32 v31, v8, v5
	v_fma_f32 v32, -v3, v31, v8
	s_delay_alu instid0(VALU_DEP_1) | instskip(NEXT) | instid1(VALU_DEP_1)
	v_fmac_f32_e32 v31, v32, v5
	v_fma_f32 v3, -v3, v31, v8
	s_delay_alu instid0(VALU_DEP_1) | instskip(NEXT) | instid1(VALU_DEP_1)
	v_div_fmas_f32 v3, v3, v5, v31
	v_div_fixup_f32 v2, v3, v48, v2
	s_delay_alu instid0(VALU_DEP_1) | instskip(NEXT) | instid1(VALU_DEP_1)
	v_cvt_f16_f32_e32 v2, v2
	v_cvt_f32_f16_e32 v31, v2
	s_delay_alu instid0(VALU_DEP_1) | instskip(SKIP_2) | instid1(VALU_DEP_3)
	v_lshrrev_b32_e32 v3, 24, v31
	v_and_b32_e32 v32, 0x7f800000, v31
	v_and_b32_e32 v5, 0x7fffff, v31
	;; [unrolled: 1-line block ×3, first 2 shown]
	s_delay_alu instid0(VALU_DEP_1) | instskip(NEXT) | instid1(VALU_DEP_4)
	v_or_b32_e32 v2, 0x7e, v8
	v_cmpx_ne_u64_e32 0x7f800000, v[32:33]
	s_xor_b32 s53, exec_lo, s3
	s_cbranch_execz .LBB11_139
; %bb.124:                              ;   in Loop: Header=BB11_33 Depth=2
	v_dual_mov_b32 v33, v6 :: v_dual_and_b32 v32, 0x7fffffff, v31
	s_mov_b32 s3, exec_lo
	s_delay_alu instid0(VALU_DEP_1)
	v_cmpx_gt_u64_e32 0x43e00001, v[32:33]
	s_xor_b32 s54, exec_lo, s3
	s_cbranch_execz .LBB11_138
; %bb.125:                              ;   in Loop: Header=BB11_33 Depth=2
	s_mov_b32 s55, exec_lo
	v_mov_b32_e32 v2, 0
	v_mov_b32_e32 v3, 0
	v_cmpx_ne_u32_e32 0, v31
	s_cbranch_execz .LBB11_137
; %bb.126:                              ;   in Loop: Header=BB11_33 Depth=2
	v_bfe_u32 v33, v31, 23, 8
	v_or_b32_e32 v31, 0x800000, v5
	s_delay_alu instid0(VALU_DEP_2) | instskip(SKIP_1) | instid1(VALU_DEP_2)
	v_sub_nc_u32_e32 v2, 0x79, v33
	v_cmp_gt_u32_e32 vcc_lo, 0x7a, v33
	v_cndmask_b32_e32 v2, 0, v2, vcc_lo
	v_cmp_eq_u32_e32 vcc_lo, 0, v33
	v_cndmask_b32_e32 v5, v31, v5, vcc_lo
	s_delay_alu instid0(VALU_DEP_3) | instskip(NEXT) | instid1(VALU_DEP_1)
	v_cndmask_b32_e64 v34, v2, 0x78, vcc_lo
	v_add_nc_u32_e32 v2, 20, v34
	v_add_nc_u32_e32 v31, 19, v34
	s_delay_alu instid0(VALU_DEP_2) | instskip(NEXT) | instid1(VALU_DEP_2)
	v_lshlrev_b64 v[2:3], v2, -1
	v_lshlrev_b64 v[31:32], v31, 1
	s_delay_alu instid0(VALU_DEP_2) | instskip(NEXT) | instid1(VALU_DEP_3)
	v_not_b32_e32 v3, v3
	v_not_b32_e32 v2, v2
	s_delay_alu instid0(VALU_DEP_2) | instskip(NEXT) | instid1(VALU_DEP_2)
	v_and_b32_e32 v52, 0, v3
	v_and_b32_e32 v51, v5, v2
	v_lshrrev_b64 v[2:3], v34, v[5:6]
	s_delay_alu instid0(VALU_DEP_2) | instskip(NEXT) | instid1(VALU_DEP_2)
	v_cmp_eq_u64_e64 s3, v[51:52], v[31:32]
	v_dual_mov_b32 v32, v3 :: v_dual_mov_b32 v31, v2
	s_delay_alu instid0(VALU_DEP_2)
	s_and_saveexec_b32 s56, s3
; %bb.127:                              ;   in Loop: Header=BB11_33 Depth=2
	v_bfe_u32 v5, v2, 20, 1
	s_delay_alu instid0(VALU_DEP_1) | instskip(NEXT) | instid1(VALU_DEP_1)
	v_add_co_u32 v5, s3, v2, v5
	v_add_co_u32 v31, s3, v5, -1
; %bb.128:                              ;   in Loop: Header=BB11_33 Depth=2
	s_or_b32 exec_lo, exec_lo, s56
	v_add_nc_u32_e32 v5, 0xffffff81, v33
	v_lshrrev_b32_e32 v32, 23, v2
	s_mov_b32 s3, exec_lo
	s_delay_alu instid0(VALU_DEP_2) | instskip(NEXT) | instid1(VALU_DEP_1)
	v_cndmask_b32_e64 v5, v5, 0xffffff82, vcc_lo
	v_add3_u32 v32, v34, v5, v32
	v_and_b32_e32 v5, 0xfffff, v31
	s_delay_alu instid0(VALU_DEP_2) | instskip(NEXT) | instid1(VALU_DEP_2)
	v_add_nc_u32_e32 v31, 6, v32
	v_add_co_u32 v2, vcc_lo, v5, v2
	v_add_co_ci_u32_e32 v3, vcc_lo, 0, v3, vcc_lo
                                        ; implicit-def: $vgpr5
	s_delay_alu instid0(VALU_DEP_3)
	v_cmpx_ne_u32_e32 0, v31
	s_xor_b32 s3, exec_lo, s3
; %bb.129:                              ;   in Loop: Header=BB11_33 Depth=2
	s_delay_alu instid0(VALU_DEP_2) | instskip(SKIP_1) | instid1(VALU_DEP_1)
	v_cmp_lt_u64_e32 vcc_lo, 0xffffff, v[2:3]
	v_add_nc_u32_e32 v5, 7, v32
	v_cndmask_b32_e32 v5, v31, v5, vcc_lo
	v_cndmask_b32_e64 v31, 0, 1, vcc_lo
	s_delay_alu instid0(VALU_DEP_1)
	v_lshrrev_b64 v[2:3], v31, v[2:3]
; %bb.130:                              ;   in Loop: Header=BB11_33 Depth=2
	s_and_not1_saveexec_b32 s3, s3
; %bb.131:                              ;   in Loop: Header=BB11_33 Depth=2
	s_delay_alu instid0(VALU_DEP_1)
	v_bfe_u32 v5, v2, 23, 1
; %bb.132:                              ;   in Loop: Header=BB11_33 Depth=2
	s_or_b32 exec_lo, exec_lo, s3
	s_delay_alu instid0(VALU_DEP_2) | instskip(NEXT) | instid1(VALU_DEP_2)
	v_lshrrev_b64 v[2:3], 20, v[2:3]
	v_cmp_gt_i32_e32 vcc_lo, 16, v5
	v_cmp_ne_u32_e64 s3, 0, v5
	s_delay_alu instid0(VALU_DEP_3) | instskip(NEXT) | instid1(VALU_DEP_1)
	v_dual_cndmask_b32 v32, 0, v3 :: v_dual_cndmask_b32 v31, 7, v2
                                        ; implicit-def: $vgpr2_vgpr3
	v_cmp_ne_u64_e32 vcc_lo, 0, v[31:32]
	s_delay_alu instid0(VALU_DEP_3) | instskip(NEXT) | instid1(SALU_CYCLE_1)
	s_or_b32 s3, s3, vcc_lo
	s_and_saveexec_b32 s56, s3
	s_delay_alu instid0(SALU_CYCLE_1)
	s_xor_b32 s3, exec_lo, s56
; %bb.133:                              ;   in Loop: Header=BB11_33 Depth=2
	v_min_i32_e32 v2, 15, v5
	s_delay_alu instid0(VALU_DEP_1) | instskip(NEXT) | instid1(VALU_DEP_1)
	v_lshl_or_b32 v2, v2, 3, v8
                                        ; implicit-def: $vgpr8
	v_and_or_b32 v2, v31, 7, v2
; %bb.134:                              ;   in Loop: Header=BB11_33 Depth=2
	s_and_not1_saveexec_b32 s3, s3
; %bb.135:                              ;   in Loop: Header=BB11_33 Depth=2
	v_dual_mov_b32 v2, v8 :: v_dual_mov_b32 v3, v9
; %bb.136:                              ;   in Loop: Header=BB11_33 Depth=2
	s_or_b32 exec_lo, exec_lo, s3
.LBB11_137:                             ;   in Loop: Header=BB11_33 Depth=2
	s_delay_alu instid0(SALU_CYCLE_1)
	s_or_b32 exec_lo, exec_lo, s55
.LBB11_138:                             ;   in Loop: Header=BB11_33 Depth=2
	s_and_not1_saveexec_b32 s3, s54
	s_delay_alu instid0(SALU_CYCLE_1)
	s_or_b32 exec_lo, exec_lo, s3
                                        ; implicit-def: $vgpr3
.LBB11_139:                             ;   in Loop: Header=BB11_33 Depth=2
	s_and_not1_saveexec_b32 s3, s53
; %bb.140:                              ;   in Loop: Header=BB11_33 Depth=2
	v_cmp_eq_u64_e32 vcc_lo, 0, v[5:6]
	v_or_b32_e32 v3, 0x7f, v3
	s_delay_alu instid0(VALU_DEP_1)
	v_cndmask_b32_e32 v2, v3, v2, vcc_lo
; %bb.141:                              ;   in Loop: Header=BB11_33 Depth=2
	s_or_b32 exec_lo, exec_lo, s3
	v_cvt_f32_f16_e32 v3, v4
	s_mov_b32 s3, exec_lo
	v_mov_b32_e32 v34, v6
	s_delay_alu instid0(VALU_DEP_2) | instskip(NEXT) | instid1(VALU_DEP_1)
	v_div_scale_f32 v5, null, v48, v48, v3
	v_rcp_f32_e32 v8, v5
	s_waitcnt_depctr 0xfff
	v_fma_f32 v31, -v5, v8, 1.0
	s_delay_alu instid0(VALU_DEP_1) | instskip(SKIP_1) | instid1(VALU_DEP_1)
	v_fmac_f32_e32 v8, v31, v8
	v_div_scale_f32 v31, vcc_lo, v3, v48, v3
	v_mul_f32_e32 v32, v31, v8
	s_delay_alu instid0(VALU_DEP_1) | instskip(NEXT) | instid1(VALU_DEP_1)
	v_fma_f32 v33, -v5, v32, v31
	v_fmac_f32_e32 v32, v33, v8
	s_delay_alu instid0(VALU_DEP_1) | instskip(NEXT) | instid1(VALU_DEP_1)
	v_fma_f32 v5, -v5, v32, v31
	v_div_fmas_f32 v5, v5, v8, v32
	s_delay_alu instid0(VALU_DEP_1) | instskip(NEXT) | instid1(VALU_DEP_1)
	v_div_fixup_f32 v3, v5, v48, v3
	v_cvt_f16_f32_e32 v3, v3
	s_delay_alu instid0(VALU_DEP_1) | instskip(NEXT) | instid1(VALU_DEP_1)
	v_cvt_f32_f16_e32 v8, v3
	v_lshrrev_b32_e32 v32, 24, v8
	v_and_b32_e32 v33, 0x7f800000, v8
	v_and_b32_e32 v5, 0x7fffff, v8
	s_delay_alu instid0(VALU_DEP_3) | instskip(NEXT) | instid1(VALU_DEP_1)
	v_and_b32_e32 v3, 0x80, v32
	v_or_b32_e32 v31, 0x7e, v3
	s_delay_alu instid0(VALU_DEP_4)
	v_cmpx_ne_u64_e32 0x7f800000, v[33:34]
	s_xor_b32 s53, exec_lo, s3
	s_cbranch_execz .LBB11_157
; %bb.142:                              ;   in Loop: Header=BB11_33 Depth=2
	v_dual_mov_b32 v33, v6 :: v_dual_and_b32 v32, 0x7fffffff, v8
	s_mov_b32 s3, exec_lo
	s_delay_alu instid0(VALU_DEP_1)
	v_cmpx_gt_u64_e32 0x43e00001, v[32:33]
	s_xor_b32 s54, exec_lo, s3
	s_cbranch_execz .LBB11_156
; %bb.143:                              ;   in Loop: Header=BB11_33 Depth=2
	s_mov_b32 s55, exec_lo
	v_mov_b32_e32 v31, 0
	v_mov_b32_e32 v32, 0
	v_cmpx_ne_u32_e32 0, v8
	s_cbranch_execz .LBB11_155
; %bb.144:                              ;   in Loop: Header=BB11_33 Depth=2
	v_bfe_u32 v8, v8, 23, 8
	v_or_b32_e32 v33, 0x800000, v5
	s_delay_alu instid0(VALU_DEP_2) | instskip(SKIP_1) | instid1(VALU_DEP_2)
	v_sub_nc_u32_e32 v31, 0x79, v8
	v_cmp_gt_u32_e32 vcc_lo, 0x7a, v8
	v_cndmask_b32_e32 v31, 0, v31, vcc_lo
	v_cmp_eq_u32_e32 vcc_lo, 0, v8
	s_delay_alu instid0(VALU_DEP_2) | instskip(SKIP_1) | instid1(VALU_DEP_2)
	v_cndmask_b32_e64 v51, v31, 0x78, vcc_lo
	v_cndmask_b32_e32 v5, v33, v5, vcc_lo
	v_add_nc_u32_e32 v31, 20, v51
	v_add_nc_u32_e32 v33, 19, v51
	s_delay_alu instid0(VALU_DEP_2) | instskip(NEXT) | instid1(VALU_DEP_2)
	v_lshlrev_b64 v[31:32], v31, -1
	v_lshlrev_b64 v[33:34], v33, 1
	s_delay_alu instid0(VALU_DEP_2) | instskip(NEXT) | instid1(VALU_DEP_3)
	v_not_b32_e32 v32, v32
	v_not_b32_e32 v31, v31
	s_delay_alu instid0(VALU_DEP_2) | instskip(NEXT) | instid1(VALU_DEP_2)
	v_and_b32_e32 v53, 0, v32
	v_and_b32_e32 v52, v5, v31
	v_lshrrev_b64 v[31:32], v51, v[5:6]
	s_delay_alu instid0(VALU_DEP_2) | instskip(NEXT) | instid1(VALU_DEP_2)
	v_cmp_eq_u64_e64 s3, v[52:53], v[33:34]
	v_dual_mov_b32 v34, v32 :: v_dual_mov_b32 v33, v31
	s_delay_alu instid0(VALU_DEP_2)
	s_and_saveexec_b32 s56, s3
; %bb.145:                              ;   in Loop: Header=BB11_33 Depth=2
	v_bfe_u32 v5, v31, 20, 1
	s_delay_alu instid0(VALU_DEP_1) | instskip(NEXT) | instid1(VALU_DEP_1)
	v_add_co_u32 v5, s3, v31, v5
	v_add_co_u32 v33, s3, v5, -1
; %bb.146:                              ;   in Loop: Header=BB11_33 Depth=2
	s_or_b32 exec_lo, exec_lo, s56
	v_add_nc_u32_e32 v5, 0xffffff81, v8
	v_lshrrev_b32_e32 v8, 23, v31
	s_mov_b32 s3, exec_lo
	s_delay_alu instid0(VALU_DEP_2) | instskip(NEXT) | instid1(VALU_DEP_1)
	v_cndmask_b32_e64 v5, v5, 0xffffff82, vcc_lo
	v_add3_u32 v8, v51, v5, v8
	v_and_b32_e32 v5, 0xfffff, v33
	s_delay_alu instid0(VALU_DEP_2) | instskip(NEXT) | instid1(VALU_DEP_2)
	v_add_nc_u32_e32 v33, 6, v8
	v_add_co_u32 v31, vcc_lo, v5, v31
	v_add_co_ci_u32_e32 v32, vcc_lo, 0, v32, vcc_lo
                                        ; implicit-def: $vgpr5
	s_delay_alu instid0(VALU_DEP_3)
	v_cmpx_ne_u32_e32 0, v33
	s_xor_b32 s3, exec_lo, s3
; %bb.147:                              ;   in Loop: Header=BB11_33 Depth=2
	s_delay_alu instid0(VALU_DEP_2) | instskip(SKIP_2) | instid1(VALU_DEP_2)
	v_cmp_lt_u64_e32 vcc_lo, 0xffffff, v[31:32]
	v_add_nc_u32_e32 v5, 7, v8
	v_cndmask_b32_e64 v8, 0, 1, vcc_lo
	v_cndmask_b32_e32 v5, v33, v5, vcc_lo
	s_delay_alu instid0(VALU_DEP_2)
	v_lshrrev_b64 v[31:32], v8, v[31:32]
; %bb.148:                              ;   in Loop: Header=BB11_33 Depth=2
	s_and_not1_saveexec_b32 s3, s3
; %bb.149:                              ;   in Loop: Header=BB11_33 Depth=2
	s_delay_alu instid0(VALU_DEP_1)
	v_bfe_u32 v5, v31, 23, 1
; %bb.150:                              ;   in Loop: Header=BB11_33 Depth=2
	s_or_b32 exec_lo, exec_lo, s3
	s_delay_alu instid0(VALU_DEP_2) | instskip(NEXT) | instid1(VALU_DEP_2)
	v_lshrrev_b64 v[31:32], 20, v[31:32]
	v_cmp_gt_i32_e32 vcc_lo, 16, v5
	v_cmp_ne_u32_e64 s3, 0, v5
	s_delay_alu instid0(VALU_DEP_3) | instskip(NEXT) | instid1(VALU_DEP_1)
	v_dual_cndmask_b32 v34, 0, v32 :: v_dual_cndmask_b32 v33, 7, v31
                                        ; implicit-def: $vgpr31_vgpr32
	v_cmp_ne_u64_e32 vcc_lo, 0, v[33:34]
	s_delay_alu instid0(VALU_DEP_3) | instskip(NEXT) | instid1(SALU_CYCLE_1)
	s_or_b32 s3, s3, vcc_lo
	s_and_saveexec_b32 s56, s3
	s_delay_alu instid0(SALU_CYCLE_1)
	s_xor_b32 s3, exec_lo, s56
; %bb.151:                              ;   in Loop: Header=BB11_33 Depth=2
	v_min_i32_e32 v5, 15, v5
	s_delay_alu instid0(VALU_DEP_1) | instskip(NEXT) | instid1(VALU_DEP_1)
	v_lshl_or_b32 v3, v5, 3, v3
	v_and_or_b32 v31, v33, 7, v3
                                        ; implicit-def: $vgpr3
; %bb.152:                              ;   in Loop: Header=BB11_33 Depth=2
	s_and_not1_saveexec_b32 s3, s3
; %bb.153:                              ;   in Loop: Header=BB11_33 Depth=2
	v_dual_mov_b32 v32, v4 :: v_dual_mov_b32 v31, v3
; %bb.154:                              ;   in Loop: Header=BB11_33 Depth=2
	s_or_b32 exec_lo, exec_lo, s3
.LBB11_155:                             ;   in Loop: Header=BB11_33 Depth=2
	s_delay_alu instid0(SALU_CYCLE_1)
	s_or_b32 exec_lo, exec_lo, s55
.LBB11_156:                             ;   in Loop: Header=BB11_33 Depth=2
	s_and_not1_saveexec_b32 s3, s54
	s_delay_alu instid0(SALU_CYCLE_1)
	s_or_b32 exec_lo, exec_lo, s3
                                        ; implicit-def: $vgpr32
.LBB11_157:                             ;   in Loop: Header=BB11_33 Depth=2
	s_and_not1_saveexec_b32 s3, s53
; %bb.158:                              ;   in Loop: Header=BB11_33 Depth=2
	v_cmp_eq_u64_e32 vcc_lo, 0, v[5:6]
	v_or_b32_e32 v3, 0x7f, v32
	s_delay_alu instid0(VALU_DEP_1)
	v_cndmask_b32_e32 v31, v3, v31, vcc_lo
; %bb.159:                              ;   in Loop: Header=BB11_33 Depth=2
	s_or_b32 exec_lo, exec_lo, s3
	v_lshrrev_b32_e32 v3, 16, v4
	s_delay_alu instid0(VALU_DEP_1) | instskip(NEXT) | instid1(VALU_DEP_1)
	v_cvt_f32_f16_e32 v3, v3
	v_div_scale_f32 v4, null, v48, v48, v3
	s_delay_alu instid0(VALU_DEP_1) | instskip(SKIP_2) | instid1(VALU_DEP_1)
	v_rcp_f32_e32 v5, v4
	s_waitcnt_depctr 0xfff
	v_fma_f32 v8, -v4, v5, 1.0
	v_fmac_f32_e32 v5, v8, v5
	v_div_scale_f32 v8, vcc_lo, v3, v48, v3
	s_delay_alu instid0(VALU_DEP_1) | instskip(NEXT) | instid1(VALU_DEP_1)
	v_mul_f32_e32 v32, v8, v5
	v_fma_f32 v33, -v4, v32, v8
	s_delay_alu instid0(VALU_DEP_1) | instskip(NEXT) | instid1(VALU_DEP_1)
	v_dual_fmac_f32 v32, v33, v5 :: v_dual_mov_b32 v33, v6
	v_fma_f32 v4, -v4, v32, v8
	s_delay_alu instid0(VALU_DEP_1) | instskip(NEXT) | instid1(VALU_DEP_1)
	v_div_fmas_f32 v4, v4, v5, v32
	v_div_fixup_f32 v3, v4, v48, v3
	s_delay_alu instid0(VALU_DEP_1) | instskip(NEXT) | instid1(VALU_DEP_1)
	v_cvt_f16_f32_e32 v3, v3
	v_cvt_f32_f16_e32 v4, v3
	s_delay_alu instid0(VALU_DEP_1) | instskip(SKIP_2) | instid1(VALU_DEP_3)
	v_lshrrev_b32_e32 v8, 24, v4
	v_and_b32_e32 v32, 0x7f800000, v4
	v_and_b32_e32 v5, 0x7fffff, v4
	v_and_b32_e32 v3, 0x80, v8
	s_delay_alu instid0(VALU_DEP_3) | instskip(NEXT) | instid1(VALU_DEP_2)
	v_cmp_ne_u64_e32 vcc_lo, 0x7f800000, v[32:33]
	v_or_b32_e32 v32, 0x7e, v3
	s_and_saveexec_b32 s3, vcc_lo
	s_delay_alu instid0(SALU_CYCLE_1)
	s_xor_b32 s53, exec_lo, s3
	s_cbranch_execz .LBB11_175
; %bb.160:                              ;   in Loop: Header=BB11_33 Depth=2
	v_dual_mov_b32 v34, v6 :: v_dual_and_b32 v33, 0x7fffffff, v4
	s_mov_b32 s3, exec_lo
	s_delay_alu instid0(VALU_DEP_1)
	v_cmpx_gt_u64_e32 0x43e00001, v[33:34]
	s_xor_b32 s54, exec_lo, s3
	s_cbranch_execz .LBB11_174
; %bb.161:                              ;   in Loop: Header=BB11_33 Depth=2
	s_mov_b32 s55, exec_lo
	v_mov_b32_e32 v32, 0
	v_mov_b32_e32 v33, 0
	v_cmpx_ne_u32_e32 0, v4
	s_cbranch_execz .LBB11_173
; %bb.162:                              ;   in Loop: Header=BB11_33 Depth=2
	v_bfe_u32 v8, v4, 23, 8
	v_or_b32_e32 v51, 0x800000, v5
	s_delay_alu instid0(VALU_DEP_2) | instskip(SKIP_1) | instid1(VALU_DEP_2)
	v_sub_nc_u32_e32 v4, 0x79, v8
	v_cmp_gt_u32_e32 vcc_lo, 0x7a, v8
	v_cndmask_b32_e32 v4, 0, v4, vcc_lo
	v_cmp_eq_u32_e32 vcc_lo, 0, v8
	v_cndmask_b32_e32 v5, v51, v5, vcc_lo
	s_delay_alu instid0(VALU_DEP_3) | instskip(NEXT) | instid1(VALU_DEP_1)
	v_cndmask_b32_e64 v34, v4, 0x78, vcc_lo
	v_add_nc_u32_e32 v4, 20, v34
	s_delay_alu instid0(VALU_DEP_1) | instskip(SKIP_1) | instid1(VALU_DEP_2)
	v_lshlrev_b64 v[32:33], v4, -1
	v_add_nc_u32_e32 v4, 19, v34
	v_not_b32_e32 v51, v33
	s_delay_alu instid0(VALU_DEP_3) | instskip(NEXT) | instid1(VALU_DEP_3)
	v_not_b32_e32 v53, v32
	v_lshlrev_b64 v[32:33], v4, 1
	s_delay_alu instid0(VALU_DEP_3) | instskip(NEXT) | instid1(VALU_DEP_3)
	v_and_b32_e32 v52, 0, v51
	v_and_b32_e32 v51, v5, v53
	v_lshrrev_b64 v[4:5], v34, v[5:6]
	s_delay_alu instid0(VALU_DEP_2) | instskip(NEXT) | instid1(VALU_DEP_2)
	v_cmp_eq_u64_e64 s3, v[51:52], v[32:33]
	v_dual_mov_b32 v33, v5 :: v_dual_mov_b32 v32, v4
	s_delay_alu instid0(VALU_DEP_2)
	s_and_saveexec_b32 s56, s3
; %bb.163:                              ;   in Loop: Header=BB11_33 Depth=2
	v_bfe_u32 v32, v4, 20, 1
	s_delay_alu instid0(VALU_DEP_1) | instskip(NEXT) | instid1(VALU_DEP_1)
	v_add_co_u32 v32, s3, v4, v32
	v_add_co_u32 v32, s3, v32, -1
; %bb.164:                              ;   in Loop: Header=BB11_33 Depth=2
	s_or_b32 exec_lo, exec_lo, s56
	v_add_nc_u32_e32 v8, 0xffffff81, v8
	v_lshrrev_b32_e32 v33, 23, v4
	s_mov_b32 s3, exec_lo
	s_delay_alu instid0(VALU_DEP_2) | instskip(NEXT) | instid1(VALU_DEP_1)
	v_cndmask_b32_e64 v8, v8, 0xffffff82, vcc_lo
	v_add3_u32 v33, v34, v8, v33
	v_and_b32_e32 v8, 0xfffff, v32
	s_delay_alu instid0(VALU_DEP_2) | instskip(NEXT) | instid1(VALU_DEP_2)
	v_add_nc_u32_e32 v32, 6, v33
	v_add_co_u32 v4, vcc_lo, v8, v4
	v_add_co_ci_u32_e32 v5, vcc_lo, 0, v5, vcc_lo
                                        ; implicit-def: $vgpr8
	s_delay_alu instid0(VALU_DEP_3)
	v_cmpx_ne_u32_e32 0, v32
	s_xor_b32 s3, exec_lo, s3
; %bb.165:                              ;   in Loop: Header=BB11_33 Depth=2
	s_delay_alu instid0(VALU_DEP_2) | instskip(SKIP_1) | instid1(VALU_DEP_1)
	v_cmp_lt_u64_e32 vcc_lo, 0xffffff, v[4:5]
	v_add_nc_u32_e32 v8, 7, v33
	v_cndmask_b32_e32 v8, v32, v8, vcc_lo
	v_cndmask_b32_e64 v32, 0, 1, vcc_lo
	s_delay_alu instid0(VALU_DEP_1)
	v_lshrrev_b64 v[4:5], v32, v[4:5]
; %bb.166:                              ;   in Loop: Header=BB11_33 Depth=2
	s_and_not1_saveexec_b32 s3, s3
; %bb.167:                              ;   in Loop: Header=BB11_33 Depth=2
	s_delay_alu instid0(VALU_DEP_1)
	v_bfe_u32 v8, v4, 23, 1
; %bb.168:                              ;   in Loop: Header=BB11_33 Depth=2
	s_or_b32 exec_lo, exec_lo, s3
	s_delay_alu instid0(VALU_DEP_2) | instskip(NEXT) | instid1(VALU_DEP_2)
	v_lshrrev_b64 v[4:5], 20, v[4:5]
	v_cmp_gt_i32_e32 vcc_lo, 16, v8
	v_cmp_ne_u32_e64 s3, 0, v8
                                        ; implicit-def: $vgpr32_vgpr33
	s_delay_alu instid0(VALU_DEP_3) | instskip(NEXT) | instid1(VALU_DEP_1)
	v_dual_cndmask_b32 v5, 0, v5 :: v_dual_cndmask_b32 v4, 7, v4
	v_cmp_ne_u64_e32 vcc_lo, 0, v[4:5]
	s_delay_alu instid0(VALU_DEP_3) | instskip(NEXT) | instid1(SALU_CYCLE_1)
	s_or_b32 s3, s3, vcc_lo
	s_and_saveexec_b32 s56, s3
	s_delay_alu instid0(SALU_CYCLE_1)
	s_xor_b32 s3, exec_lo, s56
; %bb.169:                              ;   in Loop: Header=BB11_33 Depth=2
	v_min_i32_e32 v5, 15, v8
	s_delay_alu instid0(VALU_DEP_1) | instskip(NEXT) | instid1(VALU_DEP_1)
	v_lshl_or_b32 v3, v5, 3, v3
	v_and_or_b32 v32, v4, 7, v3
                                        ; implicit-def: $vgpr3
; %bb.170:                              ;   in Loop: Header=BB11_33 Depth=2
	s_and_not1_saveexec_b32 s3, s3
; %bb.171:                              ;   in Loop: Header=BB11_33 Depth=2
	v_dual_mov_b32 v33, v4 :: v_dual_mov_b32 v32, v3
; %bb.172:                              ;   in Loop: Header=BB11_33 Depth=2
	s_or_b32 exec_lo, exec_lo, s3
.LBB11_173:                             ;   in Loop: Header=BB11_33 Depth=2
	s_delay_alu instid0(SALU_CYCLE_1)
	s_or_b32 exec_lo, exec_lo, s55
.LBB11_174:                             ;   in Loop: Header=BB11_33 Depth=2
	s_and_not1_saveexec_b32 s3, s54
	s_delay_alu instid0(SALU_CYCLE_1)
	s_or_b32 exec_lo, exec_lo, s3
                                        ; implicit-def: $vgpr8
.LBB11_175:                             ;   in Loop: Header=BB11_33 Depth=2
	s_and_not1_saveexec_b32 s3, s53
	s_cbranch_execz .LBB11_32
; %bb.176:                              ;   in Loop: Header=BB11_33 Depth=2
	v_cmp_eq_u64_e32 vcc_lo, 0, v[5:6]
	v_or_b32_e32 v3, 0x7f, v8
	s_delay_alu instid0(VALU_DEP_1)
	v_cndmask_b32_e32 v32, v3, v32, vcc_lo
	s_branch .LBB11_32
.LBB11_177:                             ;   in Loop: Header=BB11_9 Depth=1
	s_or_b32 exec_lo, exec_lo, s51
	v_lshl_add_u32 v1, v49, 3, v36
	s_mov_b32 s51, exec_lo
	s_delay_alu instid0(VALU_DEP_1)
	v_cmpx_lt_i32_e64 v1, v16
	s_cbranch_execz .LBB11_198
; %bb.178:                              ;   in Loop: Header=BB11_9 Depth=1
	v_ashrrev_i32_e32 v2, 31, v1
	v_add_co_u32 v5, vcc_lo, v21, v13
	v_add_co_ci_u32_e32 v8, vcc_lo, v22, v14, vcc_lo
	s_delay_alu instid0(VALU_DEP_3) | instskip(SKIP_1) | instid1(VALU_DEP_1)
	v_lshlrev_b64 v[3:4], 1, v[1:2]
	s_mov_b32 s52, 0
	v_add_co_u32 v3, vcc_lo, v5, v3
	s_delay_alu instid0(VALU_DEP_2) | instskip(SKIP_2) | instid1(VALU_DEP_4)
	v_add_co_ci_u32_e32 v4, vcc_lo, v8, v4, vcc_lo
	v_add_co_u32 v5, vcc_lo, v19, v1
	v_add_co_ci_u32_e32 v8, vcc_lo, v20, v2, vcc_lo
	v_add_co_u32 v2, vcc_lo, s43, v3
	s_delay_alu instid0(VALU_DEP_4) | instskip(NEXT) | instid1(VALU_DEP_4)
	v_add_co_ci_u32_e32 v3, vcc_lo, s44, v4, vcc_lo
	v_add_co_u32 v19, vcc_lo, v41, v5
	s_delay_alu instid0(VALU_DEP_4)
	v_add_co_ci_u32_e32 v20, vcc_lo, v42, v8, vcc_lo
	s_branch .LBB11_180
.LBB11_179:                             ;   in Loop: Header=BB11_180 Depth=2
	s_or_b32 exec_lo, exec_lo, s3
	v_add_nc_u32_e32 v1, 32, v1
	v_add_co_u32 v2, vcc_lo, v2, 64
	v_add_co_ci_u32_e32 v3, vcc_lo, 0, v3, vcc_lo
	global_store_b8 v[19:20], v21, off
	v_cmp_ge_i32_e32 vcc_lo, v1, v16
	v_add_co_u32 v19, s3, v19, 32
	s_delay_alu instid0(VALU_DEP_1) | instskip(SKIP_1) | instid1(SALU_CYCLE_1)
	v_add_co_ci_u32_e64 v20, s3, 0, v20, s3
	s_or_b32 s52, vcc_lo, s52
	s_and_not1_b32 exec_lo, exec_lo, s52
	s_cbranch_execz .LBB11_198
.LBB11_180:                             ;   Parent Loop BB11_9 Depth=1
                                        ; =>  This Inner Loop Header: Depth=2
	global_load_u16 v4, v[2:3], off
	s_mov_b32 s3, exec_lo
	v_mov_b32_e32 v24, v6
	s_waitcnt vmcnt(0)
	v_cvt_f32_f16_e32 v4, v4
	s_delay_alu instid0(VALU_DEP_1) | instskip(NEXT) | instid1(VALU_DEP_1)
	v_div_scale_f32 v5, null, v48, v48, v4
	v_rcp_f32_e32 v8, v5
	s_waitcnt_depctr 0xfff
	v_fma_f32 v21, -v5, v8, 1.0
	s_delay_alu instid0(VALU_DEP_1) | instskip(SKIP_1) | instid1(VALU_DEP_1)
	v_fmac_f32_e32 v8, v21, v8
	v_div_scale_f32 v21, vcc_lo, v4, v48, v4
	v_mul_f32_e32 v22, v21, v8
	s_delay_alu instid0(VALU_DEP_1) | instskip(NEXT) | instid1(VALU_DEP_1)
	v_fma_f32 v23, -v5, v22, v21
	v_fmac_f32_e32 v22, v23, v8
	s_delay_alu instid0(VALU_DEP_1) | instskip(NEXT) | instid1(VALU_DEP_1)
	v_fma_f32 v5, -v5, v22, v21
	v_div_fmas_f32 v5, v5, v8, v22
	s_delay_alu instid0(VALU_DEP_1) | instskip(NEXT) | instid1(VALU_DEP_1)
	v_div_fixup_f32 v4, v5, v48, v4
	v_cvt_f16_f32_e32 v4, v4
	s_delay_alu instid0(VALU_DEP_1) | instskip(NEXT) | instid1(VALU_DEP_1)
	v_cvt_f32_f16_e32 v4, v4
	v_lshrrev_b32_e32 v22, 24, v4
	v_and_b32_e32 v23, 0x7f800000, v4
	v_and_b32_e32 v5, 0x7fffff, v4
	s_delay_alu instid0(VALU_DEP_3) | instskip(NEXT) | instid1(VALU_DEP_1)
	v_and_b32_e32 v8, 0x80, v22
	v_or_b32_e32 v21, 0x7e, v8
	s_delay_alu instid0(VALU_DEP_4)
	v_cmpx_ne_u64_e32 0x7f800000, v[23:24]
	s_xor_b32 s53, exec_lo, s3
	s_cbranch_execz .LBB11_196
; %bb.181:                              ;   in Loop: Header=BB11_180 Depth=2
	v_dual_mov_b32 v23, v6 :: v_dual_and_b32 v22, 0x7fffffff, v4
	s_mov_b32 s3, exec_lo
	s_delay_alu instid0(VALU_DEP_1)
	v_cmpx_gt_u64_e32 0x43e00001, v[22:23]
	s_xor_b32 s54, exec_lo, s3
	s_cbranch_execz .LBB11_195
; %bb.182:                              ;   in Loop: Header=BB11_180 Depth=2
	v_mov_b32_e32 v21, 0
	s_mov_b32 s55, exec_lo
	v_cmpx_ne_u32_e32 0, v4
	s_cbranch_execz .LBB11_194
; %bb.183:                              ;   in Loop: Header=BB11_180 Depth=2
	v_bfe_u32 v23, v4, 23, 8
	v_or_b32_e32 v25, 0x800000, v5
	s_delay_alu instid0(VALU_DEP_2) | instskip(SKIP_1) | instid1(VALU_DEP_2)
	v_sub_nc_u32_e32 v4, 0x79, v23
	v_cmp_gt_u32_e32 vcc_lo, 0x7a, v23
	v_cndmask_b32_e32 v4, 0, v4, vcc_lo
	v_cmp_eq_u32_e32 vcc_lo, 0, v23
	v_cndmask_b32_e32 v5, v25, v5, vcc_lo
	s_delay_alu instid0(VALU_DEP_3) | instskip(NEXT) | instid1(VALU_DEP_1)
	v_cndmask_b32_e64 v24, v4, 0x78, vcc_lo
	v_add_nc_u32_e32 v4, 20, v24
	s_delay_alu instid0(VALU_DEP_1) | instskip(SKIP_1) | instid1(VALU_DEP_2)
	v_lshlrev_b64 v[21:22], v4, -1
	v_add_nc_u32_e32 v4, 19, v24
	v_not_b32_e32 v25, v22
	s_delay_alu instid0(VALU_DEP_3) | instskip(NEXT) | instid1(VALU_DEP_3)
	v_not_b32_e32 v27, v21
	v_lshlrev_b64 v[21:22], v4, 1
	s_delay_alu instid0(VALU_DEP_3) | instskip(NEXT) | instid1(VALU_DEP_3)
	v_and_b32_e32 v26, 0, v25
	v_and_b32_e32 v25, v5, v27
	v_lshrrev_b64 v[4:5], v24, v[5:6]
	s_delay_alu instid0(VALU_DEP_2) | instskip(NEXT) | instid1(VALU_DEP_2)
	v_cmp_eq_u64_e64 s3, v[25:26], v[21:22]
	v_dual_mov_b32 v22, v5 :: v_dual_mov_b32 v21, v4
	s_delay_alu instid0(VALU_DEP_2)
	s_and_saveexec_b32 s56, s3
; %bb.184:                              ;   in Loop: Header=BB11_180 Depth=2
	v_bfe_u32 v21, v4, 20, 1
	s_delay_alu instid0(VALU_DEP_1) | instskip(NEXT) | instid1(VALU_DEP_1)
	v_add_co_u32 v21, s3, v4, v21
	v_add_co_u32 v21, s3, v21, -1
; %bb.185:                              ;   in Loop: Header=BB11_180 Depth=2
	s_or_b32 exec_lo, exec_lo, s56
	v_add_nc_u32_e32 v22, 0xffffff81, v23
	v_lshrrev_b32_e32 v23, 23, v4
	s_mov_b32 s3, exec_lo
	s_delay_alu instid0(VALU_DEP_2) | instskip(NEXT) | instid1(VALU_DEP_1)
	v_cndmask_b32_e64 v22, v22, 0xffffff82, vcc_lo
	v_add3_u32 v23, v24, v22, v23
	v_and_b32_e32 v22, 0xfffff, v21
	s_delay_alu instid0(VALU_DEP_2) | instskip(NEXT) | instid1(VALU_DEP_2)
	v_add_nc_u32_e32 v21, 6, v23
	v_add_co_u32 v4, vcc_lo, v22, v4
	v_add_co_ci_u32_e32 v5, vcc_lo, 0, v5, vcc_lo
                                        ; implicit-def: $vgpr22
	s_delay_alu instid0(VALU_DEP_3)
	v_cmpx_ne_u32_e32 0, v21
	s_xor_b32 s3, exec_lo, s3
; %bb.186:                              ;   in Loop: Header=BB11_180 Depth=2
	s_delay_alu instid0(VALU_DEP_2) | instskip(SKIP_1) | instid1(VALU_DEP_1)
	v_cmp_lt_u64_e32 vcc_lo, 0xffffff, v[4:5]
	v_add_nc_u32_e32 v22, 7, v23
	v_cndmask_b32_e32 v22, v21, v22, vcc_lo
	v_cndmask_b32_e64 v21, 0, 1, vcc_lo
	s_delay_alu instid0(VALU_DEP_1)
	v_lshrrev_b64 v[4:5], v21, v[4:5]
; %bb.187:                              ;   in Loop: Header=BB11_180 Depth=2
	s_and_not1_saveexec_b32 s3, s3
; %bb.188:                              ;   in Loop: Header=BB11_180 Depth=2
	s_delay_alu instid0(VALU_DEP_1)
	v_bfe_u32 v22, v4, 23, 1
; %bb.189:                              ;   in Loop: Header=BB11_180 Depth=2
	s_or_b32 exec_lo, exec_lo, s3
	s_delay_alu instid0(VALU_DEP_2) | instskip(NEXT) | instid1(VALU_DEP_2)
	v_lshrrev_b64 v[4:5], 20, v[4:5]
	v_cmp_gt_i32_e32 vcc_lo, 16, v22
	v_cmp_ne_u32_e64 s3, 0, v22
                                        ; implicit-def: $vgpr21
	s_delay_alu instid0(VALU_DEP_3) | instskip(NEXT) | instid1(VALU_DEP_1)
	v_dual_cndmask_b32 v5, 0, v5 :: v_dual_cndmask_b32 v4, 7, v4
	v_cmp_ne_u64_e32 vcc_lo, 0, v[4:5]
	s_delay_alu instid0(VALU_DEP_3) | instskip(NEXT) | instid1(SALU_CYCLE_1)
	s_or_b32 s3, s3, vcc_lo
	s_and_saveexec_b32 s56, s3
	s_delay_alu instid0(SALU_CYCLE_1)
	s_xor_b32 s3, exec_lo, s56
; %bb.190:                              ;   in Loop: Header=BB11_180 Depth=2
	v_min_i32_e32 v5, 15, v22
	s_delay_alu instid0(VALU_DEP_1) | instskip(NEXT) | instid1(VALU_DEP_1)
	v_lshl_or_b32 v5, v5, 3, v8
                                        ; implicit-def: $vgpr8
	v_and_or_b32 v21, v4, 7, v5
; %bb.191:                              ;   in Loop: Header=BB11_180 Depth=2
	s_and_not1_saveexec_b32 s3, s3
; %bb.192:                              ;   in Loop: Header=BB11_180 Depth=2
	v_mov_b32_e32 v21, v8
; %bb.193:                              ;   in Loop: Header=BB11_180 Depth=2
	s_or_b32 exec_lo, exec_lo, s3
.LBB11_194:                             ;   in Loop: Header=BB11_180 Depth=2
	s_delay_alu instid0(SALU_CYCLE_1)
	s_or_b32 exec_lo, exec_lo, s55
.LBB11_195:                             ;   in Loop: Header=BB11_180 Depth=2
	s_and_not1_saveexec_b32 s3, s54
	s_delay_alu instid0(SALU_CYCLE_1)
	s_or_b32 exec_lo, exec_lo, s3
                                        ; implicit-def: $vgpr22
.LBB11_196:                             ;   in Loop: Header=BB11_180 Depth=2
	s_and_not1_saveexec_b32 s3, s53
	s_cbranch_execz .LBB11_179
; %bb.197:                              ;   in Loop: Header=BB11_180 Depth=2
	v_cmp_eq_u64_e32 vcc_lo, 0, v[5:6]
	v_or_b32_e32 v4, 0x7f, v22
	s_delay_alu instid0(VALU_DEP_1)
	v_cndmask_b32_e32 v21, v4, v21, vcc_lo
	s_branch .LBB11_179
.LBB11_198:                             ;   in Loop: Header=BB11_9 Depth=1
	s_or_b32 exec_lo, exec_lo, s51
                                        ; implicit-def: $vgpr48
.LBB11_199:                             ;   in Loop: Header=BB11_9 Depth=1
	s_and_not1_saveexec_b32 s50, s50
	s_cbranch_execz .LBB11_348
; %bb.200:                              ;   in Loop: Header=BB11_9 Depth=1
	s_and_saveexec_b32 s51, s2
	s_cbranch_execz .LBB11_347
; %bb.201:                              ;   in Loop: Header=BB11_9 Depth=1
	v_add_co_u32 v19, vcc_lo, v37, v13
	v_add_co_ci_u32_e32 v20, vcc_lo, v38, v14, vcc_lo
	v_dual_mov_b32 v22, v10 :: v_dual_mov_b32 v21, v9
	v_mov_b32_e32 v16, v36
	s_mov_b32 s52, 0
	s_branch .LBB11_203
.LBB11_202:                             ;   in Loop: Header=BB11_203 Depth=2
	s_or_b32 exec_lo, exec_lo, s3
	v_lshlrev_b32_e32 v3, 16, v27
	v_lshlrev_b32_e32 v4, 16, v25
	;; [unrolled: 1-line block ×5, first 2 shown]
	v_and_b32_e32 v3, 0xff0000, v3
	v_perm_b32 v1, v1, v4, 0x4020c0c
	v_and_b32_e32 v4, 0xff, v26
	v_and_b32_e32 v23, 0xff, v23
	;; [unrolled: 1-line block ×3, first 2 shown]
	v_or_b32_e32 v3, v5, v3
	v_and_or_b32 v1, 0xff00, v8, v1
	v_add_nc_u32_e32 v16, 32, v16
	s_delay_alu instid0(VALU_DEP_3) | instskip(NEXT) | instid1(VALU_DEP_3)
	v_or3_b32 v2, v3, v2, v4
	v_or_b32_e32 v1, v1, v23
	s_delay_alu instid0(VALU_DEP_3) | instskip(SKIP_2) | instid1(VALU_DEP_1)
	v_cmp_le_i32_e32 vcc_lo, s40, v16
	global_store_b64 v[21:22], v[1:2], off
	v_add_co_u32 v21, s3, 0x100, v21
	v_add_co_ci_u32_e64 v22, s3, 0, v22, s3
	v_add_co_u32 v19, s3, 0x200, v19
	s_delay_alu instid0(VALU_DEP_1) | instskip(SKIP_1) | instid1(SALU_CYCLE_1)
	v_add_co_ci_u32_e64 v20, s3, 0, v20, s3
	s_or_b32 s52, vcc_lo, s52
	s_and_not1_b32 exec_lo, exec_lo, s52
	s_cbranch_execz .LBB11_347
.LBB11_203:                             ;   Parent Loop BB11_9 Depth=1
                                        ; =>  This Inner Loop Header: Depth=2
	global_load_b128 v[1:4], v[19:20], off
	v_mov_b32_e32 v27, v6
	s_mov_b32 s3, exec_lo
	s_waitcnt vmcnt(0)
	v_cvt_f32_f16_e32 v5, v1
	s_delay_alu instid0(VALU_DEP_1) | instskip(NEXT) | instid1(VALU_DEP_1)
	v_div_scale_f32 v8, null, v48, v48, v5
	v_rcp_f32_e32 v23, v8
	s_waitcnt_depctr 0xfff
	v_fma_f32 v24, -v8, v23, 1.0
	s_delay_alu instid0(VALU_DEP_1) | instskip(SKIP_1) | instid1(VALU_DEP_1)
	v_fmac_f32_e32 v23, v24, v23
	v_div_scale_f32 v24, vcc_lo, v5, v48, v5
	v_mul_f32_e32 v25, v24, v23
	s_delay_alu instid0(VALU_DEP_1) | instskip(NEXT) | instid1(VALU_DEP_1)
	v_fma_f32 v26, -v8, v25, v24
	v_fmac_f32_e32 v25, v26, v23
	s_delay_alu instid0(VALU_DEP_1) | instskip(NEXT) | instid1(VALU_DEP_1)
	v_fma_f32 v8, -v8, v25, v24
	v_div_fmas_f32 v8, v8, v23, v25
	s_delay_alu instid0(VALU_DEP_1) | instskip(NEXT) | instid1(VALU_DEP_1)
	v_div_fixup_f32 v5, v8, v48, v5
	v_cvt_f16_f32_e32 v5, v5
	s_delay_alu instid0(VALU_DEP_1) | instskip(NEXT) | instid1(VALU_DEP_1)
	v_cvt_f32_f16_e32 v25, v5
	v_lshrrev_b32_e32 v24, 24, v25
	v_and_b32_e32 v26, 0x7f800000, v25
	v_and_b32_e32 v5, 0x7fffff, v25
	s_delay_alu instid0(VALU_DEP_3) | instskip(NEXT) | instid1(VALU_DEP_1)
	v_and_b32_e32 v8, 0x80, v24
	v_or_b32_e32 v23, 0x7e, v8
	s_delay_alu instid0(VALU_DEP_4)
	v_cmpx_ne_u64_e32 0x7f800000, v[26:27]
	s_xor_b32 s53, exec_lo, s3
	s_cbranch_execz .LBB11_219
; %bb.204:                              ;   in Loop: Header=BB11_203 Depth=2
	v_dual_mov_b32 v27, v6 :: v_dual_and_b32 v26, 0x7fffffff, v25
	s_mov_b32 s3, exec_lo
	s_delay_alu instid0(VALU_DEP_1)
	v_cmpx_gt_u64_e32 0x43e00001, v[26:27]
	s_xor_b32 s54, exec_lo, s3
	s_cbranch_execz .LBB11_218
; %bb.205:                              ;   in Loop: Header=BB11_203 Depth=2
	s_mov_b32 s55, exec_lo
	v_mov_b32_e32 v23, 0
	v_mov_b32_e32 v24, 0
	v_cmpx_ne_u32_e32 0, v25
	s_cbranch_execz .LBB11_217
; %bb.206:                              ;   in Loop: Header=BB11_203 Depth=2
	v_bfe_u32 v27, v25, 23, 8
	v_or_b32_e32 v25, 0x800000, v5
	s_delay_alu instid0(VALU_DEP_2) | instskip(SKIP_1) | instid1(VALU_DEP_2)
	v_sub_nc_u32_e32 v23, 0x79, v27
	v_cmp_gt_u32_e32 vcc_lo, 0x7a, v27
	v_cndmask_b32_e32 v23, 0, v23, vcc_lo
	v_cmp_eq_u32_e32 vcc_lo, 0, v27
	s_delay_alu instid0(VALU_DEP_2) | instskip(SKIP_1) | instid1(VALU_DEP_2)
	v_cndmask_b32_e64 v28, v23, 0x78, vcc_lo
	v_cndmask_b32_e32 v5, v25, v5, vcc_lo
	v_add_nc_u32_e32 v23, 20, v28
	v_add_nc_u32_e32 v25, 19, v28
	s_delay_alu instid0(VALU_DEP_2) | instskip(NEXT) | instid1(VALU_DEP_2)
	v_lshlrev_b64 v[23:24], v23, -1
	v_lshlrev_b64 v[25:26], v25, 1
	s_delay_alu instid0(VALU_DEP_2) | instskip(NEXT) | instid1(VALU_DEP_3)
	v_not_b32_e32 v24, v24
	v_not_b32_e32 v23, v23
	s_delay_alu instid0(VALU_DEP_2) | instskip(NEXT) | instid1(VALU_DEP_2)
	v_and_b32_e32 v30, 0, v24
	v_and_b32_e32 v29, v5, v23
	v_lshrrev_b64 v[23:24], v28, v[5:6]
	s_delay_alu instid0(VALU_DEP_2) | instskip(NEXT) | instid1(VALU_DEP_2)
	v_cmp_eq_u64_e64 s3, v[29:30], v[25:26]
	v_dual_mov_b32 v26, v24 :: v_dual_mov_b32 v25, v23
	s_delay_alu instid0(VALU_DEP_2)
	s_and_saveexec_b32 s56, s3
; %bb.207:                              ;   in Loop: Header=BB11_203 Depth=2
	v_bfe_u32 v5, v23, 20, 1
	s_delay_alu instid0(VALU_DEP_1) | instskip(NEXT) | instid1(VALU_DEP_1)
	v_add_co_u32 v5, s3, v23, v5
	v_add_co_u32 v25, s3, v5, -1
; %bb.208:                              ;   in Loop: Header=BB11_203 Depth=2
	s_or_b32 exec_lo, exec_lo, s56
	v_add_nc_u32_e32 v5, 0xffffff81, v27
	v_lshrrev_b32_e32 v26, 23, v23
	s_mov_b32 s3, exec_lo
	s_delay_alu instid0(VALU_DEP_2) | instskip(NEXT) | instid1(VALU_DEP_1)
	v_cndmask_b32_e64 v5, v5, 0xffffff82, vcc_lo
	v_add3_u32 v26, v28, v5, v26
	v_and_b32_e32 v5, 0xfffff, v25
	s_delay_alu instid0(VALU_DEP_2) | instskip(NEXT) | instid1(VALU_DEP_2)
	v_add_nc_u32_e32 v25, 6, v26
	v_add_co_u32 v23, vcc_lo, v5, v23
	v_add_co_ci_u32_e32 v24, vcc_lo, 0, v24, vcc_lo
                                        ; implicit-def: $vgpr5
	s_delay_alu instid0(VALU_DEP_3)
	v_cmpx_ne_u32_e32 0, v25
	s_xor_b32 s3, exec_lo, s3
; %bb.209:                              ;   in Loop: Header=BB11_203 Depth=2
	s_delay_alu instid0(VALU_DEP_2) | instskip(SKIP_1) | instid1(VALU_DEP_1)
	v_cmp_lt_u64_e32 vcc_lo, 0xffffff, v[23:24]
	v_add_nc_u32_e32 v5, 7, v26
	v_cndmask_b32_e32 v5, v25, v5, vcc_lo
	v_cndmask_b32_e64 v25, 0, 1, vcc_lo
	s_delay_alu instid0(VALU_DEP_1)
	v_lshrrev_b64 v[23:24], v25, v[23:24]
; %bb.210:                              ;   in Loop: Header=BB11_203 Depth=2
	s_and_not1_saveexec_b32 s3, s3
; %bb.211:                              ;   in Loop: Header=BB11_203 Depth=2
	s_delay_alu instid0(VALU_DEP_1)
	v_bfe_u32 v5, v23, 23, 1
; %bb.212:                              ;   in Loop: Header=BB11_203 Depth=2
	s_or_b32 exec_lo, exec_lo, s3
	s_delay_alu instid0(VALU_DEP_2) | instskip(NEXT) | instid1(VALU_DEP_2)
	v_lshrrev_b64 v[23:24], 20, v[23:24]
	v_cmp_gt_i32_e32 vcc_lo, 16, v5
	v_cmp_ne_u32_e64 s3, 0, v5
	s_delay_alu instid0(VALU_DEP_3) | instskip(NEXT) | instid1(VALU_DEP_1)
	v_dual_cndmask_b32 v26, 0, v24 :: v_dual_cndmask_b32 v25, 7, v23
                                        ; implicit-def: $vgpr23_vgpr24
	v_cmp_ne_u64_e32 vcc_lo, 0, v[25:26]
	s_delay_alu instid0(VALU_DEP_3) | instskip(NEXT) | instid1(SALU_CYCLE_1)
	s_or_b32 s3, s3, vcc_lo
	s_and_saveexec_b32 s56, s3
	s_delay_alu instid0(SALU_CYCLE_1)
	s_xor_b32 s3, exec_lo, s56
; %bb.213:                              ;   in Loop: Header=BB11_203 Depth=2
	v_min_i32_e32 v5, 15, v5
	s_delay_alu instid0(VALU_DEP_1) | instskip(NEXT) | instid1(VALU_DEP_1)
	v_lshl_or_b32 v5, v5, 3, v8
                                        ; implicit-def: $vgpr8
	v_and_or_b32 v23, v25, 7, v5
; %bb.214:                              ;   in Loop: Header=BB11_203 Depth=2
	s_and_not1_saveexec_b32 s3, s3
; %bb.215:                              ;   in Loop: Header=BB11_203 Depth=2
	v_dual_mov_b32 v24, v9 :: v_dual_mov_b32 v23, v8
; %bb.216:                              ;   in Loop: Header=BB11_203 Depth=2
	s_or_b32 exec_lo, exec_lo, s3
.LBB11_217:                             ;   in Loop: Header=BB11_203 Depth=2
	s_delay_alu instid0(SALU_CYCLE_1)
	s_or_b32 exec_lo, exec_lo, s55
.LBB11_218:                             ;   in Loop: Header=BB11_203 Depth=2
	s_and_not1_saveexec_b32 s3, s54
	s_delay_alu instid0(SALU_CYCLE_1)
	s_or_b32 exec_lo, exec_lo, s3
                                        ; implicit-def: $vgpr24
.LBB11_219:                             ;   in Loop: Header=BB11_203 Depth=2
	s_and_not1_saveexec_b32 s3, s53
; %bb.220:                              ;   in Loop: Header=BB11_203 Depth=2
	v_cmp_eq_u64_e32 vcc_lo, 0, v[5:6]
	v_or_b32_e32 v8, 0x7f, v24
	s_delay_alu instid0(VALU_DEP_1)
	v_cndmask_b32_e32 v23, v8, v23, vcc_lo
; %bb.221:                              ;   in Loop: Header=BB11_203 Depth=2
	s_or_b32 exec_lo, exec_lo, s3
	v_lshrrev_b32_e32 v1, 16, v1
	s_mov_b32 s3, exec_lo
	v_mov_b32_e32 v27, v6
	s_delay_alu instid0(VALU_DEP_2) | instskip(NEXT) | instid1(VALU_DEP_1)
	v_cvt_f32_f16_e32 v1, v1
	v_div_scale_f32 v5, null, v48, v48, v1
	s_delay_alu instid0(VALU_DEP_1) | instskip(SKIP_2) | instid1(VALU_DEP_1)
	v_rcp_f32_e32 v8, v5
	s_waitcnt_depctr 0xfff
	v_fma_f32 v24, -v5, v8, 1.0
	v_fmac_f32_e32 v8, v24, v8
	v_div_scale_f32 v24, vcc_lo, v1, v48, v1
	s_delay_alu instid0(VALU_DEP_1) | instskip(NEXT) | instid1(VALU_DEP_1)
	v_mul_f32_e32 v25, v24, v8
	v_fma_f32 v26, -v5, v25, v24
	s_delay_alu instid0(VALU_DEP_1) | instskip(NEXT) | instid1(VALU_DEP_1)
	v_fmac_f32_e32 v25, v26, v8
	v_fma_f32 v5, -v5, v25, v24
	s_delay_alu instid0(VALU_DEP_1) | instskip(NEXT) | instid1(VALU_DEP_1)
	v_div_fmas_f32 v5, v5, v8, v25
	v_div_fixup_f32 v1, v5, v48, v1
	s_delay_alu instid0(VALU_DEP_1) | instskip(NEXT) | instid1(VALU_DEP_1)
	v_cvt_f16_f32_e32 v1, v1
	v_cvt_f32_f16_e32 v8, v1
	s_delay_alu instid0(VALU_DEP_1) | instskip(SKIP_2) | instid1(VALU_DEP_3)
	v_lshrrev_b32_e32 v25, 24, v8
	v_and_b32_e32 v26, 0x7f800000, v8
	v_and_b32_e32 v5, 0x7fffff, v8
	;; [unrolled: 1-line block ×3, first 2 shown]
	s_delay_alu instid0(VALU_DEP_1) | instskip(NEXT) | instid1(VALU_DEP_4)
	v_or_b32_e32 v24, 0x7e, v1
	v_cmpx_ne_u64_e32 0x7f800000, v[26:27]
	s_xor_b32 s53, exec_lo, s3
	s_cbranch_execz .LBB11_237
; %bb.222:                              ;   in Loop: Header=BB11_203 Depth=2
	v_dual_mov_b32 v26, v6 :: v_dual_and_b32 v25, 0x7fffffff, v8
	s_mov_b32 s3, exec_lo
	s_delay_alu instid0(VALU_DEP_1)
	v_cmpx_gt_u64_e32 0x43e00001, v[25:26]
	s_xor_b32 s54, exec_lo, s3
	s_cbranch_execz .LBB11_236
; %bb.223:                              ;   in Loop: Header=BB11_203 Depth=2
	s_mov_b32 s55, exec_lo
	v_mov_b32_e32 v24, 0
	v_mov_b32_e32 v25, 0
	v_cmpx_ne_u32_e32 0, v8
	s_cbranch_execz .LBB11_235
; %bb.224:                              ;   in Loop: Header=BB11_203 Depth=2
	v_bfe_u32 v8, v8, 23, 8
	v_or_b32_e32 v26, 0x800000, v5
	s_delay_alu instid0(VALU_DEP_2) | instskip(SKIP_1) | instid1(VALU_DEP_2)
	v_sub_nc_u32_e32 v24, 0x79, v8
	v_cmp_gt_u32_e32 vcc_lo, 0x7a, v8
	v_cndmask_b32_e32 v24, 0, v24, vcc_lo
	v_cmp_eq_u32_e32 vcc_lo, 0, v8
	v_cndmask_b32_e32 v5, v26, v5, vcc_lo
	s_delay_alu instid0(VALU_DEP_3) | instskip(NEXT) | instid1(VALU_DEP_1)
	v_cndmask_b32_e64 v28, v24, 0x78, vcc_lo
	v_add_nc_u32_e32 v24, 20, v28
	v_add_nc_u32_e32 v26, 19, v28
	s_delay_alu instid0(VALU_DEP_2) | instskip(NEXT) | instid1(VALU_DEP_2)
	v_lshlrev_b64 v[24:25], v24, -1
	v_lshlrev_b64 v[26:27], v26, 1
	s_delay_alu instid0(VALU_DEP_2) | instskip(NEXT) | instid1(VALU_DEP_3)
	v_not_b32_e32 v25, v25
	v_not_b32_e32 v24, v24
	s_delay_alu instid0(VALU_DEP_2) | instskip(NEXT) | instid1(VALU_DEP_2)
	v_and_b32_e32 v30, 0, v25
	v_and_b32_e32 v29, v5, v24
	v_lshrrev_b64 v[24:25], v28, v[5:6]
	s_delay_alu instid0(VALU_DEP_2) | instskip(NEXT) | instid1(VALU_DEP_2)
	v_cmp_eq_u64_e64 s3, v[29:30], v[26:27]
	v_dual_mov_b32 v27, v25 :: v_dual_mov_b32 v26, v24
	s_delay_alu instid0(VALU_DEP_2)
	s_and_saveexec_b32 s56, s3
; %bb.225:                              ;   in Loop: Header=BB11_203 Depth=2
	v_bfe_u32 v5, v24, 20, 1
	s_delay_alu instid0(VALU_DEP_1) | instskip(NEXT) | instid1(VALU_DEP_1)
	v_add_co_u32 v5, s3, v24, v5
	v_add_co_u32 v26, s3, v5, -1
; %bb.226:                              ;   in Loop: Header=BB11_203 Depth=2
	s_or_b32 exec_lo, exec_lo, s56
	v_add_nc_u32_e32 v5, 0xffffff81, v8
	v_lshrrev_b32_e32 v8, 23, v24
	s_mov_b32 s3, exec_lo
	s_delay_alu instid0(VALU_DEP_2) | instskip(NEXT) | instid1(VALU_DEP_1)
	v_cndmask_b32_e64 v5, v5, 0xffffff82, vcc_lo
	v_add3_u32 v8, v28, v5, v8
	v_and_b32_e32 v5, 0xfffff, v26
	s_delay_alu instid0(VALU_DEP_2) | instskip(NEXT) | instid1(VALU_DEP_2)
	v_add_nc_u32_e32 v26, 6, v8
	v_add_co_u32 v24, vcc_lo, v5, v24
	v_add_co_ci_u32_e32 v25, vcc_lo, 0, v25, vcc_lo
                                        ; implicit-def: $vgpr5
	s_delay_alu instid0(VALU_DEP_3)
	v_cmpx_ne_u32_e32 0, v26
	s_xor_b32 s3, exec_lo, s3
; %bb.227:                              ;   in Loop: Header=BB11_203 Depth=2
	s_delay_alu instid0(VALU_DEP_2) | instskip(SKIP_2) | instid1(VALU_DEP_2)
	v_cmp_lt_u64_e32 vcc_lo, 0xffffff, v[24:25]
	v_add_nc_u32_e32 v5, 7, v8
	v_cndmask_b32_e64 v8, 0, 1, vcc_lo
	v_cndmask_b32_e32 v5, v26, v5, vcc_lo
	s_delay_alu instid0(VALU_DEP_2)
	v_lshrrev_b64 v[24:25], v8, v[24:25]
; %bb.228:                              ;   in Loop: Header=BB11_203 Depth=2
	s_and_not1_saveexec_b32 s3, s3
; %bb.229:                              ;   in Loop: Header=BB11_203 Depth=2
	s_delay_alu instid0(VALU_DEP_1)
	v_bfe_u32 v5, v24, 23, 1
; %bb.230:                              ;   in Loop: Header=BB11_203 Depth=2
	s_or_b32 exec_lo, exec_lo, s3
	s_delay_alu instid0(VALU_DEP_2) | instskip(NEXT) | instid1(VALU_DEP_2)
	v_lshrrev_b64 v[24:25], 20, v[24:25]
	v_cmp_gt_i32_e32 vcc_lo, 16, v5
	v_cmp_ne_u32_e64 s3, 0, v5
	s_delay_alu instid0(VALU_DEP_3) | instskip(NEXT) | instid1(VALU_DEP_1)
	v_dual_cndmask_b32 v27, 0, v25 :: v_dual_cndmask_b32 v26, 7, v24
                                        ; implicit-def: $vgpr24_vgpr25
	v_cmp_ne_u64_e32 vcc_lo, 0, v[26:27]
	s_delay_alu instid0(VALU_DEP_3) | instskip(NEXT) | instid1(SALU_CYCLE_1)
	s_or_b32 s3, s3, vcc_lo
	s_and_saveexec_b32 s56, s3
	s_delay_alu instid0(SALU_CYCLE_1)
	s_xor_b32 s3, exec_lo, s56
; %bb.231:                              ;   in Loop: Header=BB11_203 Depth=2
	v_min_i32_e32 v5, 15, v5
	s_delay_alu instid0(VALU_DEP_1) | instskip(NEXT) | instid1(VALU_DEP_1)
	v_lshl_or_b32 v1, v5, 3, v1
	v_and_or_b32 v24, v26, 7, v1
                                        ; implicit-def: $vgpr1
; %bb.232:                              ;   in Loop: Header=BB11_203 Depth=2
	s_and_not1_saveexec_b32 s3, s3
; %bb.233:                              ;   in Loop: Header=BB11_203 Depth=2
	v_dual_mov_b32 v25, v2 :: v_dual_mov_b32 v24, v1
; %bb.234:                              ;   in Loop: Header=BB11_203 Depth=2
	s_or_b32 exec_lo, exec_lo, s3
.LBB11_235:                             ;   in Loop: Header=BB11_203 Depth=2
	s_delay_alu instid0(SALU_CYCLE_1)
	s_or_b32 exec_lo, exec_lo, s55
.LBB11_236:                             ;   in Loop: Header=BB11_203 Depth=2
	s_and_not1_saveexec_b32 s3, s54
	s_delay_alu instid0(SALU_CYCLE_1)
	s_or_b32 exec_lo, exec_lo, s3
                                        ; implicit-def: $vgpr25
.LBB11_237:                             ;   in Loop: Header=BB11_203 Depth=2
	s_and_not1_saveexec_b32 s3, s53
; %bb.238:                              ;   in Loop: Header=BB11_203 Depth=2
	v_cmp_eq_u64_e32 vcc_lo, 0, v[5:6]
	v_or_b32_e32 v1, 0x7f, v25
	s_delay_alu instid0(VALU_DEP_1)
	v_cndmask_b32_e32 v24, v1, v24, vcc_lo
; %bb.239:                              ;   in Loop: Header=BB11_203 Depth=2
	s_or_b32 exec_lo, exec_lo, s3
	v_cvt_f32_f16_e32 v1, v2
	s_mov_b32 s3, exec_lo
	v_mov_b32_e32 v28, v6
	s_delay_alu instid0(VALU_DEP_2) | instskip(NEXT) | instid1(VALU_DEP_1)
	v_div_scale_f32 v5, null, v48, v48, v1
	v_rcp_f32_e32 v8, v5
	s_waitcnt_depctr 0xfff
	v_fma_f32 v25, -v5, v8, 1.0
	s_delay_alu instid0(VALU_DEP_1) | instskip(SKIP_1) | instid1(VALU_DEP_1)
	v_fmac_f32_e32 v8, v25, v8
	v_div_scale_f32 v25, vcc_lo, v1, v48, v1
	v_mul_f32_e32 v26, v25, v8
	s_delay_alu instid0(VALU_DEP_1) | instskip(NEXT) | instid1(VALU_DEP_1)
	v_fma_f32 v27, -v5, v26, v25
	v_fmac_f32_e32 v26, v27, v8
	s_delay_alu instid0(VALU_DEP_1) | instskip(NEXT) | instid1(VALU_DEP_1)
	v_fma_f32 v5, -v5, v26, v25
	v_div_fmas_f32 v5, v5, v8, v26
	s_delay_alu instid0(VALU_DEP_1) | instskip(NEXT) | instid1(VALU_DEP_1)
	v_div_fixup_f32 v1, v5, v48, v1
	v_cvt_f16_f32_e32 v1, v1
	s_delay_alu instid0(VALU_DEP_1) | instskip(NEXT) | instid1(VALU_DEP_1)
	v_cvt_f32_f16_e32 v8, v1
	v_lshrrev_b32_e32 v26, 24, v8
	v_and_b32_e32 v27, 0x7f800000, v8
	v_and_b32_e32 v5, 0x7fffff, v8
	s_delay_alu instid0(VALU_DEP_3) | instskip(NEXT) | instid1(VALU_DEP_1)
	v_and_b32_e32 v1, 0x80, v26
	v_or_b32_e32 v25, 0x7e, v1
	s_delay_alu instid0(VALU_DEP_4)
	v_cmpx_ne_u64_e32 0x7f800000, v[27:28]
	s_xor_b32 s53, exec_lo, s3
	s_cbranch_execz .LBB11_255
; %bb.240:                              ;   in Loop: Header=BB11_203 Depth=2
	v_dual_mov_b32 v27, v6 :: v_dual_and_b32 v26, 0x7fffffff, v8
	s_mov_b32 s3, exec_lo
	s_delay_alu instid0(VALU_DEP_1)
	v_cmpx_gt_u64_e32 0x43e00001, v[26:27]
	s_xor_b32 s54, exec_lo, s3
	s_cbranch_execz .LBB11_254
; %bb.241:                              ;   in Loop: Header=BB11_203 Depth=2
	s_mov_b32 s55, exec_lo
	v_mov_b32_e32 v25, 0
	v_mov_b32_e32 v26, 0
	v_cmpx_ne_u32_e32 0, v8
	s_cbranch_execz .LBB11_253
; %bb.242:                              ;   in Loop: Header=BB11_203 Depth=2
	v_bfe_u32 v8, v8, 23, 8
	v_or_b32_e32 v27, 0x800000, v5
	s_delay_alu instid0(VALU_DEP_2) | instskip(SKIP_1) | instid1(VALU_DEP_2)
	v_sub_nc_u32_e32 v25, 0x79, v8
	v_cmp_gt_u32_e32 vcc_lo, 0x7a, v8
	v_cndmask_b32_e32 v25, 0, v25, vcc_lo
	v_cmp_eq_u32_e32 vcc_lo, 0, v8
	s_delay_alu instid0(VALU_DEP_2) | instskip(SKIP_1) | instid1(VALU_DEP_2)
	v_cndmask_b32_e64 v29, v25, 0x78, vcc_lo
	v_cndmask_b32_e32 v5, v27, v5, vcc_lo
	v_add_nc_u32_e32 v25, 20, v29
	v_add_nc_u32_e32 v27, 19, v29
	s_delay_alu instid0(VALU_DEP_2) | instskip(NEXT) | instid1(VALU_DEP_2)
	v_lshlrev_b64 v[25:26], v25, -1
	v_lshlrev_b64 v[27:28], v27, 1
	s_delay_alu instid0(VALU_DEP_2) | instskip(NEXT) | instid1(VALU_DEP_3)
	v_not_b32_e32 v26, v26
	v_not_b32_e32 v25, v25
	s_delay_alu instid0(VALU_DEP_2) | instskip(NEXT) | instid1(VALU_DEP_2)
	v_and_b32_e32 v31, 0, v26
	v_and_b32_e32 v30, v5, v25
	v_lshrrev_b64 v[25:26], v29, v[5:6]
	s_delay_alu instid0(VALU_DEP_2) | instskip(NEXT) | instid1(VALU_DEP_2)
	v_cmp_eq_u64_e64 s3, v[30:31], v[27:28]
	v_dual_mov_b32 v28, v26 :: v_dual_mov_b32 v27, v25
	s_delay_alu instid0(VALU_DEP_2)
	s_and_saveexec_b32 s56, s3
; %bb.243:                              ;   in Loop: Header=BB11_203 Depth=2
	v_bfe_u32 v5, v25, 20, 1
	s_delay_alu instid0(VALU_DEP_1) | instskip(NEXT) | instid1(VALU_DEP_1)
	v_add_co_u32 v5, s3, v25, v5
	v_add_co_u32 v27, s3, v5, -1
; %bb.244:                              ;   in Loop: Header=BB11_203 Depth=2
	s_or_b32 exec_lo, exec_lo, s56
	v_add_nc_u32_e32 v5, 0xffffff81, v8
	v_lshrrev_b32_e32 v8, 23, v25
	s_mov_b32 s3, exec_lo
	s_delay_alu instid0(VALU_DEP_2) | instskip(NEXT) | instid1(VALU_DEP_1)
	v_cndmask_b32_e64 v5, v5, 0xffffff82, vcc_lo
	v_add3_u32 v8, v29, v5, v8
	v_and_b32_e32 v5, 0xfffff, v27
	s_delay_alu instid0(VALU_DEP_2) | instskip(NEXT) | instid1(VALU_DEP_2)
	v_add_nc_u32_e32 v27, 6, v8
	v_add_co_u32 v25, vcc_lo, v5, v25
	v_add_co_ci_u32_e32 v26, vcc_lo, 0, v26, vcc_lo
                                        ; implicit-def: $vgpr5
	s_delay_alu instid0(VALU_DEP_3)
	v_cmpx_ne_u32_e32 0, v27
	s_xor_b32 s3, exec_lo, s3
; %bb.245:                              ;   in Loop: Header=BB11_203 Depth=2
	s_delay_alu instid0(VALU_DEP_2) | instskip(SKIP_2) | instid1(VALU_DEP_2)
	v_cmp_lt_u64_e32 vcc_lo, 0xffffff, v[25:26]
	v_add_nc_u32_e32 v5, 7, v8
	v_cndmask_b32_e64 v8, 0, 1, vcc_lo
	v_cndmask_b32_e32 v5, v27, v5, vcc_lo
	s_delay_alu instid0(VALU_DEP_2)
	v_lshrrev_b64 v[25:26], v8, v[25:26]
; %bb.246:                              ;   in Loop: Header=BB11_203 Depth=2
	s_and_not1_saveexec_b32 s3, s3
; %bb.247:                              ;   in Loop: Header=BB11_203 Depth=2
	s_delay_alu instid0(VALU_DEP_1)
	v_bfe_u32 v5, v25, 23, 1
; %bb.248:                              ;   in Loop: Header=BB11_203 Depth=2
	s_or_b32 exec_lo, exec_lo, s3
	s_delay_alu instid0(VALU_DEP_2) | instskip(NEXT) | instid1(VALU_DEP_2)
	v_lshrrev_b64 v[25:26], 20, v[25:26]
	v_cmp_gt_i32_e32 vcc_lo, 16, v5
	v_cmp_ne_u32_e64 s3, 0, v5
	s_delay_alu instid0(VALU_DEP_3) | instskip(NEXT) | instid1(VALU_DEP_1)
	v_dual_cndmask_b32 v28, 0, v26 :: v_dual_cndmask_b32 v27, 7, v25
                                        ; implicit-def: $vgpr25_vgpr26
	v_cmp_ne_u64_e32 vcc_lo, 0, v[27:28]
	s_delay_alu instid0(VALU_DEP_3) | instskip(NEXT) | instid1(SALU_CYCLE_1)
	s_or_b32 s3, s3, vcc_lo
	s_and_saveexec_b32 s56, s3
	s_delay_alu instid0(SALU_CYCLE_1)
	s_xor_b32 s3, exec_lo, s56
; %bb.249:                              ;   in Loop: Header=BB11_203 Depth=2
	v_min_i32_e32 v5, 15, v5
	s_delay_alu instid0(VALU_DEP_1) | instskip(NEXT) | instid1(VALU_DEP_1)
	v_lshl_or_b32 v1, v5, 3, v1
	v_and_or_b32 v25, v27, 7, v1
                                        ; implicit-def: $vgpr1
; %bb.250:                              ;   in Loop: Header=BB11_203 Depth=2
	s_and_not1_saveexec_b32 s3, s3
; %bb.251:                              ;   in Loop: Header=BB11_203 Depth=2
	v_dual_mov_b32 v26, v2 :: v_dual_mov_b32 v25, v1
; %bb.252:                              ;   in Loop: Header=BB11_203 Depth=2
	s_or_b32 exec_lo, exec_lo, s3
.LBB11_253:                             ;   in Loop: Header=BB11_203 Depth=2
	s_delay_alu instid0(SALU_CYCLE_1)
	s_or_b32 exec_lo, exec_lo, s55
.LBB11_254:                             ;   in Loop: Header=BB11_203 Depth=2
	s_and_not1_saveexec_b32 s3, s54
	s_delay_alu instid0(SALU_CYCLE_1)
	s_or_b32 exec_lo, exec_lo, s3
                                        ; implicit-def: $vgpr26
.LBB11_255:                             ;   in Loop: Header=BB11_203 Depth=2
	s_and_not1_saveexec_b32 s3, s53
; %bb.256:                              ;   in Loop: Header=BB11_203 Depth=2
	v_cmp_eq_u64_e32 vcc_lo, 0, v[5:6]
	v_or_b32_e32 v1, 0x7f, v26
	s_delay_alu instid0(VALU_DEP_1)
	v_cndmask_b32_e32 v25, v1, v25, vcc_lo
; %bb.257:                              ;   in Loop: Header=BB11_203 Depth=2
	s_or_b32 exec_lo, exec_lo, s3
	v_lshrrev_b32_e32 v1, 16, v2
	s_mov_b32 s3, exec_lo
	v_mov_b32_e32 v28, v6
	s_delay_alu instid0(VALU_DEP_2) | instskip(NEXT) | instid1(VALU_DEP_1)
	v_cvt_f32_f16_e32 v1, v1
	v_div_scale_f32 v2, null, v48, v48, v1
	s_delay_alu instid0(VALU_DEP_1) | instskip(SKIP_2) | instid1(VALU_DEP_1)
	v_rcp_f32_e32 v5, v2
	s_waitcnt_depctr 0xfff
	v_fma_f32 v8, -v2, v5, 1.0
	v_fmac_f32_e32 v5, v8, v5
	v_div_scale_f32 v8, vcc_lo, v1, v48, v1
	s_delay_alu instid0(VALU_DEP_1) | instskip(NEXT) | instid1(VALU_DEP_1)
	v_mul_f32_e32 v26, v8, v5
	v_fma_f32 v27, -v2, v26, v8
	s_delay_alu instid0(VALU_DEP_1) | instskip(NEXT) | instid1(VALU_DEP_1)
	v_fmac_f32_e32 v26, v27, v5
	v_fma_f32 v2, -v2, v26, v8
	s_delay_alu instid0(VALU_DEP_1) | instskip(NEXT) | instid1(VALU_DEP_1)
	v_div_fmas_f32 v2, v2, v5, v26
	v_div_fixup_f32 v1, v2, v48, v1
	s_delay_alu instid0(VALU_DEP_1) | instskip(NEXT) | instid1(VALU_DEP_1)
	v_cvt_f16_f32_e32 v1, v1
	v_cvt_f32_f16_e32 v26, v1
	s_delay_alu instid0(VALU_DEP_1) | instskip(SKIP_2) | instid1(VALU_DEP_3)
	v_lshrrev_b32_e32 v2, 24, v26
	v_and_b32_e32 v27, 0x7f800000, v26
	v_and_b32_e32 v5, 0x7fffff, v26
	;; [unrolled: 1-line block ×3, first 2 shown]
	s_delay_alu instid0(VALU_DEP_1) | instskip(NEXT) | instid1(VALU_DEP_4)
	v_or_b32_e32 v1, 0x7e, v8
	v_cmpx_ne_u64_e32 0x7f800000, v[27:28]
	s_xor_b32 s53, exec_lo, s3
	s_cbranch_execz .LBB11_273
; %bb.258:                              ;   in Loop: Header=BB11_203 Depth=2
	v_dual_mov_b32 v28, v6 :: v_dual_and_b32 v27, 0x7fffffff, v26
	s_mov_b32 s3, exec_lo
	s_delay_alu instid0(VALU_DEP_1)
	v_cmpx_gt_u64_e32 0x43e00001, v[27:28]
	s_xor_b32 s54, exec_lo, s3
	s_cbranch_execz .LBB11_272
; %bb.259:                              ;   in Loop: Header=BB11_203 Depth=2
	s_mov_b32 s55, exec_lo
	v_mov_b32_e32 v1, 0
	v_mov_b32_e32 v2, 0
	v_cmpx_ne_u32_e32 0, v26
	s_cbranch_execz .LBB11_271
; %bb.260:                              ;   in Loop: Header=BB11_203 Depth=2
	v_bfe_u32 v28, v26, 23, 8
	v_or_b32_e32 v26, 0x800000, v5
	s_delay_alu instid0(VALU_DEP_2) | instskip(SKIP_1) | instid1(VALU_DEP_2)
	v_sub_nc_u32_e32 v1, 0x79, v28
	v_cmp_gt_u32_e32 vcc_lo, 0x7a, v28
	v_cndmask_b32_e32 v1, 0, v1, vcc_lo
	v_cmp_eq_u32_e32 vcc_lo, 0, v28
	s_delay_alu instid0(VALU_DEP_2) | instskip(SKIP_1) | instid1(VALU_DEP_2)
	v_cndmask_b32_e64 v29, v1, 0x78, vcc_lo
	v_cndmask_b32_e32 v5, v26, v5, vcc_lo
	v_add_nc_u32_e32 v1, 20, v29
	v_add_nc_u32_e32 v26, 19, v29
	s_delay_alu instid0(VALU_DEP_2) | instskip(NEXT) | instid1(VALU_DEP_2)
	v_lshlrev_b64 v[1:2], v1, -1
	v_lshlrev_b64 v[26:27], v26, 1
	s_delay_alu instid0(VALU_DEP_2) | instskip(NEXT) | instid1(VALU_DEP_3)
	v_not_b32_e32 v2, v2
	v_not_b32_e32 v1, v1
	s_delay_alu instid0(VALU_DEP_2) | instskip(NEXT) | instid1(VALU_DEP_2)
	v_and_b32_e32 v31, 0, v2
	v_and_b32_e32 v30, v5, v1
	v_lshrrev_b64 v[1:2], v29, v[5:6]
	s_delay_alu instid0(VALU_DEP_2) | instskip(NEXT) | instid1(VALU_DEP_2)
	v_cmp_eq_u64_e64 s3, v[30:31], v[26:27]
	v_dual_mov_b32 v27, v2 :: v_dual_mov_b32 v26, v1
	s_delay_alu instid0(VALU_DEP_2)
	s_and_saveexec_b32 s56, s3
; %bb.261:                              ;   in Loop: Header=BB11_203 Depth=2
	v_bfe_u32 v5, v1, 20, 1
	s_delay_alu instid0(VALU_DEP_1) | instskip(NEXT) | instid1(VALU_DEP_1)
	v_add_co_u32 v5, s3, v1, v5
	v_add_co_u32 v26, s3, v5, -1
; %bb.262:                              ;   in Loop: Header=BB11_203 Depth=2
	s_or_b32 exec_lo, exec_lo, s56
	v_add_nc_u32_e32 v5, 0xffffff81, v28
	v_lshrrev_b32_e32 v27, 23, v1
	s_mov_b32 s3, exec_lo
	s_delay_alu instid0(VALU_DEP_2) | instskip(NEXT) | instid1(VALU_DEP_1)
	v_cndmask_b32_e64 v5, v5, 0xffffff82, vcc_lo
	v_add3_u32 v27, v29, v5, v27
	v_and_b32_e32 v5, 0xfffff, v26
	s_delay_alu instid0(VALU_DEP_2) | instskip(NEXT) | instid1(VALU_DEP_2)
	v_add_nc_u32_e32 v26, 6, v27
	v_add_co_u32 v1, vcc_lo, v5, v1
	v_add_co_ci_u32_e32 v2, vcc_lo, 0, v2, vcc_lo
                                        ; implicit-def: $vgpr5
	s_delay_alu instid0(VALU_DEP_3)
	v_cmpx_ne_u32_e32 0, v26
	s_xor_b32 s3, exec_lo, s3
; %bb.263:                              ;   in Loop: Header=BB11_203 Depth=2
	s_delay_alu instid0(VALU_DEP_2) | instskip(SKIP_1) | instid1(VALU_DEP_1)
	v_cmp_lt_u64_e32 vcc_lo, 0xffffff, v[1:2]
	v_add_nc_u32_e32 v5, 7, v27
	v_cndmask_b32_e32 v5, v26, v5, vcc_lo
	v_cndmask_b32_e64 v26, 0, 1, vcc_lo
	s_delay_alu instid0(VALU_DEP_1)
	v_lshrrev_b64 v[1:2], v26, v[1:2]
; %bb.264:                              ;   in Loop: Header=BB11_203 Depth=2
	s_and_not1_saveexec_b32 s3, s3
; %bb.265:                              ;   in Loop: Header=BB11_203 Depth=2
	s_delay_alu instid0(VALU_DEP_1)
	v_bfe_u32 v5, v1, 23, 1
; %bb.266:                              ;   in Loop: Header=BB11_203 Depth=2
	s_or_b32 exec_lo, exec_lo, s3
	s_delay_alu instid0(VALU_DEP_2) | instskip(NEXT) | instid1(VALU_DEP_2)
	v_lshrrev_b64 v[1:2], 20, v[1:2]
	v_cmp_gt_i32_e32 vcc_lo, 16, v5
	v_cmp_ne_u32_e64 s3, 0, v5
	s_delay_alu instid0(VALU_DEP_3) | instskip(NEXT) | instid1(VALU_DEP_1)
	v_dual_cndmask_b32 v27, 0, v2 :: v_dual_cndmask_b32 v26, 7, v1
                                        ; implicit-def: $vgpr1_vgpr2
	v_cmp_ne_u64_e32 vcc_lo, 0, v[26:27]
	s_delay_alu instid0(VALU_DEP_3) | instskip(NEXT) | instid1(SALU_CYCLE_1)
	s_or_b32 s3, s3, vcc_lo
	s_and_saveexec_b32 s56, s3
	s_delay_alu instid0(SALU_CYCLE_1)
	s_xor_b32 s3, exec_lo, s56
; %bb.267:                              ;   in Loop: Header=BB11_203 Depth=2
	v_min_i32_e32 v1, 15, v5
	s_delay_alu instid0(VALU_DEP_1) | instskip(NEXT) | instid1(VALU_DEP_1)
	v_lshl_or_b32 v1, v1, 3, v8
                                        ; implicit-def: $vgpr8
	v_and_or_b32 v1, v26, 7, v1
; %bb.268:                              ;   in Loop: Header=BB11_203 Depth=2
	s_and_not1_saveexec_b32 s3, s3
; %bb.269:                              ;   in Loop: Header=BB11_203 Depth=2
	v_dual_mov_b32 v1, v8 :: v_dual_mov_b32 v2, v9
; %bb.270:                              ;   in Loop: Header=BB11_203 Depth=2
	s_or_b32 exec_lo, exec_lo, s3
.LBB11_271:                             ;   in Loop: Header=BB11_203 Depth=2
	s_delay_alu instid0(SALU_CYCLE_1)
	s_or_b32 exec_lo, exec_lo, s55
.LBB11_272:                             ;   in Loop: Header=BB11_203 Depth=2
	s_and_not1_saveexec_b32 s3, s54
	s_delay_alu instid0(SALU_CYCLE_1)
	s_or_b32 exec_lo, exec_lo, s3
                                        ; implicit-def: $vgpr2
.LBB11_273:                             ;   in Loop: Header=BB11_203 Depth=2
	s_and_not1_saveexec_b32 s3, s53
; %bb.274:                              ;   in Loop: Header=BB11_203 Depth=2
	v_cmp_eq_u64_e32 vcc_lo, 0, v[5:6]
	v_or_b32_e32 v2, 0x7f, v2
	s_delay_alu instid0(VALU_DEP_1)
	v_cndmask_b32_e32 v1, v2, v1, vcc_lo
; %bb.275:                              ;   in Loop: Header=BB11_203 Depth=2
	s_or_b32 exec_lo, exec_lo, s3
	v_cvt_f32_f16_e32 v2, v3
	s_mov_b32 s3, exec_lo
	v_mov_b32_e32 v29, v6
	s_delay_alu instid0(VALU_DEP_2) | instskip(NEXT) | instid1(VALU_DEP_1)
	v_div_scale_f32 v5, null, v48, v48, v2
	v_rcp_f32_e32 v8, v5
	s_waitcnt_depctr 0xfff
	v_fma_f32 v26, -v5, v8, 1.0
	s_delay_alu instid0(VALU_DEP_1) | instskip(SKIP_1) | instid1(VALU_DEP_1)
	v_fmac_f32_e32 v8, v26, v8
	v_div_scale_f32 v26, vcc_lo, v2, v48, v2
	v_mul_f32_e32 v27, v26, v8
	s_delay_alu instid0(VALU_DEP_1) | instskip(NEXT) | instid1(VALU_DEP_1)
	v_fma_f32 v28, -v5, v27, v26
	v_fmac_f32_e32 v27, v28, v8
	s_delay_alu instid0(VALU_DEP_1) | instskip(NEXT) | instid1(VALU_DEP_1)
	v_fma_f32 v5, -v5, v27, v26
	v_div_fmas_f32 v5, v5, v8, v27
	s_delay_alu instid0(VALU_DEP_1) | instskip(NEXT) | instid1(VALU_DEP_1)
	v_div_fixup_f32 v2, v5, v48, v2
	v_cvt_f16_f32_e32 v2, v2
	s_delay_alu instid0(VALU_DEP_1) | instskip(NEXT) | instid1(VALU_DEP_1)
	v_cvt_f32_f16_e32 v8, v2
	v_lshrrev_b32_e32 v27, 24, v8
	v_and_b32_e32 v28, 0x7f800000, v8
	v_and_b32_e32 v5, 0x7fffff, v8
	s_delay_alu instid0(VALU_DEP_3) | instskip(NEXT) | instid1(VALU_DEP_1)
	v_and_b32_e32 v2, 0x80, v27
	v_or_b32_e32 v26, 0x7e, v2
	s_delay_alu instid0(VALU_DEP_4)
	v_cmpx_ne_u64_e32 0x7f800000, v[28:29]
	s_xor_b32 s53, exec_lo, s3
	s_cbranch_execz .LBB11_291
; %bb.276:                              ;   in Loop: Header=BB11_203 Depth=2
	v_dual_mov_b32 v28, v6 :: v_dual_and_b32 v27, 0x7fffffff, v8
	s_mov_b32 s3, exec_lo
	s_delay_alu instid0(VALU_DEP_1)
	v_cmpx_gt_u64_e32 0x43e00001, v[27:28]
	s_xor_b32 s54, exec_lo, s3
	s_cbranch_execz .LBB11_290
; %bb.277:                              ;   in Loop: Header=BB11_203 Depth=2
	s_mov_b32 s55, exec_lo
	v_mov_b32_e32 v26, 0
	v_mov_b32_e32 v27, 0
	v_cmpx_ne_u32_e32 0, v8
	s_cbranch_execz .LBB11_289
; %bb.278:                              ;   in Loop: Header=BB11_203 Depth=2
	v_bfe_u32 v8, v8, 23, 8
	v_or_b32_e32 v28, 0x800000, v5
	s_delay_alu instid0(VALU_DEP_2) | instskip(SKIP_1) | instid1(VALU_DEP_2)
	v_sub_nc_u32_e32 v26, 0x79, v8
	v_cmp_gt_u32_e32 vcc_lo, 0x7a, v8
	v_cndmask_b32_e32 v26, 0, v26, vcc_lo
	v_cmp_eq_u32_e32 vcc_lo, 0, v8
	v_cndmask_b32_e32 v5, v28, v5, vcc_lo
	s_delay_alu instid0(VALU_DEP_3) | instskip(NEXT) | instid1(VALU_DEP_1)
	v_cndmask_b32_e64 v30, v26, 0x78, vcc_lo
	v_add_nc_u32_e32 v26, 20, v30
	v_add_nc_u32_e32 v28, 19, v30
	s_delay_alu instid0(VALU_DEP_2) | instskip(NEXT) | instid1(VALU_DEP_2)
	v_lshlrev_b64 v[26:27], v26, -1
	v_lshlrev_b64 v[28:29], v28, 1
	s_delay_alu instid0(VALU_DEP_2) | instskip(NEXT) | instid1(VALU_DEP_3)
	v_not_b32_e32 v27, v27
	v_not_b32_e32 v26, v26
	s_delay_alu instid0(VALU_DEP_2) | instskip(NEXT) | instid1(VALU_DEP_2)
	v_and_b32_e32 v32, 0, v27
	v_and_b32_e32 v31, v5, v26
	v_lshrrev_b64 v[26:27], v30, v[5:6]
	s_delay_alu instid0(VALU_DEP_2) | instskip(NEXT) | instid1(VALU_DEP_2)
	v_cmp_eq_u64_e64 s3, v[31:32], v[28:29]
	v_dual_mov_b32 v29, v27 :: v_dual_mov_b32 v28, v26
	s_delay_alu instid0(VALU_DEP_2)
	s_and_saveexec_b32 s56, s3
; %bb.279:                              ;   in Loop: Header=BB11_203 Depth=2
	v_bfe_u32 v5, v26, 20, 1
	s_delay_alu instid0(VALU_DEP_1) | instskip(NEXT) | instid1(VALU_DEP_1)
	v_add_co_u32 v5, s3, v26, v5
	v_add_co_u32 v28, s3, v5, -1
; %bb.280:                              ;   in Loop: Header=BB11_203 Depth=2
	s_or_b32 exec_lo, exec_lo, s56
	v_add_nc_u32_e32 v5, 0xffffff81, v8
	v_lshrrev_b32_e32 v8, 23, v26
	s_mov_b32 s3, exec_lo
	s_delay_alu instid0(VALU_DEP_2) | instskip(NEXT) | instid1(VALU_DEP_1)
	v_cndmask_b32_e64 v5, v5, 0xffffff82, vcc_lo
	v_add3_u32 v8, v30, v5, v8
	v_and_b32_e32 v5, 0xfffff, v28
	s_delay_alu instid0(VALU_DEP_2) | instskip(NEXT) | instid1(VALU_DEP_2)
	v_add_nc_u32_e32 v28, 6, v8
	v_add_co_u32 v26, vcc_lo, v5, v26
	v_add_co_ci_u32_e32 v27, vcc_lo, 0, v27, vcc_lo
                                        ; implicit-def: $vgpr5
	s_delay_alu instid0(VALU_DEP_3)
	v_cmpx_ne_u32_e32 0, v28
	s_xor_b32 s3, exec_lo, s3
; %bb.281:                              ;   in Loop: Header=BB11_203 Depth=2
	s_delay_alu instid0(VALU_DEP_2) | instskip(SKIP_2) | instid1(VALU_DEP_2)
	v_cmp_lt_u64_e32 vcc_lo, 0xffffff, v[26:27]
	v_add_nc_u32_e32 v5, 7, v8
	v_cndmask_b32_e64 v8, 0, 1, vcc_lo
	v_cndmask_b32_e32 v5, v28, v5, vcc_lo
	s_delay_alu instid0(VALU_DEP_2)
	v_lshrrev_b64 v[26:27], v8, v[26:27]
; %bb.282:                              ;   in Loop: Header=BB11_203 Depth=2
	s_and_not1_saveexec_b32 s3, s3
; %bb.283:                              ;   in Loop: Header=BB11_203 Depth=2
	s_delay_alu instid0(VALU_DEP_1)
	v_bfe_u32 v5, v26, 23, 1
; %bb.284:                              ;   in Loop: Header=BB11_203 Depth=2
	s_or_b32 exec_lo, exec_lo, s3
	s_delay_alu instid0(VALU_DEP_2) | instskip(NEXT) | instid1(VALU_DEP_2)
	v_lshrrev_b64 v[26:27], 20, v[26:27]
	v_cmp_gt_i32_e32 vcc_lo, 16, v5
	v_cmp_ne_u32_e64 s3, 0, v5
	s_delay_alu instid0(VALU_DEP_3) | instskip(NEXT) | instid1(VALU_DEP_1)
	v_dual_cndmask_b32 v29, 0, v27 :: v_dual_cndmask_b32 v28, 7, v26
                                        ; implicit-def: $vgpr26_vgpr27
	v_cmp_ne_u64_e32 vcc_lo, 0, v[28:29]
	s_delay_alu instid0(VALU_DEP_3) | instskip(NEXT) | instid1(SALU_CYCLE_1)
	s_or_b32 s3, s3, vcc_lo
	s_and_saveexec_b32 s56, s3
	s_delay_alu instid0(SALU_CYCLE_1)
	s_xor_b32 s3, exec_lo, s56
; %bb.285:                              ;   in Loop: Header=BB11_203 Depth=2
	v_min_i32_e32 v5, 15, v5
	s_delay_alu instid0(VALU_DEP_1) | instskip(NEXT) | instid1(VALU_DEP_1)
	v_lshl_or_b32 v2, v5, 3, v2
	v_and_or_b32 v26, v28, 7, v2
                                        ; implicit-def: $vgpr2
; %bb.286:                              ;   in Loop: Header=BB11_203 Depth=2
	s_and_not1_saveexec_b32 s3, s3
; %bb.287:                              ;   in Loop: Header=BB11_203 Depth=2
	v_dual_mov_b32 v27, v3 :: v_dual_mov_b32 v26, v2
; %bb.288:                              ;   in Loop: Header=BB11_203 Depth=2
	s_or_b32 exec_lo, exec_lo, s3
.LBB11_289:                             ;   in Loop: Header=BB11_203 Depth=2
	s_delay_alu instid0(SALU_CYCLE_1)
	s_or_b32 exec_lo, exec_lo, s55
.LBB11_290:                             ;   in Loop: Header=BB11_203 Depth=2
	s_and_not1_saveexec_b32 s3, s54
	s_delay_alu instid0(SALU_CYCLE_1)
	s_or_b32 exec_lo, exec_lo, s3
                                        ; implicit-def: $vgpr27
.LBB11_291:                             ;   in Loop: Header=BB11_203 Depth=2
	s_and_not1_saveexec_b32 s3, s53
; %bb.292:                              ;   in Loop: Header=BB11_203 Depth=2
	v_cmp_eq_u64_e32 vcc_lo, 0, v[5:6]
	v_or_b32_e32 v2, 0x7f, v27
	s_delay_alu instid0(VALU_DEP_1)
	v_cndmask_b32_e32 v26, v2, v26, vcc_lo
; %bb.293:                              ;   in Loop: Header=BB11_203 Depth=2
	s_or_b32 exec_lo, exec_lo, s3
	v_lshrrev_b32_e32 v2, 16, v3
	v_mov_b32_e32 v29, v6
	s_mov_b32 s3, exec_lo
	s_delay_alu instid0(VALU_DEP_2) | instskip(NEXT) | instid1(VALU_DEP_1)
	v_cvt_f32_f16_e32 v2, v2
	v_div_scale_f32 v3, null, v48, v48, v2
	s_delay_alu instid0(VALU_DEP_1) | instskip(SKIP_2) | instid1(VALU_DEP_1)
	v_rcp_f32_e32 v5, v3
	s_waitcnt_depctr 0xfff
	v_fma_f32 v8, -v3, v5, 1.0
	v_fmac_f32_e32 v5, v8, v5
	v_div_scale_f32 v8, vcc_lo, v2, v48, v2
	s_delay_alu instid0(VALU_DEP_1) | instskip(NEXT) | instid1(VALU_DEP_1)
	v_mul_f32_e32 v27, v8, v5
	v_fma_f32 v28, -v3, v27, v8
	s_delay_alu instid0(VALU_DEP_1) | instskip(NEXT) | instid1(VALU_DEP_1)
	v_fmac_f32_e32 v27, v28, v5
	v_fma_f32 v3, -v3, v27, v8
	s_delay_alu instid0(VALU_DEP_1) | instskip(NEXT) | instid1(VALU_DEP_1)
	v_div_fmas_f32 v3, v3, v5, v27
	v_div_fixup_f32 v2, v3, v48, v2
	s_delay_alu instid0(VALU_DEP_1) | instskip(NEXT) | instid1(VALU_DEP_1)
	v_cvt_f16_f32_e32 v2, v2
	v_cvt_f32_f16_e32 v27, v2
	s_delay_alu instid0(VALU_DEP_1) | instskip(SKIP_2) | instid1(VALU_DEP_3)
	v_lshrrev_b32_e32 v3, 24, v27
	v_and_b32_e32 v28, 0x7f800000, v27
	v_and_b32_e32 v5, 0x7fffff, v27
	;; [unrolled: 1-line block ×3, first 2 shown]
	s_delay_alu instid0(VALU_DEP_1) | instskip(NEXT) | instid1(VALU_DEP_4)
	v_or_b32_e32 v2, 0x7e, v8
	v_cmpx_ne_u64_e32 0x7f800000, v[28:29]
	s_xor_b32 s53, exec_lo, s3
	s_cbranch_execz .LBB11_309
; %bb.294:                              ;   in Loop: Header=BB11_203 Depth=2
	v_dual_mov_b32 v29, v6 :: v_dual_and_b32 v28, 0x7fffffff, v27
	s_mov_b32 s3, exec_lo
	s_delay_alu instid0(VALU_DEP_1)
	v_cmpx_gt_u64_e32 0x43e00001, v[28:29]
	s_xor_b32 s54, exec_lo, s3
	s_cbranch_execz .LBB11_308
; %bb.295:                              ;   in Loop: Header=BB11_203 Depth=2
	s_mov_b32 s55, exec_lo
	v_mov_b32_e32 v2, 0
	v_mov_b32_e32 v3, 0
	v_cmpx_ne_u32_e32 0, v27
	s_cbranch_execz .LBB11_307
; %bb.296:                              ;   in Loop: Header=BB11_203 Depth=2
	v_bfe_u32 v29, v27, 23, 8
	v_or_b32_e32 v27, 0x800000, v5
	s_delay_alu instid0(VALU_DEP_2) | instskip(SKIP_1) | instid1(VALU_DEP_2)
	v_sub_nc_u32_e32 v2, 0x79, v29
	v_cmp_gt_u32_e32 vcc_lo, 0x7a, v29
	v_cndmask_b32_e32 v2, 0, v2, vcc_lo
	v_cmp_eq_u32_e32 vcc_lo, 0, v29
	v_cndmask_b32_e32 v5, v27, v5, vcc_lo
	s_delay_alu instid0(VALU_DEP_3) | instskip(NEXT) | instid1(VALU_DEP_1)
	v_cndmask_b32_e64 v30, v2, 0x78, vcc_lo
	v_add_nc_u32_e32 v2, 20, v30
	v_add_nc_u32_e32 v27, 19, v30
	s_delay_alu instid0(VALU_DEP_2) | instskip(NEXT) | instid1(VALU_DEP_2)
	v_lshlrev_b64 v[2:3], v2, -1
	v_lshlrev_b64 v[27:28], v27, 1
	s_delay_alu instid0(VALU_DEP_2) | instskip(NEXT) | instid1(VALU_DEP_3)
	v_not_b32_e32 v3, v3
	v_not_b32_e32 v2, v2
	s_delay_alu instid0(VALU_DEP_2) | instskip(NEXT) | instid1(VALU_DEP_2)
	v_and_b32_e32 v32, 0, v3
	v_and_b32_e32 v31, v5, v2
	v_lshrrev_b64 v[2:3], v30, v[5:6]
	s_delay_alu instid0(VALU_DEP_2) | instskip(NEXT) | instid1(VALU_DEP_2)
	v_cmp_eq_u64_e64 s3, v[31:32], v[27:28]
	v_dual_mov_b32 v28, v3 :: v_dual_mov_b32 v27, v2
	s_delay_alu instid0(VALU_DEP_2)
	s_and_saveexec_b32 s56, s3
; %bb.297:                              ;   in Loop: Header=BB11_203 Depth=2
	v_bfe_u32 v5, v2, 20, 1
	s_delay_alu instid0(VALU_DEP_1) | instskip(NEXT) | instid1(VALU_DEP_1)
	v_add_co_u32 v5, s3, v2, v5
	v_add_co_u32 v27, s3, v5, -1
; %bb.298:                              ;   in Loop: Header=BB11_203 Depth=2
	s_or_b32 exec_lo, exec_lo, s56
	v_add_nc_u32_e32 v5, 0xffffff81, v29
	v_lshrrev_b32_e32 v28, 23, v2
	s_mov_b32 s3, exec_lo
	s_delay_alu instid0(VALU_DEP_2) | instskip(NEXT) | instid1(VALU_DEP_1)
	v_cndmask_b32_e64 v5, v5, 0xffffff82, vcc_lo
	v_add3_u32 v28, v30, v5, v28
	v_and_b32_e32 v5, 0xfffff, v27
	s_delay_alu instid0(VALU_DEP_2) | instskip(NEXT) | instid1(VALU_DEP_2)
	v_add_nc_u32_e32 v27, 6, v28
	v_add_co_u32 v2, vcc_lo, v5, v2
	v_add_co_ci_u32_e32 v3, vcc_lo, 0, v3, vcc_lo
                                        ; implicit-def: $vgpr5
	s_delay_alu instid0(VALU_DEP_3)
	v_cmpx_ne_u32_e32 0, v27
	s_xor_b32 s3, exec_lo, s3
; %bb.299:                              ;   in Loop: Header=BB11_203 Depth=2
	s_delay_alu instid0(VALU_DEP_2) | instskip(SKIP_1) | instid1(VALU_DEP_1)
	v_cmp_lt_u64_e32 vcc_lo, 0xffffff, v[2:3]
	v_add_nc_u32_e32 v5, 7, v28
	v_cndmask_b32_e32 v5, v27, v5, vcc_lo
	v_cndmask_b32_e64 v27, 0, 1, vcc_lo
	s_delay_alu instid0(VALU_DEP_1)
	v_lshrrev_b64 v[2:3], v27, v[2:3]
; %bb.300:                              ;   in Loop: Header=BB11_203 Depth=2
	s_and_not1_saveexec_b32 s3, s3
; %bb.301:                              ;   in Loop: Header=BB11_203 Depth=2
	s_delay_alu instid0(VALU_DEP_1)
	v_bfe_u32 v5, v2, 23, 1
; %bb.302:                              ;   in Loop: Header=BB11_203 Depth=2
	s_or_b32 exec_lo, exec_lo, s3
	s_delay_alu instid0(VALU_DEP_2) | instskip(NEXT) | instid1(VALU_DEP_2)
	v_lshrrev_b64 v[2:3], 20, v[2:3]
	v_cmp_gt_i32_e32 vcc_lo, 16, v5
	v_cmp_ne_u32_e64 s3, 0, v5
	s_delay_alu instid0(VALU_DEP_3) | instskip(NEXT) | instid1(VALU_DEP_1)
	v_dual_cndmask_b32 v28, 0, v3 :: v_dual_cndmask_b32 v27, 7, v2
                                        ; implicit-def: $vgpr2_vgpr3
	v_cmp_ne_u64_e32 vcc_lo, 0, v[27:28]
	s_delay_alu instid0(VALU_DEP_3) | instskip(NEXT) | instid1(SALU_CYCLE_1)
	s_or_b32 s3, s3, vcc_lo
	s_and_saveexec_b32 s56, s3
	s_delay_alu instid0(SALU_CYCLE_1)
	s_xor_b32 s3, exec_lo, s56
; %bb.303:                              ;   in Loop: Header=BB11_203 Depth=2
	v_min_i32_e32 v2, 15, v5
	s_delay_alu instid0(VALU_DEP_1) | instskip(NEXT) | instid1(VALU_DEP_1)
	v_lshl_or_b32 v2, v2, 3, v8
                                        ; implicit-def: $vgpr8
	v_and_or_b32 v2, v27, 7, v2
; %bb.304:                              ;   in Loop: Header=BB11_203 Depth=2
	s_and_not1_saveexec_b32 s3, s3
; %bb.305:                              ;   in Loop: Header=BB11_203 Depth=2
	v_dual_mov_b32 v2, v8 :: v_dual_mov_b32 v3, v9
; %bb.306:                              ;   in Loop: Header=BB11_203 Depth=2
	s_or_b32 exec_lo, exec_lo, s3
.LBB11_307:                             ;   in Loop: Header=BB11_203 Depth=2
	s_delay_alu instid0(SALU_CYCLE_1)
	s_or_b32 exec_lo, exec_lo, s55
.LBB11_308:                             ;   in Loop: Header=BB11_203 Depth=2
	s_and_not1_saveexec_b32 s3, s54
	s_delay_alu instid0(SALU_CYCLE_1)
	s_or_b32 exec_lo, exec_lo, s3
                                        ; implicit-def: $vgpr3
.LBB11_309:                             ;   in Loop: Header=BB11_203 Depth=2
	s_and_not1_saveexec_b32 s3, s53
; %bb.310:                              ;   in Loop: Header=BB11_203 Depth=2
	v_cmp_eq_u64_e32 vcc_lo, 0, v[5:6]
	v_or_b32_e32 v3, 0x7f, v3
	s_delay_alu instid0(VALU_DEP_1)
	v_cndmask_b32_e32 v2, v3, v2, vcc_lo
; %bb.311:                              ;   in Loop: Header=BB11_203 Depth=2
	s_or_b32 exec_lo, exec_lo, s3
	v_cvt_f32_f16_e32 v3, v4
	s_mov_b32 s3, exec_lo
	v_mov_b32_e32 v30, v6
	s_delay_alu instid0(VALU_DEP_2) | instskip(NEXT) | instid1(VALU_DEP_1)
	v_div_scale_f32 v5, null, v48, v48, v3
	v_rcp_f32_e32 v8, v5
	s_waitcnt_depctr 0xfff
	v_fma_f32 v27, -v5, v8, 1.0
	s_delay_alu instid0(VALU_DEP_1) | instskip(SKIP_1) | instid1(VALU_DEP_1)
	v_fmac_f32_e32 v8, v27, v8
	v_div_scale_f32 v27, vcc_lo, v3, v48, v3
	v_mul_f32_e32 v28, v27, v8
	s_delay_alu instid0(VALU_DEP_1) | instskip(NEXT) | instid1(VALU_DEP_1)
	v_fma_f32 v29, -v5, v28, v27
	v_fmac_f32_e32 v28, v29, v8
	s_delay_alu instid0(VALU_DEP_1) | instskip(NEXT) | instid1(VALU_DEP_1)
	v_fma_f32 v5, -v5, v28, v27
	v_div_fmas_f32 v5, v5, v8, v28
	s_delay_alu instid0(VALU_DEP_1) | instskip(NEXT) | instid1(VALU_DEP_1)
	v_div_fixup_f32 v3, v5, v48, v3
	v_cvt_f16_f32_e32 v3, v3
	s_delay_alu instid0(VALU_DEP_1) | instskip(NEXT) | instid1(VALU_DEP_1)
	v_cvt_f32_f16_e32 v8, v3
	v_lshrrev_b32_e32 v28, 24, v8
	v_and_b32_e32 v29, 0x7f800000, v8
	v_and_b32_e32 v5, 0x7fffff, v8
	s_delay_alu instid0(VALU_DEP_3) | instskip(NEXT) | instid1(VALU_DEP_1)
	v_and_b32_e32 v3, 0x80, v28
	v_or_b32_e32 v27, 0x7e, v3
	s_delay_alu instid0(VALU_DEP_4)
	v_cmpx_ne_u64_e32 0x7f800000, v[29:30]
	s_xor_b32 s53, exec_lo, s3
	s_cbranch_execz .LBB11_327
; %bb.312:                              ;   in Loop: Header=BB11_203 Depth=2
	v_dual_mov_b32 v29, v6 :: v_dual_and_b32 v28, 0x7fffffff, v8
	s_mov_b32 s3, exec_lo
	s_delay_alu instid0(VALU_DEP_1)
	v_cmpx_gt_u64_e32 0x43e00001, v[28:29]
	s_xor_b32 s54, exec_lo, s3
	s_cbranch_execz .LBB11_326
; %bb.313:                              ;   in Loop: Header=BB11_203 Depth=2
	s_mov_b32 s55, exec_lo
	v_mov_b32_e32 v27, 0
	v_mov_b32_e32 v28, 0
	v_cmpx_ne_u32_e32 0, v8
	s_cbranch_execz .LBB11_325
; %bb.314:                              ;   in Loop: Header=BB11_203 Depth=2
	v_bfe_u32 v8, v8, 23, 8
	v_or_b32_e32 v29, 0x800000, v5
	s_delay_alu instid0(VALU_DEP_2) | instskip(SKIP_1) | instid1(VALU_DEP_2)
	v_sub_nc_u32_e32 v27, 0x79, v8
	v_cmp_gt_u32_e32 vcc_lo, 0x7a, v8
	v_cndmask_b32_e32 v27, 0, v27, vcc_lo
	v_cmp_eq_u32_e32 vcc_lo, 0, v8
	s_delay_alu instid0(VALU_DEP_2) | instskip(SKIP_1) | instid1(VALU_DEP_2)
	v_cndmask_b32_e64 v31, v27, 0x78, vcc_lo
	v_cndmask_b32_e32 v5, v29, v5, vcc_lo
	v_add_nc_u32_e32 v27, 20, v31
	v_add_nc_u32_e32 v29, 19, v31
	s_delay_alu instid0(VALU_DEP_2) | instskip(NEXT) | instid1(VALU_DEP_2)
	v_lshlrev_b64 v[27:28], v27, -1
	v_lshlrev_b64 v[29:30], v29, 1
	s_delay_alu instid0(VALU_DEP_2) | instskip(NEXT) | instid1(VALU_DEP_3)
	v_not_b32_e32 v28, v28
	v_not_b32_e32 v27, v27
	s_delay_alu instid0(VALU_DEP_2) | instskip(NEXT) | instid1(VALU_DEP_2)
	v_and_b32_e32 v33, 0, v28
	v_and_b32_e32 v32, v5, v27
	v_lshrrev_b64 v[27:28], v31, v[5:6]
	s_delay_alu instid0(VALU_DEP_2) | instskip(NEXT) | instid1(VALU_DEP_2)
	v_cmp_eq_u64_e64 s3, v[32:33], v[29:30]
	v_dual_mov_b32 v30, v28 :: v_dual_mov_b32 v29, v27
	s_delay_alu instid0(VALU_DEP_2)
	s_and_saveexec_b32 s56, s3
; %bb.315:                              ;   in Loop: Header=BB11_203 Depth=2
	v_bfe_u32 v5, v27, 20, 1
	s_delay_alu instid0(VALU_DEP_1) | instskip(NEXT) | instid1(VALU_DEP_1)
	v_add_co_u32 v5, s3, v27, v5
	v_add_co_u32 v29, s3, v5, -1
; %bb.316:                              ;   in Loop: Header=BB11_203 Depth=2
	s_or_b32 exec_lo, exec_lo, s56
	v_add_nc_u32_e32 v5, 0xffffff81, v8
	v_lshrrev_b32_e32 v8, 23, v27
	s_mov_b32 s3, exec_lo
	s_delay_alu instid0(VALU_DEP_2) | instskip(NEXT) | instid1(VALU_DEP_1)
	v_cndmask_b32_e64 v5, v5, 0xffffff82, vcc_lo
	v_add3_u32 v8, v31, v5, v8
	v_and_b32_e32 v5, 0xfffff, v29
	s_delay_alu instid0(VALU_DEP_2) | instskip(NEXT) | instid1(VALU_DEP_2)
	v_add_nc_u32_e32 v29, 6, v8
	v_add_co_u32 v27, vcc_lo, v5, v27
	v_add_co_ci_u32_e32 v28, vcc_lo, 0, v28, vcc_lo
                                        ; implicit-def: $vgpr5
	s_delay_alu instid0(VALU_DEP_3)
	v_cmpx_ne_u32_e32 0, v29
	s_xor_b32 s3, exec_lo, s3
; %bb.317:                              ;   in Loop: Header=BB11_203 Depth=2
	s_delay_alu instid0(VALU_DEP_2) | instskip(SKIP_2) | instid1(VALU_DEP_2)
	v_cmp_lt_u64_e32 vcc_lo, 0xffffff, v[27:28]
	v_add_nc_u32_e32 v5, 7, v8
	v_cndmask_b32_e64 v8, 0, 1, vcc_lo
	v_cndmask_b32_e32 v5, v29, v5, vcc_lo
	s_delay_alu instid0(VALU_DEP_2)
	v_lshrrev_b64 v[27:28], v8, v[27:28]
; %bb.318:                              ;   in Loop: Header=BB11_203 Depth=2
	s_and_not1_saveexec_b32 s3, s3
; %bb.319:                              ;   in Loop: Header=BB11_203 Depth=2
	s_delay_alu instid0(VALU_DEP_1)
	v_bfe_u32 v5, v27, 23, 1
; %bb.320:                              ;   in Loop: Header=BB11_203 Depth=2
	s_or_b32 exec_lo, exec_lo, s3
	s_delay_alu instid0(VALU_DEP_2) | instskip(NEXT) | instid1(VALU_DEP_2)
	v_lshrrev_b64 v[27:28], 20, v[27:28]
	v_cmp_gt_i32_e32 vcc_lo, 16, v5
	v_cmp_ne_u32_e64 s3, 0, v5
	s_delay_alu instid0(VALU_DEP_3) | instskip(NEXT) | instid1(VALU_DEP_1)
	v_dual_cndmask_b32 v30, 0, v28 :: v_dual_cndmask_b32 v29, 7, v27
                                        ; implicit-def: $vgpr27_vgpr28
	v_cmp_ne_u64_e32 vcc_lo, 0, v[29:30]
	s_delay_alu instid0(VALU_DEP_3) | instskip(NEXT) | instid1(SALU_CYCLE_1)
	s_or_b32 s3, s3, vcc_lo
	s_and_saveexec_b32 s56, s3
	s_delay_alu instid0(SALU_CYCLE_1)
	s_xor_b32 s3, exec_lo, s56
; %bb.321:                              ;   in Loop: Header=BB11_203 Depth=2
	v_min_i32_e32 v5, 15, v5
	s_delay_alu instid0(VALU_DEP_1) | instskip(NEXT) | instid1(VALU_DEP_1)
	v_lshl_or_b32 v3, v5, 3, v3
	v_and_or_b32 v27, v29, 7, v3
                                        ; implicit-def: $vgpr3
; %bb.322:                              ;   in Loop: Header=BB11_203 Depth=2
	s_and_not1_saveexec_b32 s3, s3
; %bb.323:                              ;   in Loop: Header=BB11_203 Depth=2
	v_dual_mov_b32 v28, v4 :: v_dual_mov_b32 v27, v3
; %bb.324:                              ;   in Loop: Header=BB11_203 Depth=2
	s_or_b32 exec_lo, exec_lo, s3
.LBB11_325:                             ;   in Loop: Header=BB11_203 Depth=2
	s_delay_alu instid0(SALU_CYCLE_1)
	s_or_b32 exec_lo, exec_lo, s55
.LBB11_326:                             ;   in Loop: Header=BB11_203 Depth=2
	s_and_not1_saveexec_b32 s3, s54
	s_delay_alu instid0(SALU_CYCLE_1)
	s_or_b32 exec_lo, exec_lo, s3
                                        ; implicit-def: $vgpr28
.LBB11_327:                             ;   in Loop: Header=BB11_203 Depth=2
	s_and_not1_saveexec_b32 s3, s53
; %bb.328:                              ;   in Loop: Header=BB11_203 Depth=2
	v_cmp_eq_u64_e32 vcc_lo, 0, v[5:6]
	v_or_b32_e32 v3, 0x7f, v28
	s_delay_alu instid0(VALU_DEP_1)
	v_cndmask_b32_e32 v27, v3, v27, vcc_lo
; %bb.329:                              ;   in Loop: Header=BB11_203 Depth=2
	s_or_b32 exec_lo, exec_lo, s3
	v_lshrrev_b32_e32 v3, 16, v4
	s_delay_alu instid0(VALU_DEP_1) | instskip(NEXT) | instid1(VALU_DEP_1)
	v_cvt_f32_f16_e32 v3, v3
	v_div_scale_f32 v4, null, v48, v48, v3
	s_delay_alu instid0(VALU_DEP_1) | instskip(SKIP_2) | instid1(VALU_DEP_1)
	v_rcp_f32_e32 v5, v4
	s_waitcnt_depctr 0xfff
	v_fma_f32 v8, -v4, v5, 1.0
	v_fmac_f32_e32 v5, v8, v5
	v_div_scale_f32 v8, vcc_lo, v3, v48, v3
	s_delay_alu instid0(VALU_DEP_1) | instskip(NEXT) | instid1(VALU_DEP_1)
	v_mul_f32_e32 v28, v8, v5
	v_fma_f32 v29, -v4, v28, v8
	s_delay_alu instid0(VALU_DEP_1) | instskip(NEXT) | instid1(VALU_DEP_1)
	v_dual_fmac_f32 v28, v29, v5 :: v_dual_mov_b32 v29, v6
	v_fma_f32 v4, -v4, v28, v8
	s_delay_alu instid0(VALU_DEP_1) | instskip(NEXT) | instid1(VALU_DEP_1)
	v_div_fmas_f32 v4, v4, v5, v28
	v_div_fixup_f32 v3, v4, v48, v3
	s_delay_alu instid0(VALU_DEP_1) | instskip(NEXT) | instid1(VALU_DEP_1)
	v_cvt_f16_f32_e32 v3, v3
	v_cvt_f32_f16_e32 v4, v3
	s_delay_alu instid0(VALU_DEP_1) | instskip(SKIP_2) | instid1(VALU_DEP_3)
	v_lshrrev_b32_e32 v8, 24, v4
	v_and_b32_e32 v28, 0x7f800000, v4
	v_and_b32_e32 v5, 0x7fffff, v4
	;; [unrolled: 1-line block ×3, first 2 shown]
	s_delay_alu instid0(VALU_DEP_3) | instskip(NEXT) | instid1(VALU_DEP_2)
	v_cmp_ne_u64_e32 vcc_lo, 0x7f800000, v[28:29]
	v_or_b32_e32 v28, 0x7e, v3
	s_and_saveexec_b32 s3, vcc_lo
	s_delay_alu instid0(SALU_CYCLE_1)
	s_xor_b32 s53, exec_lo, s3
	s_cbranch_execz .LBB11_345
; %bb.330:                              ;   in Loop: Header=BB11_203 Depth=2
	v_dual_mov_b32 v30, v6 :: v_dual_and_b32 v29, 0x7fffffff, v4
	s_mov_b32 s3, exec_lo
	s_delay_alu instid0(VALU_DEP_1)
	v_cmpx_gt_u64_e32 0x43e00001, v[29:30]
	s_xor_b32 s54, exec_lo, s3
	s_cbranch_execz .LBB11_344
; %bb.331:                              ;   in Loop: Header=BB11_203 Depth=2
	s_mov_b32 s55, exec_lo
	v_mov_b32_e32 v28, 0
	v_mov_b32_e32 v29, 0
	v_cmpx_ne_u32_e32 0, v4
	s_cbranch_execz .LBB11_343
; %bb.332:                              ;   in Loop: Header=BB11_203 Depth=2
	v_bfe_u32 v8, v4, 23, 8
	v_or_b32_e32 v31, 0x800000, v5
	s_delay_alu instid0(VALU_DEP_2) | instskip(SKIP_1) | instid1(VALU_DEP_2)
	v_sub_nc_u32_e32 v4, 0x79, v8
	v_cmp_gt_u32_e32 vcc_lo, 0x7a, v8
	v_cndmask_b32_e32 v4, 0, v4, vcc_lo
	v_cmp_eq_u32_e32 vcc_lo, 0, v8
	v_cndmask_b32_e32 v5, v31, v5, vcc_lo
	s_delay_alu instid0(VALU_DEP_3) | instskip(NEXT) | instid1(VALU_DEP_1)
	v_cndmask_b32_e64 v30, v4, 0x78, vcc_lo
	v_add_nc_u32_e32 v4, 20, v30
	s_delay_alu instid0(VALU_DEP_1) | instskip(SKIP_1) | instid1(VALU_DEP_2)
	v_lshlrev_b64 v[28:29], v4, -1
	v_add_nc_u32_e32 v4, 19, v30
	v_not_b32_e32 v31, v29
	s_delay_alu instid0(VALU_DEP_3) | instskip(NEXT) | instid1(VALU_DEP_3)
	v_not_b32_e32 v33, v28
	v_lshlrev_b64 v[28:29], v4, 1
	s_delay_alu instid0(VALU_DEP_3) | instskip(NEXT) | instid1(VALU_DEP_3)
	v_and_b32_e32 v32, 0, v31
	v_and_b32_e32 v31, v5, v33
	v_lshrrev_b64 v[4:5], v30, v[5:6]
	s_delay_alu instid0(VALU_DEP_2) | instskip(NEXT) | instid1(VALU_DEP_2)
	v_cmp_eq_u64_e64 s3, v[31:32], v[28:29]
	v_dual_mov_b32 v29, v5 :: v_dual_mov_b32 v28, v4
	s_delay_alu instid0(VALU_DEP_2)
	s_and_saveexec_b32 s56, s3
; %bb.333:                              ;   in Loop: Header=BB11_203 Depth=2
	v_bfe_u32 v28, v4, 20, 1
	s_delay_alu instid0(VALU_DEP_1) | instskip(NEXT) | instid1(VALU_DEP_1)
	v_add_co_u32 v28, s3, v4, v28
	v_add_co_u32 v28, s3, v28, -1
; %bb.334:                              ;   in Loop: Header=BB11_203 Depth=2
	s_or_b32 exec_lo, exec_lo, s56
	v_add_nc_u32_e32 v8, 0xffffff81, v8
	v_lshrrev_b32_e32 v29, 23, v4
	s_mov_b32 s3, exec_lo
	s_delay_alu instid0(VALU_DEP_2) | instskip(NEXT) | instid1(VALU_DEP_1)
	v_cndmask_b32_e64 v8, v8, 0xffffff82, vcc_lo
	v_add3_u32 v29, v30, v8, v29
	v_and_b32_e32 v8, 0xfffff, v28
	s_delay_alu instid0(VALU_DEP_2) | instskip(NEXT) | instid1(VALU_DEP_2)
	v_add_nc_u32_e32 v28, 6, v29
	v_add_co_u32 v4, vcc_lo, v8, v4
	v_add_co_ci_u32_e32 v5, vcc_lo, 0, v5, vcc_lo
                                        ; implicit-def: $vgpr8
	s_delay_alu instid0(VALU_DEP_3)
	v_cmpx_ne_u32_e32 0, v28
	s_xor_b32 s3, exec_lo, s3
; %bb.335:                              ;   in Loop: Header=BB11_203 Depth=2
	s_delay_alu instid0(VALU_DEP_2) | instskip(SKIP_1) | instid1(VALU_DEP_1)
	v_cmp_lt_u64_e32 vcc_lo, 0xffffff, v[4:5]
	v_add_nc_u32_e32 v8, 7, v29
	v_cndmask_b32_e32 v8, v28, v8, vcc_lo
	v_cndmask_b32_e64 v28, 0, 1, vcc_lo
	s_delay_alu instid0(VALU_DEP_1)
	v_lshrrev_b64 v[4:5], v28, v[4:5]
; %bb.336:                              ;   in Loop: Header=BB11_203 Depth=2
	s_and_not1_saveexec_b32 s3, s3
; %bb.337:                              ;   in Loop: Header=BB11_203 Depth=2
	s_delay_alu instid0(VALU_DEP_1)
	v_bfe_u32 v8, v4, 23, 1
; %bb.338:                              ;   in Loop: Header=BB11_203 Depth=2
	s_or_b32 exec_lo, exec_lo, s3
	s_delay_alu instid0(VALU_DEP_2) | instskip(NEXT) | instid1(VALU_DEP_2)
	v_lshrrev_b64 v[4:5], 20, v[4:5]
	v_cmp_gt_i32_e32 vcc_lo, 16, v8
	v_cmp_ne_u32_e64 s3, 0, v8
                                        ; implicit-def: $vgpr28_vgpr29
	s_delay_alu instid0(VALU_DEP_3) | instskip(NEXT) | instid1(VALU_DEP_1)
	v_dual_cndmask_b32 v5, 0, v5 :: v_dual_cndmask_b32 v4, 7, v4
	v_cmp_ne_u64_e32 vcc_lo, 0, v[4:5]
	s_delay_alu instid0(VALU_DEP_3) | instskip(NEXT) | instid1(SALU_CYCLE_1)
	s_or_b32 s3, s3, vcc_lo
	s_and_saveexec_b32 s56, s3
	s_delay_alu instid0(SALU_CYCLE_1)
	s_xor_b32 s3, exec_lo, s56
; %bb.339:                              ;   in Loop: Header=BB11_203 Depth=2
	v_min_i32_e32 v5, 15, v8
	s_delay_alu instid0(VALU_DEP_1) | instskip(NEXT) | instid1(VALU_DEP_1)
	v_lshl_or_b32 v3, v5, 3, v3
	v_and_or_b32 v28, v4, 7, v3
                                        ; implicit-def: $vgpr3
; %bb.340:                              ;   in Loop: Header=BB11_203 Depth=2
	s_and_not1_saveexec_b32 s3, s3
; %bb.341:                              ;   in Loop: Header=BB11_203 Depth=2
	v_dual_mov_b32 v29, v4 :: v_dual_mov_b32 v28, v3
; %bb.342:                              ;   in Loop: Header=BB11_203 Depth=2
	s_or_b32 exec_lo, exec_lo, s3
.LBB11_343:                             ;   in Loop: Header=BB11_203 Depth=2
	s_delay_alu instid0(SALU_CYCLE_1)
	s_or_b32 exec_lo, exec_lo, s55
.LBB11_344:                             ;   in Loop: Header=BB11_203 Depth=2
	s_and_not1_saveexec_b32 s3, s54
	s_delay_alu instid0(SALU_CYCLE_1)
	s_or_b32 exec_lo, exec_lo, s3
                                        ; implicit-def: $vgpr8
.LBB11_345:                             ;   in Loop: Header=BB11_203 Depth=2
	s_and_not1_saveexec_b32 s3, s53
	s_cbranch_execz .LBB11_202
; %bb.346:                              ;   in Loop: Header=BB11_203 Depth=2
	v_cmp_eq_u64_e32 vcc_lo, 0, v[5:6]
	v_or_b32_e32 v3, 0x7f, v8
	s_delay_alu instid0(VALU_DEP_1)
	v_cndmask_b32_e32 v28, v3, v28, vcc_lo
	s_branch .LBB11_202
.LBB11_347:                             ;   in Loop: Header=BB11_9 Depth=1
	s_or_b32 exec_lo, exec_lo, s51
.LBB11_348:                             ;   in Loop: Header=BB11_9 Depth=1
	s_delay_alu instid0(SALU_CYCLE_1) | instskip(SKIP_2) | instid1(VALU_DEP_2)
	s_or_b32 exec_lo, exec_lo, s50
	v_add_co_u32 v1, vcc_lo, s35, v17
	v_add_co_ci_u32_e32 v2, vcc_lo, s36, v18, vcc_lo
	v_and_b32_e32 v5, 15, v1
	s_delay_alu instid0(VALU_DEP_1) | instskip(SKIP_1) | instid1(SALU_CYCLE_1)
	v_cmp_ne_u64_e32 vcc_lo, 0, v[5:6]
	s_or_b32 s3, s49, vcc_lo
	s_and_saveexec_b32 s50, s3
	s_delay_alu instid0(SALU_CYCLE_1)
	s_xor_b32 s50, exec_lo, s50
	s_cbranch_execz .LBB11_538
; %bb.349:                              ;   in Loop: Header=BB11_9 Depth=1
	v_sub_nc_u32_e32 v3, 0, v1
	s_mov_b32 s51, exec_lo
	s_delay_alu instid0(VALU_DEP_1) | instskip(NEXT) | instid1(VALU_DEP_1)
	v_bfe_u32 v3, v3, 1, 3
	v_min_i32_e32 v16, s13, v3
	s_delay_alu instid0(VALU_DEP_1)
	v_cmpx_gt_i32_e64 v16, v36
	s_cbranch_execz .LBB11_369
; %bb.350:                              ;   in Loop: Header=BB11_9 Depth=1
	v_add_co_u32 v1, vcc_lo, v1, v45
	v_add_co_ci_u32_e32 v2, vcc_lo, 0, v2, vcc_lo
	s_mov_b32 s3, exec_lo
	v_mov_b32_e32 v18, v6
	global_load_u16 v1, v[1:2], off
	s_waitcnt vmcnt(0)
	v_cvt_f32_f16_e32 v1, v1
	s_delay_alu instid0(VALU_DEP_1) | instskip(NEXT) | instid1(VALU_DEP_1)
	v_div_scale_f32 v2, null, v46, v46, v1
	v_rcp_f32_e32 v3, v2
	s_waitcnt_depctr 0xfff
	v_fma_f32 v4, -v2, v3, 1.0
	s_delay_alu instid0(VALU_DEP_1) | instskip(SKIP_1) | instid1(VALU_DEP_1)
	v_fmac_f32_e32 v3, v4, v3
	v_div_scale_f32 v4, vcc_lo, v1, v46, v1
	v_mul_f32_e32 v5, v4, v3
	s_delay_alu instid0(VALU_DEP_1) | instskip(NEXT) | instid1(VALU_DEP_1)
	v_fma_f32 v8, -v2, v5, v4
	v_fmac_f32_e32 v5, v8, v3
	s_delay_alu instid0(VALU_DEP_1) | instskip(NEXT) | instid1(VALU_DEP_1)
	v_fma_f32 v2, -v2, v5, v4
	v_div_fmas_f32 v2, v2, v3, v5
	s_delay_alu instid0(VALU_DEP_1) | instskip(NEXT) | instid1(VALU_DEP_1)
	v_div_fixup_f32 v1, v2, v46, v1
	v_cvt_f16_f32_e32 v1, v1
	s_delay_alu instid0(VALU_DEP_1) | instskip(NEXT) | instid1(VALU_DEP_1)
	v_cvt_f32_f16_e32 v1, v1
	v_lshrrev_b32_e32 v3, 24, v1
	v_and_b32_e32 v17, 0x7f800000, v1
	v_and_b32_e32 v5, 0x7fffff, v1
	s_delay_alu instid0(VALU_DEP_3) | instskip(NEXT) | instid1(VALU_DEP_1)
	v_and_b32_e32 v8, 0x80, v3
	v_or_b32_e32 v2, 0x7e, v8
	s_delay_alu instid0(VALU_DEP_4)
	v_cmpx_ne_u64_e32 0x7f800000, v[17:18]
	s_xor_b32 s52, exec_lo, s3
	s_cbranch_execz .LBB11_366
; %bb.351:                              ;   in Loop: Header=BB11_9 Depth=1
	v_dual_mov_b32 v4, v6 :: v_dual_and_b32 v3, 0x7fffffff, v1
	s_mov_b32 s3, exec_lo
	s_delay_alu instid0(VALU_DEP_1)
	v_cmpx_gt_u64_e32 0x43e00001, v[3:4]
	s_xor_b32 s53, exec_lo, s3
	s_cbranch_execz .LBB11_365
; %bb.352:                              ;   in Loop: Header=BB11_9 Depth=1
	v_mov_b32_e32 v2, 0
	s_mov_b32 s54, exec_lo
	v_cmpx_ne_u32_e32 0, v1
	s_cbranch_execz .LBB11_364
; %bb.353:                              ;   in Loop: Header=BB11_9 Depth=1
	v_bfe_u32 v17, v1, 23, 8
	v_or_b32_e32 v3, 0x800000, v5
	s_delay_alu instid0(VALU_DEP_2) | instskip(SKIP_1) | instid1(VALU_DEP_2)
	v_sub_nc_u32_e32 v1, 0x79, v17
	v_cmp_gt_u32_e32 vcc_lo, 0x7a, v17
	v_cndmask_b32_e32 v1, 0, v1, vcc_lo
	v_cmp_eq_u32_e32 vcc_lo, 0, v17
	s_delay_alu instid0(VALU_DEP_2) | instskip(SKIP_1) | instid1(VALU_DEP_2)
	v_cndmask_b32_e64 v18, v1, 0x78, vcc_lo
	v_cndmask_b32_e32 v5, v3, v5, vcc_lo
	v_add_nc_u32_e32 v1, 20, v18
	v_add_nc_u32_e32 v3, 19, v18
	s_delay_alu instid0(VALU_DEP_2) | instskip(NEXT) | instid1(VALU_DEP_2)
	v_lshlrev_b64 v[1:2], v1, -1
	v_lshlrev_b64 v[3:4], v3, 1
	s_delay_alu instid0(VALU_DEP_2) | instskip(NEXT) | instid1(VALU_DEP_3)
	v_not_b32_e32 v2, v2
	v_not_b32_e32 v1, v1
	s_delay_alu instid0(VALU_DEP_2) | instskip(NEXT) | instid1(VALU_DEP_2)
	v_and_b32_e32 v20, 0, v2
	v_and_b32_e32 v19, v5, v1
	v_lshrrev_b64 v[1:2], v18, v[5:6]
	s_delay_alu instid0(VALU_DEP_2) | instskip(NEXT) | instid1(VALU_DEP_2)
	v_cmp_eq_u64_e64 s3, v[19:20], v[3:4]
	v_dual_mov_b32 v4, v2 :: v_dual_mov_b32 v3, v1
	s_delay_alu instid0(VALU_DEP_2)
	s_and_saveexec_b32 s55, s3
; %bb.354:                              ;   in Loop: Header=BB11_9 Depth=1
	v_bfe_u32 v3, v1, 20, 1
	s_delay_alu instid0(VALU_DEP_1) | instskip(NEXT) | instid1(VALU_DEP_1)
	v_add_co_u32 v3, s3, v1, v3
	v_add_co_u32 v3, s3, v3, -1
; %bb.355:                              ;   in Loop: Header=BB11_9 Depth=1
	s_or_b32 exec_lo, exec_lo, s55
	v_add_nc_u32_e32 v4, 0xffffff81, v17
	v_lshrrev_b32_e32 v5, 23, v1
	s_delay_alu instid0(VALU_DEP_3) | instskip(SKIP_1) | instid1(VALU_DEP_3)
	v_and_b32_e32 v3, 0xfffff, v3
	s_mov_b32 s3, exec_lo
	v_cndmask_b32_e64 v4, v4, 0xffffff82, vcc_lo
	s_delay_alu instid0(VALU_DEP_2) | instskip(SKIP_1) | instid1(VALU_DEP_3)
	v_add_co_u32 v1, vcc_lo, v3, v1
	v_add_co_ci_u32_e32 v2, vcc_lo, 0, v2, vcc_lo
	v_add3_u32 v4, v18, v4, v5
                                        ; implicit-def: $vgpr3
	s_delay_alu instid0(VALU_DEP_1) | instskip(NEXT) | instid1(VALU_DEP_1)
	v_add_nc_u32_e32 v5, 6, v4
	v_cmpx_ne_u32_e32 0, v5
	s_xor_b32 s3, exec_lo, s3
; %bb.356:                              ;   in Loop: Header=BB11_9 Depth=1
	v_cmp_lt_u64_e32 vcc_lo, 0xffffff, v[1:2]
	v_add_nc_u32_e32 v3, 7, v4
	v_cndmask_b32_e64 v4, 0, 1, vcc_lo
	s_delay_alu instid0(VALU_DEP_2) | instskip(NEXT) | instid1(VALU_DEP_2)
	v_cndmask_b32_e32 v3, v5, v3, vcc_lo
	v_lshrrev_b64 v[1:2], v4, v[1:2]
; %bb.357:                              ;   in Loop: Header=BB11_9 Depth=1
	s_and_not1_saveexec_b32 s3, s3
; %bb.358:                              ;   in Loop: Header=BB11_9 Depth=1
	s_delay_alu instid0(VALU_DEP_1)
	v_bfe_u32 v3, v1, 23, 1
; %bb.359:                              ;   in Loop: Header=BB11_9 Depth=1
	s_or_b32 exec_lo, exec_lo, s3
	s_delay_alu instid0(VALU_DEP_2) | instskip(NEXT) | instid1(VALU_DEP_2)
	v_lshrrev_b64 v[1:2], 20, v[1:2]
	v_cmp_gt_i32_e32 vcc_lo, 16, v3
	v_cmp_ne_u32_e64 s3, 0, v3
	s_delay_alu instid0(VALU_DEP_3) | instskip(NEXT) | instid1(VALU_DEP_1)
	v_dual_cndmask_b32 v2, 0, v2 :: v_dual_cndmask_b32 v1, 7, v1
	v_cmp_ne_u64_e32 vcc_lo, 0, v[1:2]
                                        ; implicit-def: $vgpr2
	s_delay_alu instid0(VALU_DEP_3) | instskip(NEXT) | instid1(SALU_CYCLE_1)
	s_or_b32 s3, s3, vcc_lo
	s_and_saveexec_b32 s55, s3
	s_delay_alu instid0(SALU_CYCLE_1)
	s_xor_b32 s3, exec_lo, s55
; %bb.360:                              ;   in Loop: Header=BB11_9 Depth=1
	v_min_i32_e32 v2, 15, v3
	s_delay_alu instid0(VALU_DEP_1) | instskip(NEXT) | instid1(VALU_DEP_1)
	v_lshl_or_b32 v2, v2, 3, v8
                                        ; implicit-def: $vgpr8
	v_and_or_b32 v2, v1, 7, v2
; %bb.361:                              ;   in Loop: Header=BB11_9 Depth=1
	s_and_not1_saveexec_b32 s3, s3
; %bb.362:                              ;   in Loop: Header=BB11_9 Depth=1
	v_mov_b32_e32 v2, v8
; %bb.363:                              ;   in Loop: Header=BB11_9 Depth=1
	s_or_b32 exec_lo, exec_lo, s3
.LBB11_364:                             ;   in Loop: Header=BB11_9 Depth=1
	s_delay_alu instid0(SALU_CYCLE_1)
	s_or_b32 exec_lo, exec_lo, s54
.LBB11_365:                             ;   in Loop: Header=BB11_9 Depth=1
	s_and_not1_saveexec_b32 s3, s53
	s_delay_alu instid0(SALU_CYCLE_1)
	s_or_b32 exec_lo, exec_lo, s3
                                        ; implicit-def: $vgpr3
.LBB11_366:                             ;   in Loop: Header=BB11_9 Depth=1
	s_and_not1_saveexec_b32 s3, s52
; %bb.367:                              ;   in Loop: Header=BB11_9 Depth=1
	v_cmp_eq_u64_e32 vcc_lo, 0, v[5:6]
	v_or_b32_e32 v1, 0x7f, v3
	s_delay_alu instid0(VALU_DEP_1)
	v_cndmask_b32_e32 v2, v1, v2, vcc_lo
; %bb.368:                              ;   in Loop: Header=BB11_9 Depth=1
	s_or_b32 exec_lo, exec_lo, s3
	v_add_co_u32 v1, vcc_lo, s37, v15
	v_add_co_ci_u32_e32 v4, vcc_lo, s38, v47, vcc_lo
	s_delay_alu instid0(VALU_DEP_2) | instskip(NEXT) | instid1(VALU_DEP_2)
	v_add_co_u32 v3, vcc_lo, v1, v36
	v_add_co_ci_u32_e32 v4, vcc_lo, 0, v4, vcc_lo
	global_store_b8 v[3:4], v2, off
.LBB11_369:                             ;   in Loop: Header=BB11_9 Depth=1
	s_or_b32 exec_lo, exec_lo, s51
	v_sub_nc_u32_e32 v32, s13, v16
	v_ashrrev_i32_e32 v17, 31, v16
	s_mov_b32 s51, exec_lo
	s_delay_alu instid0(VALU_DEP_2) | instskip(NEXT) | instid1(VALU_DEP_2)
	v_ashrrev_i32_e32 v1, 31, v32
	v_lshlrev_b64 v[18:19], 1, v[16:17]
	s_delay_alu instid0(VALU_DEP_2) | instskip(NEXT) | instid1(VALU_DEP_1)
	v_lshrrev_b32_e32 v1, 29, v1
	v_add_nc_u32_e32 v1, v32, v1
	s_delay_alu instid0(VALU_DEP_1) | instskip(NEXT) | instid1(VALU_DEP_1)
	v_ashrrev_i32_e32 v15, 3, v1
	v_cmpx_gt_i32_e64 v15, v36
	s_cbranch_execz .LBB11_516
; %bb.370:                              ;   in Loop: Header=BB11_9 Depth=1
	v_add_co_u32 v1, vcc_lo, v18, v13
	v_add_co_ci_u32_e32 v2, vcc_lo, v19, v14, vcc_lo
	v_add_co_u32 v20, vcc_lo, v11, v16
	v_add_co_ci_u32_e32 v21, vcc_lo, v12, v17, vcc_lo
	s_delay_alu instid0(VALU_DEP_4) | instskip(NEXT) | instid1(VALU_DEP_4)
	v_add_co_u32 v22, vcc_lo, v39, v1
	v_add_co_ci_u32_e32 v23, vcc_lo, v40, v2, vcc_lo
	v_mov_b32_e32 v33, v36
	s_mov_b32 s52, 0
	s_branch .LBB11_372
.LBB11_371:                             ;   in Loop: Header=BB11_372 Depth=2
	s_or_b32 exec_lo, exec_lo, s3
	v_lshlrev_b32_e32 v3, 16, v28
	v_lshlrev_b32_e32 v4, 16, v26
	;; [unrolled: 1-line block ×5, first 2 shown]
	v_and_b32_e32 v3, 0xff0000, v3
	v_perm_b32 v1, v1, v4, 0x4020c0c
	v_and_b32_e32 v4, 0xff, v27
	v_and_b32_e32 v24, 0xff, v24
	;; [unrolled: 1-line block ×3, first 2 shown]
	v_or_b32_e32 v3, v5, v3
	v_and_or_b32 v1, 0xff00, v8, v1
	v_add_nc_u32_e32 v33, 32, v33
	s_delay_alu instid0(VALU_DEP_3) | instskip(NEXT) | instid1(VALU_DEP_3)
	v_or3_b32 v2, v3, v2, v4
	v_or_b32_e32 v1, v1, v24
	s_delay_alu instid0(VALU_DEP_3) | instskip(SKIP_2) | instid1(VALU_DEP_1)
	v_cmp_ge_i32_e32 vcc_lo, v33, v15
	global_store_b64 v[20:21], v[1:2], off
	v_add_co_u32 v20, s3, 0x100, v20
	v_add_co_ci_u32_e64 v21, s3, 0, v21, s3
	v_add_co_u32 v22, s3, 0x200, v22
	s_delay_alu instid0(VALU_DEP_1) | instskip(SKIP_1) | instid1(SALU_CYCLE_1)
	v_add_co_ci_u32_e64 v23, s3, 0, v23, s3
	s_or_b32 s52, vcc_lo, s52
	s_and_not1_b32 exec_lo, exec_lo, s52
	s_cbranch_execz .LBB11_516
.LBB11_372:                             ;   Parent Loop BB11_9 Depth=1
                                        ; =>  This Inner Loop Header: Depth=2
	global_load_b128 v[1:4], v[22:23], off
	s_mov_b32 s3, exec_lo
	s_waitcnt vmcnt(0)
	v_cvt_f32_f16_e32 v5, v1
	s_delay_alu instid0(VALU_DEP_1) | instskip(NEXT) | instid1(VALU_DEP_1)
	v_div_scale_f32 v8, null, v46, v46, v5
	v_rcp_f32_e32 v24, v8
	s_waitcnt_depctr 0xfff
	v_fma_f32 v25, -v8, v24, 1.0
	s_delay_alu instid0(VALU_DEP_1) | instskip(SKIP_1) | instid1(VALU_DEP_1)
	v_fmac_f32_e32 v24, v25, v24
	v_div_scale_f32 v25, vcc_lo, v5, v46, v5
	v_mul_f32_e32 v26, v25, v24
	s_delay_alu instid0(VALU_DEP_1) | instskip(NEXT) | instid1(VALU_DEP_1)
	v_fma_f32 v27, -v8, v26, v25
	v_fmac_f32_e32 v26, v27, v24
	s_delay_alu instid0(VALU_DEP_1) | instskip(NEXT) | instid1(VALU_DEP_1)
	v_fma_f32 v8, -v8, v26, v25
	v_div_fmas_f32 v8, v8, v24, v26
	s_delay_alu instid0(VALU_DEP_1) | instskip(NEXT) | instid1(VALU_DEP_1)
	v_div_fixup_f32 v5, v8, v46, v5
	v_cvt_f16_f32_e32 v5, v5
	s_delay_alu instid0(VALU_DEP_1) | instskip(NEXT) | instid1(VALU_DEP_1)
	v_cvt_f32_f16_e32 v26, v5
	v_dual_mov_b32 v28, v6 :: v_dual_and_b32 v5, 0x7fffff, v26
	v_lshrrev_b32_e32 v25, 24, v26
	v_and_b32_e32 v27, 0x7f800000, v26
	s_delay_alu instid0(VALU_DEP_2) | instskip(NEXT) | instid1(VALU_DEP_1)
	v_and_b32_e32 v8, 0x80, v25
	v_or_b32_e32 v24, 0x7e, v8
	s_delay_alu instid0(VALU_DEP_3)
	v_cmpx_ne_u64_e32 0x7f800000, v[27:28]
	s_xor_b32 s53, exec_lo, s3
	s_cbranch_execz .LBB11_388
; %bb.373:                              ;   in Loop: Header=BB11_372 Depth=2
	v_dual_mov_b32 v28, v6 :: v_dual_and_b32 v27, 0x7fffffff, v26
	s_mov_b32 s3, exec_lo
	s_delay_alu instid0(VALU_DEP_1)
	v_cmpx_gt_u64_e32 0x43e00001, v[27:28]
	s_xor_b32 s54, exec_lo, s3
	s_cbranch_execz .LBB11_387
; %bb.374:                              ;   in Loop: Header=BB11_372 Depth=2
	s_mov_b32 s55, exec_lo
	v_mov_b32_e32 v24, 0
	v_mov_b32_e32 v25, 0
	v_cmpx_ne_u32_e32 0, v26
	s_cbranch_execz .LBB11_386
; %bb.375:                              ;   in Loop: Header=BB11_372 Depth=2
	v_bfe_u32 v28, v26, 23, 8
	v_or_b32_e32 v26, 0x800000, v5
	s_delay_alu instid0(VALU_DEP_2) | instskip(SKIP_1) | instid1(VALU_DEP_2)
	v_sub_nc_u32_e32 v24, 0x79, v28
	v_cmp_gt_u32_e32 vcc_lo, 0x7a, v28
	v_cndmask_b32_e32 v24, 0, v24, vcc_lo
	v_cmp_eq_u32_e32 vcc_lo, 0, v28
	v_cndmask_b32_e32 v5, v26, v5, vcc_lo
	s_delay_alu instid0(VALU_DEP_3) | instskip(NEXT) | instid1(VALU_DEP_1)
	v_cndmask_b32_e64 v29, v24, 0x78, vcc_lo
	v_add_nc_u32_e32 v24, 20, v29
	v_add_nc_u32_e32 v26, 19, v29
	s_delay_alu instid0(VALU_DEP_2) | instskip(NEXT) | instid1(VALU_DEP_2)
	v_lshlrev_b64 v[24:25], v24, -1
	v_lshlrev_b64 v[26:27], v26, 1
	s_delay_alu instid0(VALU_DEP_2) | instskip(NEXT) | instid1(VALU_DEP_3)
	v_not_b32_e32 v25, v25
	v_not_b32_e32 v24, v24
	s_delay_alu instid0(VALU_DEP_2) | instskip(NEXT) | instid1(VALU_DEP_2)
	v_and_b32_e32 v31, 0, v25
	v_and_b32_e32 v30, v5, v24
	v_lshrrev_b64 v[24:25], v29, v[5:6]
	s_delay_alu instid0(VALU_DEP_2) | instskip(NEXT) | instid1(VALU_DEP_2)
	v_cmp_eq_u64_e64 s3, v[30:31], v[26:27]
	v_dual_mov_b32 v27, v25 :: v_dual_mov_b32 v26, v24
	s_delay_alu instid0(VALU_DEP_2)
	s_and_saveexec_b32 s56, s3
; %bb.376:                              ;   in Loop: Header=BB11_372 Depth=2
	v_bfe_u32 v5, v24, 20, 1
	s_delay_alu instid0(VALU_DEP_1) | instskip(NEXT) | instid1(VALU_DEP_1)
	v_add_co_u32 v5, s3, v24, v5
	v_add_co_u32 v26, s3, v5, -1
; %bb.377:                              ;   in Loop: Header=BB11_372 Depth=2
	s_or_b32 exec_lo, exec_lo, s56
	v_add_nc_u32_e32 v5, 0xffffff81, v28
	v_lshrrev_b32_e32 v27, 23, v24
	s_mov_b32 s3, exec_lo
	s_delay_alu instid0(VALU_DEP_2) | instskip(NEXT) | instid1(VALU_DEP_1)
	v_cndmask_b32_e64 v5, v5, 0xffffff82, vcc_lo
	v_add3_u32 v27, v29, v5, v27
	v_and_b32_e32 v5, 0xfffff, v26
	s_delay_alu instid0(VALU_DEP_2) | instskip(NEXT) | instid1(VALU_DEP_2)
	v_add_nc_u32_e32 v26, 6, v27
	v_add_co_u32 v24, vcc_lo, v5, v24
	v_add_co_ci_u32_e32 v25, vcc_lo, 0, v25, vcc_lo
                                        ; implicit-def: $vgpr5
	s_delay_alu instid0(VALU_DEP_3)
	v_cmpx_ne_u32_e32 0, v26
	s_xor_b32 s3, exec_lo, s3
; %bb.378:                              ;   in Loop: Header=BB11_372 Depth=2
	s_delay_alu instid0(VALU_DEP_2) | instskip(SKIP_1) | instid1(VALU_DEP_1)
	v_cmp_lt_u64_e32 vcc_lo, 0xffffff, v[24:25]
	v_add_nc_u32_e32 v5, 7, v27
	v_cndmask_b32_e32 v5, v26, v5, vcc_lo
	v_cndmask_b32_e64 v26, 0, 1, vcc_lo
	s_delay_alu instid0(VALU_DEP_1)
	v_lshrrev_b64 v[24:25], v26, v[24:25]
; %bb.379:                              ;   in Loop: Header=BB11_372 Depth=2
	s_and_not1_saveexec_b32 s3, s3
; %bb.380:                              ;   in Loop: Header=BB11_372 Depth=2
	s_delay_alu instid0(VALU_DEP_1)
	v_bfe_u32 v5, v24, 23, 1
; %bb.381:                              ;   in Loop: Header=BB11_372 Depth=2
	s_or_b32 exec_lo, exec_lo, s3
	s_delay_alu instid0(VALU_DEP_2) | instskip(NEXT) | instid1(VALU_DEP_2)
	v_lshrrev_b64 v[24:25], 20, v[24:25]
	v_cmp_gt_i32_e32 vcc_lo, 16, v5
	v_cmp_ne_u32_e64 s3, 0, v5
	s_delay_alu instid0(VALU_DEP_3) | instskip(NEXT) | instid1(VALU_DEP_1)
	v_dual_cndmask_b32 v27, 0, v25 :: v_dual_cndmask_b32 v26, 7, v24
                                        ; implicit-def: $vgpr24_vgpr25
	v_cmp_ne_u64_e32 vcc_lo, 0, v[26:27]
	s_delay_alu instid0(VALU_DEP_3) | instskip(NEXT) | instid1(SALU_CYCLE_1)
	s_or_b32 s3, s3, vcc_lo
	s_and_saveexec_b32 s56, s3
	s_delay_alu instid0(SALU_CYCLE_1)
	s_xor_b32 s3, exec_lo, s56
; %bb.382:                              ;   in Loop: Header=BB11_372 Depth=2
	v_min_i32_e32 v5, 15, v5
	s_delay_alu instid0(VALU_DEP_1) | instskip(NEXT) | instid1(VALU_DEP_1)
	v_lshl_or_b32 v5, v5, 3, v8
                                        ; implicit-def: $vgpr8
	v_and_or_b32 v24, v26, 7, v5
; %bb.383:                              ;   in Loop: Header=BB11_372 Depth=2
	s_and_not1_saveexec_b32 s3, s3
; %bb.384:                              ;   in Loop: Header=BB11_372 Depth=2
	v_dual_mov_b32 v25, v9 :: v_dual_mov_b32 v24, v8
; %bb.385:                              ;   in Loop: Header=BB11_372 Depth=2
	s_or_b32 exec_lo, exec_lo, s3
.LBB11_386:                             ;   in Loop: Header=BB11_372 Depth=2
	s_delay_alu instid0(SALU_CYCLE_1)
	s_or_b32 exec_lo, exec_lo, s55
.LBB11_387:                             ;   in Loop: Header=BB11_372 Depth=2
	s_and_not1_saveexec_b32 s3, s54
	s_delay_alu instid0(SALU_CYCLE_1)
	s_or_b32 exec_lo, exec_lo, s3
                                        ; implicit-def: $vgpr25
.LBB11_388:                             ;   in Loop: Header=BB11_372 Depth=2
	s_and_not1_saveexec_b32 s3, s53
; %bb.389:                              ;   in Loop: Header=BB11_372 Depth=2
	v_cmp_eq_u64_e32 vcc_lo, 0, v[5:6]
	v_or_b32_e32 v8, 0x7f, v25
	s_delay_alu instid0(VALU_DEP_1)
	v_cndmask_b32_e32 v24, v8, v24, vcc_lo
; %bb.390:                              ;   in Loop: Header=BB11_372 Depth=2
	s_or_b32 exec_lo, exec_lo, s3
	v_lshrrev_b32_e32 v1, 16, v1
	s_mov_b32 s3, exec_lo
	v_mov_b32_e32 v28, v6
	s_delay_alu instid0(VALU_DEP_2) | instskip(NEXT) | instid1(VALU_DEP_1)
	v_cvt_f32_f16_e32 v1, v1
	v_div_scale_f32 v5, null, v46, v46, v1
	s_delay_alu instid0(VALU_DEP_1) | instskip(SKIP_2) | instid1(VALU_DEP_1)
	v_rcp_f32_e32 v8, v5
	s_waitcnt_depctr 0xfff
	v_fma_f32 v25, -v5, v8, 1.0
	v_fmac_f32_e32 v8, v25, v8
	v_div_scale_f32 v25, vcc_lo, v1, v46, v1
	s_delay_alu instid0(VALU_DEP_1) | instskip(NEXT) | instid1(VALU_DEP_1)
	v_mul_f32_e32 v26, v25, v8
	v_fma_f32 v27, -v5, v26, v25
	s_delay_alu instid0(VALU_DEP_1) | instskip(NEXT) | instid1(VALU_DEP_1)
	v_fmac_f32_e32 v26, v27, v8
	v_fma_f32 v5, -v5, v26, v25
	s_delay_alu instid0(VALU_DEP_1) | instskip(NEXT) | instid1(VALU_DEP_1)
	v_div_fmas_f32 v5, v5, v8, v26
	v_div_fixup_f32 v1, v5, v46, v1
	s_delay_alu instid0(VALU_DEP_1) | instskip(NEXT) | instid1(VALU_DEP_1)
	v_cvt_f16_f32_e32 v1, v1
	v_cvt_f32_f16_e32 v8, v1
	s_delay_alu instid0(VALU_DEP_1) | instskip(SKIP_2) | instid1(VALU_DEP_3)
	v_lshrrev_b32_e32 v26, 24, v8
	v_and_b32_e32 v27, 0x7f800000, v8
	v_and_b32_e32 v5, 0x7fffff, v8
	v_and_b32_e32 v1, 0x80, v26
	s_delay_alu instid0(VALU_DEP_1) | instskip(NEXT) | instid1(VALU_DEP_4)
	v_or_b32_e32 v25, 0x7e, v1
	v_cmpx_ne_u64_e32 0x7f800000, v[27:28]
	s_xor_b32 s53, exec_lo, s3
	s_cbranch_execz .LBB11_406
; %bb.391:                              ;   in Loop: Header=BB11_372 Depth=2
	v_dual_mov_b32 v27, v6 :: v_dual_and_b32 v26, 0x7fffffff, v8
	s_mov_b32 s3, exec_lo
	s_delay_alu instid0(VALU_DEP_1)
	v_cmpx_gt_u64_e32 0x43e00001, v[26:27]
	s_xor_b32 s54, exec_lo, s3
	s_cbranch_execz .LBB11_405
; %bb.392:                              ;   in Loop: Header=BB11_372 Depth=2
	s_mov_b32 s55, exec_lo
	v_mov_b32_e32 v25, 0
	v_mov_b32_e32 v26, 0
	v_cmpx_ne_u32_e32 0, v8
	s_cbranch_execz .LBB11_404
; %bb.393:                              ;   in Loop: Header=BB11_372 Depth=2
	v_bfe_u32 v8, v8, 23, 8
	v_or_b32_e32 v27, 0x800000, v5
	s_delay_alu instid0(VALU_DEP_2) | instskip(SKIP_1) | instid1(VALU_DEP_2)
	v_sub_nc_u32_e32 v25, 0x79, v8
	v_cmp_gt_u32_e32 vcc_lo, 0x7a, v8
	v_cndmask_b32_e32 v25, 0, v25, vcc_lo
	v_cmp_eq_u32_e32 vcc_lo, 0, v8
	s_delay_alu instid0(VALU_DEP_2) | instskip(SKIP_1) | instid1(VALU_DEP_2)
	v_cndmask_b32_e64 v29, v25, 0x78, vcc_lo
	v_cndmask_b32_e32 v5, v27, v5, vcc_lo
	v_add_nc_u32_e32 v25, 20, v29
	v_add_nc_u32_e32 v27, 19, v29
	s_delay_alu instid0(VALU_DEP_2) | instskip(NEXT) | instid1(VALU_DEP_2)
	v_lshlrev_b64 v[25:26], v25, -1
	v_lshlrev_b64 v[27:28], v27, 1
	s_delay_alu instid0(VALU_DEP_2) | instskip(NEXT) | instid1(VALU_DEP_3)
	v_not_b32_e32 v26, v26
	v_not_b32_e32 v25, v25
	s_delay_alu instid0(VALU_DEP_2) | instskip(NEXT) | instid1(VALU_DEP_2)
	v_and_b32_e32 v31, 0, v26
	v_and_b32_e32 v30, v5, v25
	v_lshrrev_b64 v[25:26], v29, v[5:6]
	s_delay_alu instid0(VALU_DEP_2) | instskip(NEXT) | instid1(VALU_DEP_2)
	v_cmp_eq_u64_e64 s3, v[30:31], v[27:28]
	v_dual_mov_b32 v28, v26 :: v_dual_mov_b32 v27, v25
	s_delay_alu instid0(VALU_DEP_2)
	s_and_saveexec_b32 s56, s3
; %bb.394:                              ;   in Loop: Header=BB11_372 Depth=2
	v_bfe_u32 v5, v25, 20, 1
	s_delay_alu instid0(VALU_DEP_1) | instskip(NEXT) | instid1(VALU_DEP_1)
	v_add_co_u32 v5, s3, v25, v5
	v_add_co_u32 v27, s3, v5, -1
; %bb.395:                              ;   in Loop: Header=BB11_372 Depth=2
	s_or_b32 exec_lo, exec_lo, s56
	v_add_nc_u32_e32 v5, 0xffffff81, v8
	v_lshrrev_b32_e32 v8, 23, v25
	s_mov_b32 s3, exec_lo
	s_delay_alu instid0(VALU_DEP_2) | instskip(NEXT) | instid1(VALU_DEP_1)
	v_cndmask_b32_e64 v5, v5, 0xffffff82, vcc_lo
	v_add3_u32 v8, v29, v5, v8
	v_and_b32_e32 v5, 0xfffff, v27
	s_delay_alu instid0(VALU_DEP_2) | instskip(NEXT) | instid1(VALU_DEP_2)
	v_add_nc_u32_e32 v27, 6, v8
	v_add_co_u32 v25, vcc_lo, v5, v25
	v_add_co_ci_u32_e32 v26, vcc_lo, 0, v26, vcc_lo
                                        ; implicit-def: $vgpr5
	s_delay_alu instid0(VALU_DEP_3)
	v_cmpx_ne_u32_e32 0, v27
	s_xor_b32 s3, exec_lo, s3
; %bb.396:                              ;   in Loop: Header=BB11_372 Depth=2
	s_delay_alu instid0(VALU_DEP_2) | instskip(SKIP_2) | instid1(VALU_DEP_2)
	v_cmp_lt_u64_e32 vcc_lo, 0xffffff, v[25:26]
	v_add_nc_u32_e32 v5, 7, v8
	v_cndmask_b32_e64 v8, 0, 1, vcc_lo
	v_cndmask_b32_e32 v5, v27, v5, vcc_lo
	s_delay_alu instid0(VALU_DEP_2)
	v_lshrrev_b64 v[25:26], v8, v[25:26]
; %bb.397:                              ;   in Loop: Header=BB11_372 Depth=2
	s_and_not1_saveexec_b32 s3, s3
; %bb.398:                              ;   in Loop: Header=BB11_372 Depth=2
	s_delay_alu instid0(VALU_DEP_1)
	v_bfe_u32 v5, v25, 23, 1
; %bb.399:                              ;   in Loop: Header=BB11_372 Depth=2
	s_or_b32 exec_lo, exec_lo, s3
	s_delay_alu instid0(VALU_DEP_2) | instskip(NEXT) | instid1(VALU_DEP_2)
	v_lshrrev_b64 v[25:26], 20, v[25:26]
	v_cmp_gt_i32_e32 vcc_lo, 16, v5
	v_cmp_ne_u32_e64 s3, 0, v5
	s_delay_alu instid0(VALU_DEP_3) | instskip(NEXT) | instid1(VALU_DEP_1)
	v_dual_cndmask_b32 v28, 0, v26 :: v_dual_cndmask_b32 v27, 7, v25
                                        ; implicit-def: $vgpr25_vgpr26
	v_cmp_ne_u64_e32 vcc_lo, 0, v[27:28]
	s_delay_alu instid0(VALU_DEP_3) | instskip(NEXT) | instid1(SALU_CYCLE_1)
	s_or_b32 s3, s3, vcc_lo
	s_and_saveexec_b32 s56, s3
	s_delay_alu instid0(SALU_CYCLE_1)
	s_xor_b32 s3, exec_lo, s56
; %bb.400:                              ;   in Loop: Header=BB11_372 Depth=2
	v_min_i32_e32 v5, 15, v5
	s_delay_alu instid0(VALU_DEP_1) | instskip(NEXT) | instid1(VALU_DEP_1)
	v_lshl_or_b32 v1, v5, 3, v1
	v_and_or_b32 v25, v27, 7, v1
                                        ; implicit-def: $vgpr1
; %bb.401:                              ;   in Loop: Header=BB11_372 Depth=2
	s_and_not1_saveexec_b32 s3, s3
; %bb.402:                              ;   in Loop: Header=BB11_372 Depth=2
	v_dual_mov_b32 v26, v2 :: v_dual_mov_b32 v25, v1
; %bb.403:                              ;   in Loop: Header=BB11_372 Depth=2
	s_or_b32 exec_lo, exec_lo, s3
.LBB11_404:                             ;   in Loop: Header=BB11_372 Depth=2
	s_delay_alu instid0(SALU_CYCLE_1)
	s_or_b32 exec_lo, exec_lo, s55
.LBB11_405:                             ;   in Loop: Header=BB11_372 Depth=2
	s_and_not1_saveexec_b32 s3, s54
	s_delay_alu instid0(SALU_CYCLE_1)
	s_or_b32 exec_lo, exec_lo, s3
                                        ; implicit-def: $vgpr26
.LBB11_406:                             ;   in Loop: Header=BB11_372 Depth=2
	s_and_not1_saveexec_b32 s3, s53
; %bb.407:                              ;   in Loop: Header=BB11_372 Depth=2
	v_cmp_eq_u64_e32 vcc_lo, 0, v[5:6]
	v_or_b32_e32 v1, 0x7f, v26
	s_delay_alu instid0(VALU_DEP_1)
	v_cndmask_b32_e32 v25, v1, v25, vcc_lo
; %bb.408:                              ;   in Loop: Header=BB11_372 Depth=2
	s_or_b32 exec_lo, exec_lo, s3
	v_cvt_f32_f16_e32 v1, v2
	s_mov_b32 s3, exec_lo
	v_mov_b32_e32 v29, v6
	s_delay_alu instid0(VALU_DEP_2) | instskip(NEXT) | instid1(VALU_DEP_1)
	v_div_scale_f32 v5, null, v46, v46, v1
	v_rcp_f32_e32 v8, v5
	s_waitcnt_depctr 0xfff
	v_fma_f32 v26, -v5, v8, 1.0
	s_delay_alu instid0(VALU_DEP_1) | instskip(SKIP_1) | instid1(VALU_DEP_1)
	v_fmac_f32_e32 v8, v26, v8
	v_div_scale_f32 v26, vcc_lo, v1, v46, v1
	v_mul_f32_e32 v27, v26, v8
	s_delay_alu instid0(VALU_DEP_1) | instskip(NEXT) | instid1(VALU_DEP_1)
	v_fma_f32 v28, -v5, v27, v26
	v_fmac_f32_e32 v27, v28, v8
	s_delay_alu instid0(VALU_DEP_1) | instskip(NEXT) | instid1(VALU_DEP_1)
	v_fma_f32 v5, -v5, v27, v26
	v_div_fmas_f32 v5, v5, v8, v27
	s_delay_alu instid0(VALU_DEP_1) | instskip(NEXT) | instid1(VALU_DEP_1)
	v_div_fixup_f32 v1, v5, v46, v1
	v_cvt_f16_f32_e32 v1, v1
	s_delay_alu instid0(VALU_DEP_1) | instskip(NEXT) | instid1(VALU_DEP_1)
	v_cvt_f32_f16_e32 v8, v1
	v_lshrrev_b32_e32 v27, 24, v8
	v_and_b32_e32 v28, 0x7f800000, v8
	v_and_b32_e32 v5, 0x7fffff, v8
	s_delay_alu instid0(VALU_DEP_3) | instskip(NEXT) | instid1(VALU_DEP_1)
	v_and_b32_e32 v1, 0x80, v27
	v_or_b32_e32 v26, 0x7e, v1
	s_delay_alu instid0(VALU_DEP_4)
	v_cmpx_ne_u64_e32 0x7f800000, v[28:29]
	s_xor_b32 s53, exec_lo, s3
	s_cbranch_execz .LBB11_424
; %bb.409:                              ;   in Loop: Header=BB11_372 Depth=2
	v_dual_mov_b32 v28, v6 :: v_dual_and_b32 v27, 0x7fffffff, v8
	s_mov_b32 s3, exec_lo
	s_delay_alu instid0(VALU_DEP_1)
	v_cmpx_gt_u64_e32 0x43e00001, v[27:28]
	s_xor_b32 s54, exec_lo, s3
	s_cbranch_execz .LBB11_423
; %bb.410:                              ;   in Loop: Header=BB11_372 Depth=2
	s_mov_b32 s55, exec_lo
	v_mov_b32_e32 v26, 0
	v_mov_b32_e32 v27, 0
	v_cmpx_ne_u32_e32 0, v8
	s_cbranch_execz .LBB11_422
; %bb.411:                              ;   in Loop: Header=BB11_372 Depth=2
	v_bfe_u32 v8, v8, 23, 8
	v_or_b32_e32 v28, 0x800000, v5
	s_delay_alu instid0(VALU_DEP_2) | instskip(SKIP_1) | instid1(VALU_DEP_2)
	v_sub_nc_u32_e32 v26, 0x79, v8
	v_cmp_gt_u32_e32 vcc_lo, 0x7a, v8
	v_cndmask_b32_e32 v26, 0, v26, vcc_lo
	v_cmp_eq_u32_e32 vcc_lo, 0, v8
	v_cndmask_b32_e32 v5, v28, v5, vcc_lo
	s_delay_alu instid0(VALU_DEP_3) | instskip(NEXT) | instid1(VALU_DEP_1)
	v_cndmask_b32_e64 v30, v26, 0x78, vcc_lo
	v_add_nc_u32_e32 v26, 20, v30
	v_add_nc_u32_e32 v28, 19, v30
	s_delay_alu instid0(VALU_DEP_2) | instskip(NEXT) | instid1(VALU_DEP_2)
	v_lshlrev_b64 v[26:27], v26, -1
	v_lshlrev_b64 v[28:29], v28, 1
	s_delay_alu instid0(VALU_DEP_2) | instskip(NEXT) | instid1(VALU_DEP_3)
	v_not_b32_e32 v27, v27
	v_not_b32_e32 v26, v26
	s_delay_alu instid0(VALU_DEP_2) | instskip(NEXT) | instid1(VALU_DEP_2)
	v_and_b32_e32 v48, 0, v27
	v_and_b32_e32 v47, v5, v26
	v_lshrrev_b64 v[26:27], v30, v[5:6]
	s_delay_alu instid0(VALU_DEP_2) | instskip(NEXT) | instid1(VALU_DEP_2)
	v_cmp_eq_u64_e64 s3, v[47:48], v[28:29]
	v_dual_mov_b32 v29, v27 :: v_dual_mov_b32 v28, v26
	s_delay_alu instid0(VALU_DEP_2)
	s_and_saveexec_b32 s56, s3
; %bb.412:                              ;   in Loop: Header=BB11_372 Depth=2
	v_bfe_u32 v5, v26, 20, 1
	s_delay_alu instid0(VALU_DEP_1) | instskip(NEXT) | instid1(VALU_DEP_1)
	v_add_co_u32 v5, s3, v26, v5
	v_add_co_u32 v28, s3, v5, -1
; %bb.413:                              ;   in Loop: Header=BB11_372 Depth=2
	s_or_b32 exec_lo, exec_lo, s56
	v_add_nc_u32_e32 v5, 0xffffff81, v8
	v_lshrrev_b32_e32 v8, 23, v26
	s_mov_b32 s3, exec_lo
	s_delay_alu instid0(VALU_DEP_2) | instskip(NEXT) | instid1(VALU_DEP_1)
	v_cndmask_b32_e64 v5, v5, 0xffffff82, vcc_lo
	v_add3_u32 v8, v30, v5, v8
	v_and_b32_e32 v5, 0xfffff, v28
	s_delay_alu instid0(VALU_DEP_2) | instskip(NEXT) | instid1(VALU_DEP_2)
	v_add_nc_u32_e32 v28, 6, v8
	v_add_co_u32 v26, vcc_lo, v5, v26
	v_add_co_ci_u32_e32 v27, vcc_lo, 0, v27, vcc_lo
                                        ; implicit-def: $vgpr5
	s_delay_alu instid0(VALU_DEP_3)
	v_cmpx_ne_u32_e32 0, v28
	s_xor_b32 s3, exec_lo, s3
; %bb.414:                              ;   in Loop: Header=BB11_372 Depth=2
	s_delay_alu instid0(VALU_DEP_2) | instskip(SKIP_2) | instid1(VALU_DEP_2)
	v_cmp_lt_u64_e32 vcc_lo, 0xffffff, v[26:27]
	v_add_nc_u32_e32 v5, 7, v8
	v_cndmask_b32_e64 v8, 0, 1, vcc_lo
	v_cndmask_b32_e32 v5, v28, v5, vcc_lo
	s_delay_alu instid0(VALU_DEP_2)
	v_lshrrev_b64 v[26:27], v8, v[26:27]
; %bb.415:                              ;   in Loop: Header=BB11_372 Depth=2
	s_and_not1_saveexec_b32 s3, s3
; %bb.416:                              ;   in Loop: Header=BB11_372 Depth=2
	s_delay_alu instid0(VALU_DEP_1)
	v_bfe_u32 v5, v26, 23, 1
; %bb.417:                              ;   in Loop: Header=BB11_372 Depth=2
	s_or_b32 exec_lo, exec_lo, s3
	s_delay_alu instid0(VALU_DEP_2) | instskip(NEXT) | instid1(VALU_DEP_2)
	v_lshrrev_b64 v[26:27], 20, v[26:27]
	v_cmp_gt_i32_e32 vcc_lo, 16, v5
	v_cmp_ne_u32_e64 s3, 0, v5
	s_delay_alu instid0(VALU_DEP_3) | instskip(NEXT) | instid1(VALU_DEP_1)
	v_dual_cndmask_b32 v29, 0, v27 :: v_dual_cndmask_b32 v28, 7, v26
                                        ; implicit-def: $vgpr26_vgpr27
	v_cmp_ne_u64_e32 vcc_lo, 0, v[28:29]
	s_delay_alu instid0(VALU_DEP_3) | instskip(NEXT) | instid1(SALU_CYCLE_1)
	s_or_b32 s3, s3, vcc_lo
	s_and_saveexec_b32 s56, s3
	s_delay_alu instid0(SALU_CYCLE_1)
	s_xor_b32 s3, exec_lo, s56
; %bb.418:                              ;   in Loop: Header=BB11_372 Depth=2
	v_min_i32_e32 v5, 15, v5
	s_delay_alu instid0(VALU_DEP_1) | instskip(NEXT) | instid1(VALU_DEP_1)
	v_lshl_or_b32 v1, v5, 3, v1
	v_and_or_b32 v26, v28, 7, v1
                                        ; implicit-def: $vgpr1
; %bb.419:                              ;   in Loop: Header=BB11_372 Depth=2
	s_and_not1_saveexec_b32 s3, s3
; %bb.420:                              ;   in Loop: Header=BB11_372 Depth=2
	v_dual_mov_b32 v27, v2 :: v_dual_mov_b32 v26, v1
; %bb.421:                              ;   in Loop: Header=BB11_372 Depth=2
	s_or_b32 exec_lo, exec_lo, s3
.LBB11_422:                             ;   in Loop: Header=BB11_372 Depth=2
	s_delay_alu instid0(SALU_CYCLE_1)
	s_or_b32 exec_lo, exec_lo, s55
.LBB11_423:                             ;   in Loop: Header=BB11_372 Depth=2
	s_and_not1_saveexec_b32 s3, s54
	s_delay_alu instid0(SALU_CYCLE_1)
	s_or_b32 exec_lo, exec_lo, s3
                                        ; implicit-def: $vgpr27
.LBB11_424:                             ;   in Loop: Header=BB11_372 Depth=2
	s_and_not1_saveexec_b32 s3, s53
; %bb.425:                              ;   in Loop: Header=BB11_372 Depth=2
	v_cmp_eq_u64_e32 vcc_lo, 0, v[5:6]
	v_or_b32_e32 v1, 0x7f, v27
	s_delay_alu instid0(VALU_DEP_1)
	v_cndmask_b32_e32 v26, v1, v26, vcc_lo
; %bb.426:                              ;   in Loop: Header=BB11_372 Depth=2
	s_or_b32 exec_lo, exec_lo, s3
	v_lshrrev_b32_e32 v1, 16, v2
	v_mov_b32_e32 v29, v6
	s_mov_b32 s3, exec_lo
	s_delay_alu instid0(VALU_DEP_2) | instskip(NEXT) | instid1(VALU_DEP_1)
	v_cvt_f32_f16_e32 v1, v1
	v_div_scale_f32 v2, null, v46, v46, v1
	s_delay_alu instid0(VALU_DEP_1) | instskip(SKIP_2) | instid1(VALU_DEP_1)
	v_rcp_f32_e32 v5, v2
	s_waitcnt_depctr 0xfff
	v_fma_f32 v8, -v2, v5, 1.0
	v_fmac_f32_e32 v5, v8, v5
	v_div_scale_f32 v8, vcc_lo, v1, v46, v1
	s_delay_alu instid0(VALU_DEP_1) | instskip(NEXT) | instid1(VALU_DEP_1)
	v_mul_f32_e32 v27, v8, v5
	v_fma_f32 v28, -v2, v27, v8
	s_delay_alu instid0(VALU_DEP_1) | instskip(NEXT) | instid1(VALU_DEP_1)
	v_fmac_f32_e32 v27, v28, v5
	v_fma_f32 v2, -v2, v27, v8
	s_delay_alu instid0(VALU_DEP_1) | instskip(NEXT) | instid1(VALU_DEP_1)
	v_div_fmas_f32 v2, v2, v5, v27
	v_div_fixup_f32 v1, v2, v46, v1
	s_delay_alu instid0(VALU_DEP_1) | instskip(NEXT) | instid1(VALU_DEP_1)
	v_cvt_f16_f32_e32 v1, v1
	v_cvt_f32_f16_e32 v27, v1
	s_delay_alu instid0(VALU_DEP_1) | instskip(SKIP_2) | instid1(VALU_DEP_3)
	v_lshrrev_b32_e32 v2, 24, v27
	v_and_b32_e32 v28, 0x7f800000, v27
	v_and_b32_e32 v5, 0x7fffff, v27
	;; [unrolled: 1-line block ×3, first 2 shown]
	s_delay_alu instid0(VALU_DEP_1) | instskip(NEXT) | instid1(VALU_DEP_4)
	v_or_b32_e32 v1, 0x7e, v8
	v_cmpx_ne_u64_e32 0x7f800000, v[28:29]
	s_xor_b32 s53, exec_lo, s3
	s_cbranch_execz .LBB11_442
; %bb.427:                              ;   in Loop: Header=BB11_372 Depth=2
	v_dual_mov_b32 v29, v6 :: v_dual_and_b32 v28, 0x7fffffff, v27
	s_mov_b32 s3, exec_lo
	s_delay_alu instid0(VALU_DEP_1)
	v_cmpx_gt_u64_e32 0x43e00001, v[28:29]
	s_xor_b32 s54, exec_lo, s3
	s_cbranch_execz .LBB11_441
; %bb.428:                              ;   in Loop: Header=BB11_372 Depth=2
	s_mov_b32 s55, exec_lo
	v_mov_b32_e32 v1, 0
	v_mov_b32_e32 v2, 0
	v_cmpx_ne_u32_e32 0, v27
	s_cbranch_execz .LBB11_440
; %bb.429:                              ;   in Loop: Header=BB11_372 Depth=2
	v_bfe_u32 v29, v27, 23, 8
	v_or_b32_e32 v27, 0x800000, v5
	s_delay_alu instid0(VALU_DEP_2) | instskip(SKIP_1) | instid1(VALU_DEP_2)
	v_sub_nc_u32_e32 v1, 0x79, v29
	v_cmp_gt_u32_e32 vcc_lo, 0x7a, v29
	v_cndmask_b32_e32 v1, 0, v1, vcc_lo
	v_cmp_eq_u32_e32 vcc_lo, 0, v29
	s_delay_alu instid0(VALU_DEP_2) | instskip(SKIP_1) | instid1(VALU_DEP_2)
	v_cndmask_b32_e64 v30, v1, 0x78, vcc_lo
	v_cndmask_b32_e32 v5, v27, v5, vcc_lo
	v_add_nc_u32_e32 v1, 20, v30
	v_add_nc_u32_e32 v27, 19, v30
	s_delay_alu instid0(VALU_DEP_2) | instskip(NEXT) | instid1(VALU_DEP_2)
	v_lshlrev_b64 v[1:2], v1, -1
	v_lshlrev_b64 v[27:28], v27, 1
	s_delay_alu instid0(VALU_DEP_2) | instskip(NEXT) | instid1(VALU_DEP_3)
	v_not_b32_e32 v2, v2
	v_not_b32_e32 v1, v1
	s_delay_alu instid0(VALU_DEP_2) | instskip(NEXT) | instid1(VALU_DEP_2)
	v_and_b32_e32 v48, 0, v2
	v_and_b32_e32 v47, v5, v1
	v_lshrrev_b64 v[1:2], v30, v[5:6]
	s_delay_alu instid0(VALU_DEP_2) | instskip(NEXT) | instid1(VALU_DEP_2)
	v_cmp_eq_u64_e64 s3, v[47:48], v[27:28]
	v_dual_mov_b32 v28, v2 :: v_dual_mov_b32 v27, v1
	s_delay_alu instid0(VALU_DEP_2)
	s_and_saveexec_b32 s56, s3
; %bb.430:                              ;   in Loop: Header=BB11_372 Depth=2
	v_bfe_u32 v5, v1, 20, 1
	s_delay_alu instid0(VALU_DEP_1) | instskip(NEXT) | instid1(VALU_DEP_1)
	v_add_co_u32 v5, s3, v1, v5
	v_add_co_u32 v27, s3, v5, -1
; %bb.431:                              ;   in Loop: Header=BB11_372 Depth=2
	s_or_b32 exec_lo, exec_lo, s56
	v_add_nc_u32_e32 v5, 0xffffff81, v29
	v_lshrrev_b32_e32 v28, 23, v1
	s_mov_b32 s3, exec_lo
	s_delay_alu instid0(VALU_DEP_2) | instskip(NEXT) | instid1(VALU_DEP_1)
	v_cndmask_b32_e64 v5, v5, 0xffffff82, vcc_lo
	v_add3_u32 v28, v30, v5, v28
	v_and_b32_e32 v5, 0xfffff, v27
	s_delay_alu instid0(VALU_DEP_2) | instskip(NEXT) | instid1(VALU_DEP_2)
	v_add_nc_u32_e32 v27, 6, v28
	v_add_co_u32 v1, vcc_lo, v5, v1
	v_add_co_ci_u32_e32 v2, vcc_lo, 0, v2, vcc_lo
                                        ; implicit-def: $vgpr5
	s_delay_alu instid0(VALU_DEP_3)
	v_cmpx_ne_u32_e32 0, v27
	s_xor_b32 s3, exec_lo, s3
; %bb.432:                              ;   in Loop: Header=BB11_372 Depth=2
	s_delay_alu instid0(VALU_DEP_2) | instskip(SKIP_1) | instid1(VALU_DEP_1)
	v_cmp_lt_u64_e32 vcc_lo, 0xffffff, v[1:2]
	v_add_nc_u32_e32 v5, 7, v28
	v_cndmask_b32_e32 v5, v27, v5, vcc_lo
	v_cndmask_b32_e64 v27, 0, 1, vcc_lo
	s_delay_alu instid0(VALU_DEP_1)
	v_lshrrev_b64 v[1:2], v27, v[1:2]
; %bb.433:                              ;   in Loop: Header=BB11_372 Depth=2
	s_and_not1_saveexec_b32 s3, s3
; %bb.434:                              ;   in Loop: Header=BB11_372 Depth=2
	s_delay_alu instid0(VALU_DEP_1)
	v_bfe_u32 v5, v1, 23, 1
; %bb.435:                              ;   in Loop: Header=BB11_372 Depth=2
	s_or_b32 exec_lo, exec_lo, s3
	s_delay_alu instid0(VALU_DEP_2) | instskip(NEXT) | instid1(VALU_DEP_2)
	v_lshrrev_b64 v[1:2], 20, v[1:2]
	v_cmp_gt_i32_e32 vcc_lo, 16, v5
	v_cmp_ne_u32_e64 s3, 0, v5
	s_delay_alu instid0(VALU_DEP_3) | instskip(NEXT) | instid1(VALU_DEP_1)
	v_dual_cndmask_b32 v28, 0, v2 :: v_dual_cndmask_b32 v27, 7, v1
                                        ; implicit-def: $vgpr1_vgpr2
	v_cmp_ne_u64_e32 vcc_lo, 0, v[27:28]
	s_delay_alu instid0(VALU_DEP_3) | instskip(NEXT) | instid1(SALU_CYCLE_1)
	s_or_b32 s3, s3, vcc_lo
	s_and_saveexec_b32 s56, s3
	s_delay_alu instid0(SALU_CYCLE_1)
	s_xor_b32 s3, exec_lo, s56
; %bb.436:                              ;   in Loop: Header=BB11_372 Depth=2
	v_min_i32_e32 v1, 15, v5
	s_delay_alu instid0(VALU_DEP_1) | instskip(NEXT) | instid1(VALU_DEP_1)
	v_lshl_or_b32 v1, v1, 3, v8
                                        ; implicit-def: $vgpr8
	v_and_or_b32 v1, v27, 7, v1
; %bb.437:                              ;   in Loop: Header=BB11_372 Depth=2
	s_and_not1_saveexec_b32 s3, s3
; %bb.438:                              ;   in Loop: Header=BB11_372 Depth=2
	v_dual_mov_b32 v1, v8 :: v_dual_mov_b32 v2, v9
; %bb.439:                              ;   in Loop: Header=BB11_372 Depth=2
	s_or_b32 exec_lo, exec_lo, s3
.LBB11_440:                             ;   in Loop: Header=BB11_372 Depth=2
	s_delay_alu instid0(SALU_CYCLE_1)
	s_or_b32 exec_lo, exec_lo, s55
.LBB11_441:                             ;   in Loop: Header=BB11_372 Depth=2
	s_and_not1_saveexec_b32 s3, s54
	s_delay_alu instid0(SALU_CYCLE_1)
	s_or_b32 exec_lo, exec_lo, s3
                                        ; implicit-def: $vgpr2
.LBB11_442:                             ;   in Loop: Header=BB11_372 Depth=2
	s_and_not1_saveexec_b32 s3, s53
; %bb.443:                              ;   in Loop: Header=BB11_372 Depth=2
	v_cmp_eq_u64_e32 vcc_lo, 0, v[5:6]
	v_or_b32_e32 v2, 0x7f, v2
	s_delay_alu instid0(VALU_DEP_1)
	v_cndmask_b32_e32 v1, v2, v1, vcc_lo
; %bb.444:                              ;   in Loop: Header=BB11_372 Depth=2
	s_or_b32 exec_lo, exec_lo, s3
	v_cvt_f32_f16_e32 v2, v3
	s_mov_b32 s3, exec_lo
	v_mov_b32_e32 v30, v6
	s_delay_alu instid0(VALU_DEP_2) | instskip(NEXT) | instid1(VALU_DEP_1)
	v_div_scale_f32 v5, null, v46, v46, v2
	v_rcp_f32_e32 v8, v5
	s_waitcnt_depctr 0xfff
	v_fma_f32 v27, -v5, v8, 1.0
	s_delay_alu instid0(VALU_DEP_1) | instskip(SKIP_1) | instid1(VALU_DEP_1)
	v_fmac_f32_e32 v8, v27, v8
	v_div_scale_f32 v27, vcc_lo, v2, v46, v2
	v_mul_f32_e32 v28, v27, v8
	s_delay_alu instid0(VALU_DEP_1) | instskip(NEXT) | instid1(VALU_DEP_1)
	v_fma_f32 v29, -v5, v28, v27
	v_fmac_f32_e32 v28, v29, v8
	s_delay_alu instid0(VALU_DEP_1) | instskip(NEXT) | instid1(VALU_DEP_1)
	v_fma_f32 v5, -v5, v28, v27
	v_div_fmas_f32 v5, v5, v8, v28
	s_delay_alu instid0(VALU_DEP_1) | instskip(NEXT) | instid1(VALU_DEP_1)
	v_div_fixup_f32 v2, v5, v46, v2
	v_cvt_f16_f32_e32 v2, v2
	s_delay_alu instid0(VALU_DEP_1) | instskip(NEXT) | instid1(VALU_DEP_1)
	v_cvt_f32_f16_e32 v8, v2
	v_lshrrev_b32_e32 v28, 24, v8
	v_and_b32_e32 v29, 0x7f800000, v8
	v_and_b32_e32 v5, 0x7fffff, v8
	s_delay_alu instid0(VALU_DEP_3) | instskip(NEXT) | instid1(VALU_DEP_1)
	v_and_b32_e32 v2, 0x80, v28
	v_or_b32_e32 v27, 0x7e, v2
	s_delay_alu instid0(VALU_DEP_4)
	v_cmpx_ne_u64_e32 0x7f800000, v[29:30]
	s_xor_b32 s53, exec_lo, s3
	s_cbranch_execz .LBB11_460
; %bb.445:                              ;   in Loop: Header=BB11_372 Depth=2
	v_dual_mov_b32 v29, v6 :: v_dual_and_b32 v28, 0x7fffffff, v8
	s_mov_b32 s3, exec_lo
	s_delay_alu instid0(VALU_DEP_1)
	v_cmpx_gt_u64_e32 0x43e00001, v[28:29]
	s_xor_b32 s54, exec_lo, s3
	s_cbranch_execz .LBB11_459
; %bb.446:                              ;   in Loop: Header=BB11_372 Depth=2
	s_mov_b32 s55, exec_lo
	v_mov_b32_e32 v27, 0
	v_mov_b32_e32 v28, 0
	v_cmpx_ne_u32_e32 0, v8
	s_cbranch_execz .LBB11_458
; %bb.447:                              ;   in Loop: Header=BB11_372 Depth=2
	v_bfe_u32 v8, v8, 23, 8
	v_or_b32_e32 v29, 0x800000, v5
	s_delay_alu instid0(VALU_DEP_2) | instskip(SKIP_1) | instid1(VALU_DEP_2)
	v_sub_nc_u32_e32 v27, 0x79, v8
	v_cmp_gt_u32_e32 vcc_lo, 0x7a, v8
	v_cndmask_b32_e32 v27, 0, v27, vcc_lo
	v_cmp_eq_u32_e32 vcc_lo, 0, v8
	s_delay_alu instid0(VALU_DEP_2) | instskip(SKIP_1) | instid1(VALU_DEP_2)
	v_cndmask_b32_e64 v31, v27, 0x78, vcc_lo
	v_cndmask_b32_e32 v5, v29, v5, vcc_lo
	v_add_nc_u32_e32 v27, 20, v31
	v_add_nc_u32_e32 v29, 19, v31
	s_delay_alu instid0(VALU_DEP_2) | instskip(NEXT) | instid1(VALU_DEP_2)
	v_lshlrev_b64 v[27:28], v27, -1
	v_lshlrev_b64 v[29:30], v29, 1
	s_delay_alu instid0(VALU_DEP_2) | instskip(NEXT) | instid1(VALU_DEP_3)
	v_not_b32_e32 v28, v28
	v_not_b32_e32 v27, v27
	s_delay_alu instid0(VALU_DEP_2) | instskip(NEXT) | instid1(VALU_DEP_2)
	v_and_b32_e32 v48, 0, v28
	v_and_b32_e32 v47, v5, v27
	v_lshrrev_b64 v[27:28], v31, v[5:6]
	s_delay_alu instid0(VALU_DEP_2) | instskip(NEXT) | instid1(VALU_DEP_2)
	v_cmp_eq_u64_e64 s3, v[47:48], v[29:30]
	v_dual_mov_b32 v30, v28 :: v_dual_mov_b32 v29, v27
	s_delay_alu instid0(VALU_DEP_2)
	s_and_saveexec_b32 s56, s3
; %bb.448:                              ;   in Loop: Header=BB11_372 Depth=2
	v_bfe_u32 v5, v27, 20, 1
	s_delay_alu instid0(VALU_DEP_1) | instskip(NEXT) | instid1(VALU_DEP_1)
	v_add_co_u32 v5, s3, v27, v5
	v_add_co_u32 v29, s3, v5, -1
; %bb.449:                              ;   in Loop: Header=BB11_372 Depth=2
	s_or_b32 exec_lo, exec_lo, s56
	v_add_nc_u32_e32 v5, 0xffffff81, v8
	v_lshrrev_b32_e32 v8, 23, v27
	s_mov_b32 s3, exec_lo
	s_delay_alu instid0(VALU_DEP_2) | instskip(NEXT) | instid1(VALU_DEP_1)
	v_cndmask_b32_e64 v5, v5, 0xffffff82, vcc_lo
	v_add3_u32 v8, v31, v5, v8
	v_and_b32_e32 v5, 0xfffff, v29
	s_delay_alu instid0(VALU_DEP_2) | instskip(NEXT) | instid1(VALU_DEP_2)
	v_add_nc_u32_e32 v29, 6, v8
	v_add_co_u32 v27, vcc_lo, v5, v27
	v_add_co_ci_u32_e32 v28, vcc_lo, 0, v28, vcc_lo
                                        ; implicit-def: $vgpr5
	s_delay_alu instid0(VALU_DEP_3)
	v_cmpx_ne_u32_e32 0, v29
	s_xor_b32 s3, exec_lo, s3
; %bb.450:                              ;   in Loop: Header=BB11_372 Depth=2
	s_delay_alu instid0(VALU_DEP_2) | instskip(SKIP_2) | instid1(VALU_DEP_2)
	v_cmp_lt_u64_e32 vcc_lo, 0xffffff, v[27:28]
	v_add_nc_u32_e32 v5, 7, v8
	v_cndmask_b32_e64 v8, 0, 1, vcc_lo
	v_cndmask_b32_e32 v5, v29, v5, vcc_lo
	s_delay_alu instid0(VALU_DEP_2)
	v_lshrrev_b64 v[27:28], v8, v[27:28]
; %bb.451:                              ;   in Loop: Header=BB11_372 Depth=2
	s_and_not1_saveexec_b32 s3, s3
; %bb.452:                              ;   in Loop: Header=BB11_372 Depth=2
	s_delay_alu instid0(VALU_DEP_1)
	v_bfe_u32 v5, v27, 23, 1
; %bb.453:                              ;   in Loop: Header=BB11_372 Depth=2
	s_or_b32 exec_lo, exec_lo, s3
	s_delay_alu instid0(VALU_DEP_2) | instskip(NEXT) | instid1(VALU_DEP_2)
	v_lshrrev_b64 v[27:28], 20, v[27:28]
	v_cmp_gt_i32_e32 vcc_lo, 16, v5
	v_cmp_ne_u32_e64 s3, 0, v5
	s_delay_alu instid0(VALU_DEP_3) | instskip(NEXT) | instid1(VALU_DEP_1)
	v_dual_cndmask_b32 v30, 0, v28 :: v_dual_cndmask_b32 v29, 7, v27
                                        ; implicit-def: $vgpr27_vgpr28
	v_cmp_ne_u64_e32 vcc_lo, 0, v[29:30]
	s_delay_alu instid0(VALU_DEP_3) | instskip(NEXT) | instid1(SALU_CYCLE_1)
	s_or_b32 s3, s3, vcc_lo
	s_and_saveexec_b32 s56, s3
	s_delay_alu instid0(SALU_CYCLE_1)
	s_xor_b32 s3, exec_lo, s56
; %bb.454:                              ;   in Loop: Header=BB11_372 Depth=2
	v_min_i32_e32 v5, 15, v5
	s_delay_alu instid0(VALU_DEP_1) | instskip(NEXT) | instid1(VALU_DEP_1)
	v_lshl_or_b32 v2, v5, 3, v2
	v_and_or_b32 v27, v29, 7, v2
                                        ; implicit-def: $vgpr2
; %bb.455:                              ;   in Loop: Header=BB11_372 Depth=2
	s_and_not1_saveexec_b32 s3, s3
; %bb.456:                              ;   in Loop: Header=BB11_372 Depth=2
	v_dual_mov_b32 v28, v3 :: v_dual_mov_b32 v27, v2
; %bb.457:                              ;   in Loop: Header=BB11_372 Depth=2
	s_or_b32 exec_lo, exec_lo, s3
.LBB11_458:                             ;   in Loop: Header=BB11_372 Depth=2
	s_delay_alu instid0(SALU_CYCLE_1)
	s_or_b32 exec_lo, exec_lo, s55
.LBB11_459:                             ;   in Loop: Header=BB11_372 Depth=2
	s_and_not1_saveexec_b32 s3, s54
	s_delay_alu instid0(SALU_CYCLE_1)
	s_or_b32 exec_lo, exec_lo, s3
                                        ; implicit-def: $vgpr28
.LBB11_460:                             ;   in Loop: Header=BB11_372 Depth=2
	s_and_not1_saveexec_b32 s3, s53
; %bb.461:                              ;   in Loop: Header=BB11_372 Depth=2
	v_cmp_eq_u64_e32 vcc_lo, 0, v[5:6]
	v_or_b32_e32 v2, 0x7f, v28
	s_delay_alu instid0(VALU_DEP_1)
	v_cndmask_b32_e32 v27, v2, v27, vcc_lo
; %bb.462:                              ;   in Loop: Header=BB11_372 Depth=2
	s_or_b32 exec_lo, exec_lo, s3
	v_lshrrev_b32_e32 v2, 16, v3
	s_mov_b32 s3, exec_lo
	v_mov_b32_e32 v30, v6
	s_delay_alu instid0(VALU_DEP_2) | instskip(NEXT) | instid1(VALU_DEP_1)
	v_cvt_f32_f16_e32 v2, v2
	v_div_scale_f32 v3, null, v46, v46, v2
	s_delay_alu instid0(VALU_DEP_1) | instskip(SKIP_2) | instid1(VALU_DEP_1)
	v_rcp_f32_e32 v5, v3
	s_waitcnt_depctr 0xfff
	v_fma_f32 v8, -v3, v5, 1.0
	v_fmac_f32_e32 v5, v8, v5
	v_div_scale_f32 v8, vcc_lo, v2, v46, v2
	s_delay_alu instid0(VALU_DEP_1) | instskip(NEXT) | instid1(VALU_DEP_1)
	v_mul_f32_e32 v28, v8, v5
	v_fma_f32 v29, -v3, v28, v8
	s_delay_alu instid0(VALU_DEP_1) | instskip(NEXT) | instid1(VALU_DEP_1)
	v_fmac_f32_e32 v28, v29, v5
	v_fma_f32 v3, -v3, v28, v8
	s_delay_alu instid0(VALU_DEP_1) | instskip(NEXT) | instid1(VALU_DEP_1)
	v_div_fmas_f32 v3, v3, v5, v28
	v_div_fixup_f32 v2, v3, v46, v2
	s_delay_alu instid0(VALU_DEP_1) | instskip(NEXT) | instid1(VALU_DEP_1)
	v_cvt_f16_f32_e32 v2, v2
	v_cvt_f32_f16_e32 v28, v2
	s_delay_alu instid0(VALU_DEP_1) | instskip(SKIP_2) | instid1(VALU_DEP_3)
	v_lshrrev_b32_e32 v3, 24, v28
	v_and_b32_e32 v29, 0x7f800000, v28
	v_and_b32_e32 v5, 0x7fffff, v28
	;; [unrolled: 1-line block ×3, first 2 shown]
	s_delay_alu instid0(VALU_DEP_1) | instskip(NEXT) | instid1(VALU_DEP_4)
	v_or_b32_e32 v2, 0x7e, v8
	v_cmpx_ne_u64_e32 0x7f800000, v[29:30]
	s_xor_b32 s53, exec_lo, s3
	s_cbranch_execz .LBB11_478
; %bb.463:                              ;   in Loop: Header=BB11_372 Depth=2
	v_dual_mov_b32 v30, v6 :: v_dual_and_b32 v29, 0x7fffffff, v28
	s_mov_b32 s3, exec_lo
	s_delay_alu instid0(VALU_DEP_1)
	v_cmpx_gt_u64_e32 0x43e00001, v[29:30]
	s_xor_b32 s54, exec_lo, s3
	s_cbranch_execz .LBB11_477
; %bb.464:                              ;   in Loop: Header=BB11_372 Depth=2
	s_mov_b32 s55, exec_lo
	v_mov_b32_e32 v2, 0
	v_mov_b32_e32 v3, 0
	v_cmpx_ne_u32_e32 0, v28
	s_cbranch_execz .LBB11_476
; %bb.465:                              ;   in Loop: Header=BB11_372 Depth=2
	v_bfe_u32 v30, v28, 23, 8
	v_or_b32_e32 v28, 0x800000, v5
	s_delay_alu instid0(VALU_DEP_2) | instskip(SKIP_1) | instid1(VALU_DEP_2)
	v_sub_nc_u32_e32 v2, 0x79, v30
	v_cmp_gt_u32_e32 vcc_lo, 0x7a, v30
	v_cndmask_b32_e32 v2, 0, v2, vcc_lo
	v_cmp_eq_u32_e32 vcc_lo, 0, v30
	v_cndmask_b32_e32 v5, v28, v5, vcc_lo
	s_delay_alu instid0(VALU_DEP_3) | instskip(NEXT) | instid1(VALU_DEP_1)
	v_cndmask_b32_e64 v31, v2, 0x78, vcc_lo
	v_add_nc_u32_e32 v2, 20, v31
	v_add_nc_u32_e32 v28, 19, v31
	s_delay_alu instid0(VALU_DEP_2) | instskip(NEXT) | instid1(VALU_DEP_2)
	v_lshlrev_b64 v[2:3], v2, -1
	v_lshlrev_b64 v[28:29], v28, 1
	s_delay_alu instid0(VALU_DEP_2) | instskip(NEXT) | instid1(VALU_DEP_3)
	v_not_b32_e32 v3, v3
	v_not_b32_e32 v2, v2
	s_delay_alu instid0(VALU_DEP_2) | instskip(NEXT) | instid1(VALU_DEP_2)
	v_and_b32_e32 v48, 0, v3
	v_and_b32_e32 v47, v5, v2
	v_lshrrev_b64 v[2:3], v31, v[5:6]
	s_delay_alu instid0(VALU_DEP_2) | instskip(NEXT) | instid1(VALU_DEP_2)
	v_cmp_eq_u64_e64 s3, v[47:48], v[28:29]
	v_dual_mov_b32 v29, v3 :: v_dual_mov_b32 v28, v2
	s_delay_alu instid0(VALU_DEP_2)
	s_and_saveexec_b32 s56, s3
; %bb.466:                              ;   in Loop: Header=BB11_372 Depth=2
	v_bfe_u32 v5, v2, 20, 1
	s_delay_alu instid0(VALU_DEP_1) | instskip(NEXT) | instid1(VALU_DEP_1)
	v_add_co_u32 v5, s3, v2, v5
	v_add_co_u32 v28, s3, v5, -1
; %bb.467:                              ;   in Loop: Header=BB11_372 Depth=2
	s_or_b32 exec_lo, exec_lo, s56
	v_add_nc_u32_e32 v5, 0xffffff81, v30
	v_lshrrev_b32_e32 v29, 23, v2
	s_mov_b32 s3, exec_lo
	s_delay_alu instid0(VALU_DEP_2) | instskip(NEXT) | instid1(VALU_DEP_1)
	v_cndmask_b32_e64 v5, v5, 0xffffff82, vcc_lo
	v_add3_u32 v29, v31, v5, v29
	v_and_b32_e32 v5, 0xfffff, v28
	s_delay_alu instid0(VALU_DEP_2) | instskip(NEXT) | instid1(VALU_DEP_2)
	v_add_nc_u32_e32 v28, 6, v29
	v_add_co_u32 v2, vcc_lo, v5, v2
	v_add_co_ci_u32_e32 v3, vcc_lo, 0, v3, vcc_lo
                                        ; implicit-def: $vgpr5
	s_delay_alu instid0(VALU_DEP_3)
	v_cmpx_ne_u32_e32 0, v28
	s_xor_b32 s3, exec_lo, s3
; %bb.468:                              ;   in Loop: Header=BB11_372 Depth=2
	s_delay_alu instid0(VALU_DEP_2) | instskip(SKIP_1) | instid1(VALU_DEP_1)
	v_cmp_lt_u64_e32 vcc_lo, 0xffffff, v[2:3]
	v_add_nc_u32_e32 v5, 7, v29
	v_cndmask_b32_e32 v5, v28, v5, vcc_lo
	v_cndmask_b32_e64 v28, 0, 1, vcc_lo
	s_delay_alu instid0(VALU_DEP_1)
	v_lshrrev_b64 v[2:3], v28, v[2:3]
; %bb.469:                              ;   in Loop: Header=BB11_372 Depth=2
	s_and_not1_saveexec_b32 s3, s3
; %bb.470:                              ;   in Loop: Header=BB11_372 Depth=2
	s_delay_alu instid0(VALU_DEP_1)
	v_bfe_u32 v5, v2, 23, 1
; %bb.471:                              ;   in Loop: Header=BB11_372 Depth=2
	s_or_b32 exec_lo, exec_lo, s3
	s_delay_alu instid0(VALU_DEP_2) | instskip(NEXT) | instid1(VALU_DEP_2)
	v_lshrrev_b64 v[2:3], 20, v[2:3]
	v_cmp_gt_i32_e32 vcc_lo, 16, v5
	v_cmp_ne_u32_e64 s3, 0, v5
	s_delay_alu instid0(VALU_DEP_3) | instskip(NEXT) | instid1(VALU_DEP_1)
	v_dual_cndmask_b32 v29, 0, v3 :: v_dual_cndmask_b32 v28, 7, v2
                                        ; implicit-def: $vgpr2_vgpr3
	v_cmp_ne_u64_e32 vcc_lo, 0, v[28:29]
	s_delay_alu instid0(VALU_DEP_3) | instskip(NEXT) | instid1(SALU_CYCLE_1)
	s_or_b32 s3, s3, vcc_lo
	s_and_saveexec_b32 s56, s3
	s_delay_alu instid0(SALU_CYCLE_1)
	s_xor_b32 s3, exec_lo, s56
; %bb.472:                              ;   in Loop: Header=BB11_372 Depth=2
	v_min_i32_e32 v2, 15, v5
	s_delay_alu instid0(VALU_DEP_1) | instskip(NEXT) | instid1(VALU_DEP_1)
	v_lshl_or_b32 v2, v2, 3, v8
                                        ; implicit-def: $vgpr8
	v_and_or_b32 v2, v28, 7, v2
; %bb.473:                              ;   in Loop: Header=BB11_372 Depth=2
	s_and_not1_saveexec_b32 s3, s3
; %bb.474:                              ;   in Loop: Header=BB11_372 Depth=2
	v_dual_mov_b32 v2, v8 :: v_dual_mov_b32 v3, v9
; %bb.475:                              ;   in Loop: Header=BB11_372 Depth=2
	s_or_b32 exec_lo, exec_lo, s3
.LBB11_476:                             ;   in Loop: Header=BB11_372 Depth=2
	s_delay_alu instid0(SALU_CYCLE_1)
	s_or_b32 exec_lo, exec_lo, s55
.LBB11_477:                             ;   in Loop: Header=BB11_372 Depth=2
	s_and_not1_saveexec_b32 s3, s54
	s_delay_alu instid0(SALU_CYCLE_1)
	s_or_b32 exec_lo, exec_lo, s3
                                        ; implicit-def: $vgpr3
.LBB11_478:                             ;   in Loop: Header=BB11_372 Depth=2
	s_and_not1_saveexec_b32 s3, s53
; %bb.479:                              ;   in Loop: Header=BB11_372 Depth=2
	v_cmp_eq_u64_e32 vcc_lo, 0, v[5:6]
	v_or_b32_e32 v3, 0x7f, v3
	s_delay_alu instid0(VALU_DEP_1)
	v_cndmask_b32_e32 v2, v3, v2, vcc_lo
; %bb.480:                              ;   in Loop: Header=BB11_372 Depth=2
	s_or_b32 exec_lo, exec_lo, s3
	v_cvt_f32_f16_e32 v3, v4
	s_mov_b32 s3, exec_lo
	v_mov_b32_e32 v31, v6
	s_delay_alu instid0(VALU_DEP_2) | instskip(NEXT) | instid1(VALU_DEP_1)
	v_div_scale_f32 v5, null, v46, v46, v3
	v_rcp_f32_e32 v8, v5
	s_waitcnt_depctr 0xfff
	v_fma_f32 v28, -v5, v8, 1.0
	s_delay_alu instid0(VALU_DEP_1) | instskip(SKIP_1) | instid1(VALU_DEP_1)
	v_fmac_f32_e32 v8, v28, v8
	v_div_scale_f32 v28, vcc_lo, v3, v46, v3
	v_mul_f32_e32 v29, v28, v8
	s_delay_alu instid0(VALU_DEP_1) | instskip(NEXT) | instid1(VALU_DEP_1)
	v_fma_f32 v30, -v5, v29, v28
	v_fmac_f32_e32 v29, v30, v8
	s_delay_alu instid0(VALU_DEP_1) | instskip(NEXT) | instid1(VALU_DEP_1)
	v_fma_f32 v5, -v5, v29, v28
	v_div_fmas_f32 v5, v5, v8, v29
	s_delay_alu instid0(VALU_DEP_1) | instskip(NEXT) | instid1(VALU_DEP_1)
	v_div_fixup_f32 v3, v5, v46, v3
	v_cvt_f16_f32_e32 v3, v3
	s_delay_alu instid0(VALU_DEP_1) | instskip(NEXT) | instid1(VALU_DEP_1)
	v_cvt_f32_f16_e32 v8, v3
	v_lshrrev_b32_e32 v29, 24, v8
	v_and_b32_e32 v30, 0x7f800000, v8
	v_and_b32_e32 v5, 0x7fffff, v8
	s_delay_alu instid0(VALU_DEP_3) | instskip(NEXT) | instid1(VALU_DEP_1)
	v_and_b32_e32 v3, 0x80, v29
	v_or_b32_e32 v28, 0x7e, v3
	s_delay_alu instid0(VALU_DEP_4)
	v_cmpx_ne_u64_e32 0x7f800000, v[30:31]
	s_xor_b32 s53, exec_lo, s3
	s_cbranch_execz .LBB11_496
; %bb.481:                              ;   in Loop: Header=BB11_372 Depth=2
	v_dual_mov_b32 v30, v6 :: v_dual_and_b32 v29, 0x7fffffff, v8
	s_mov_b32 s3, exec_lo
	s_delay_alu instid0(VALU_DEP_1)
	v_cmpx_gt_u64_e32 0x43e00001, v[29:30]
	s_xor_b32 s54, exec_lo, s3
	s_cbranch_execz .LBB11_495
; %bb.482:                              ;   in Loop: Header=BB11_372 Depth=2
	s_mov_b32 s55, exec_lo
	v_mov_b32_e32 v28, 0
	v_mov_b32_e32 v29, 0
	v_cmpx_ne_u32_e32 0, v8
	s_cbranch_execz .LBB11_494
; %bb.483:                              ;   in Loop: Header=BB11_372 Depth=2
	v_bfe_u32 v8, v8, 23, 8
	v_or_b32_e32 v30, 0x800000, v5
	s_delay_alu instid0(VALU_DEP_2) | instskip(SKIP_1) | instid1(VALU_DEP_2)
	v_sub_nc_u32_e32 v28, 0x79, v8
	v_cmp_gt_u32_e32 vcc_lo, 0x7a, v8
	v_cndmask_b32_e32 v28, 0, v28, vcc_lo
	v_cmp_eq_u32_e32 vcc_lo, 0, v8
	v_cndmask_b32_e32 v5, v30, v5, vcc_lo
	s_delay_alu instid0(VALU_DEP_3) | instskip(NEXT) | instid1(VALU_DEP_1)
	v_cndmask_b32_e64 v34, v28, 0x78, vcc_lo
	v_add_nc_u32_e32 v28, 20, v34
	v_add_nc_u32_e32 v30, 19, v34
	s_delay_alu instid0(VALU_DEP_2) | instskip(NEXT) | instid1(VALU_DEP_2)
	v_lshlrev_b64 v[28:29], v28, -1
	v_lshlrev_b64 v[30:31], v30, 1
	s_delay_alu instid0(VALU_DEP_2) | instskip(NEXT) | instid1(VALU_DEP_3)
	v_not_b32_e32 v29, v29
	v_not_b32_e32 v28, v28
	s_delay_alu instid0(VALU_DEP_2) | instskip(NEXT) | instid1(VALU_DEP_2)
	v_and_b32_e32 v48, 0, v29
	v_and_b32_e32 v47, v5, v28
	v_lshrrev_b64 v[28:29], v34, v[5:6]
	s_delay_alu instid0(VALU_DEP_2) | instskip(NEXT) | instid1(VALU_DEP_2)
	v_cmp_eq_u64_e64 s3, v[47:48], v[30:31]
	v_dual_mov_b32 v31, v29 :: v_dual_mov_b32 v30, v28
	s_delay_alu instid0(VALU_DEP_2)
	s_and_saveexec_b32 s56, s3
; %bb.484:                              ;   in Loop: Header=BB11_372 Depth=2
	v_bfe_u32 v5, v28, 20, 1
	s_delay_alu instid0(VALU_DEP_1) | instskip(NEXT) | instid1(VALU_DEP_1)
	v_add_co_u32 v5, s3, v28, v5
	v_add_co_u32 v30, s3, v5, -1
; %bb.485:                              ;   in Loop: Header=BB11_372 Depth=2
	s_or_b32 exec_lo, exec_lo, s56
	v_add_nc_u32_e32 v5, 0xffffff81, v8
	v_lshrrev_b32_e32 v8, 23, v28
	s_mov_b32 s3, exec_lo
	s_delay_alu instid0(VALU_DEP_2) | instskip(NEXT) | instid1(VALU_DEP_1)
	v_cndmask_b32_e64 v5, v5, 0xffffff82, vcc_lo
	v_add3_u32 v8, v34, v5, v8
	v_and_b32_e32 v5, 0xfffff, v30
	s_delay_alu instid0(VALU_DEP_2) | instskip(NEXT) | instid1(VALU_DEP_2)
	v_add_nc_u32_e32 v30, 6, v8
	v_add_co_u32 v28, vcc_lo, v5, v28
	v_add_co_ci_u32_e32 v29, vcc_lo, 0, v29, vcc_lo
                                        ; implicit-def: $vgpr5
	s_delay_alu instid0(VALU_DEP_3)
	v_cmpx_ne_u32_e32 0, v30
	s_xor_b32 s3, exec_lo, s3
; %bb.486:                              ;   in Loop: Header=BB11_372 Depth=2
	s_delay_alu instid0(VALU_DEP_2) | instskip(SKIP_2) | instid1(VALU_DEP_2)
	v_cmp_lt_u64_e32 vcc_lo, 0xffffff, v[28:29]
	v_add_nc_u32_e32 v5, 7, v8
	v_cndmask_b32_e64 v8, 0, 1, vcc_lo
	v_cndmask_b32_e32 v5, v30, v5, vcc_lo
	s_delay_alu instid0(VALU_DEP_2)
	v_lshrrev_b64 v[28:29], v8, v[28:29]
; %bb.487:                              ;   in Loop: Header=BB11_372 Depth=2
	s_and_not1_saveexec_b32 s3, s3
; %bb.488:                              ;   in Loop: Header=BB11_372 Depth=2
	s_delay_alu instid0(VALU_DEP_1)
	v_bfe_u32 v5, v28, 23, 1
; %bb.489:                              ;   in Loop: Header=BB11_372 Depth=2
	s_or_b32 exec_lo, exec_lo, s3
	s_delay_alu instid0(VALU_DEP_2) | instskip(NEXT) | instid1(VALU_DEP_2)
	v_lshrrev_b64 v[28:29], 20, v[28:29]
	v_cmp_gt_i32_e32 vcc_lo, 16, v5
	v_cmp_ne_u32_e64 s3, 0, v5
	s_delay_alu instid0(VALU_DEP_3) | instskip(NEXT) | instid1(VALU_DEP_1)
	v_dual_cndmask_b32 v31, 0, v29 :: v_dual_cndmask_b32 v30, 7, v28
                                        ; implicit-def: $vgpr28_vgpr29
	v_cmp_ne_u64_e32 vcc_lo, 0, v[30:31]
	s_delay_alu instid0(VALU_DEP_3) | instskip(NEXT) | instid1(SALU_CYCLE_1)
	s_or_b32 s3, s3, vcc_lo
	s_and_saveexec_b32 s56, s3
	s_delay_alu instid0(SALU_CYCLE_1)
	s_xor_b32 s3, exec_lo, s56
; %bb.490:                              ;   in Loop: Header=BB11_372 Depth=2
	v_min_i32_e32 v5, 15, v5
	s_delay_alu instid0(VALU_DEP_1) | instskip(NEXT) | instid1(VALU_DEP_1)
	v_lshl_or_b32 v3, v5, 3, v3
	v_and_or_b32 v28, v30, 7, v3
                                        ; implicit-def: $vgpr3
; %bb.491:                              ;   in Loop: Header=BB11_372 Depth=2
	s_and_not1_saveexec_b32 s3, s3
; %bb.492:                              ;   in Loop: Header=BB11_372 Depth=2
	v_dual_mov_b32 v29, v4 :: v_dual_mov_b32 v28, v3
; %bb.493:                              ;   in Loop: Header=BB11_372 Depth=2
	s_or_b32 exec_lo, exec_lo, s3
.LBB11_494:                             ;   in Loop: Header=BB11_372 Depth=2
	s_delay_alu instid0(SALU_CYCLE_1)
	s_or_b32 exec_lo, exec_lo, s55
.LBB11_495:                             ;   in Loop: Header=BB11_372 Depth=2
	s_and_not1_saveexec_b32 s3, s54
	s_delay_alu instid0(SALU_CYCLE_1)
	s_or_b32 exec_lo, exec_lo, s3
                                        ; implicit-def: $vgpr29
.LBB11_496:                             ;   in Loop: Header=BB11_372 Depth=2
	s_and_not1_saveexec_b32 s3, s53
; %bb.497:                              ;   in Loop: Header=BB11_372 Depth=2
	v_cmp_eq_u64_e32 vcc_lo, 0, v[5:6]
	v_or_b32_e32 v3, 0x7f, v29
	s_delay_alu instid0(VALU_DEP_1)
	v_cndmask_b32_e32 v28, v3, v28, vcc_lo
; %bb.498:                              ;   in Loop: Header=BB11_372 Depth=2
	s_or_b32 exec_lo, exec_lo, s3
	v_lshrrev_b32_e32 v3, 16, v4
	s_delay_alu instid0(VALU_DEP_1) | instskip(NEXT) | instid1(VALU_DEP_1)
	v_cvt_f32_f16_e32 v3, v3
	v_div_scale_f32 v4, null, v46, v46, v3
	s_delay_alu instid0(VALU_DEP_1) | instskip(SKIP_2) | instid1(VALU_DEP_1)
	v_rcp_f32_e32 v5, v4
	s_waitcnt_depctr 0xfff
	v_fma_f32 v8, -v4, v5, 1.0
	v_fmac_f32_e32 v5, v8, v5
	v_div_scale_f32 v8, vcc_lo, v3, v46, v3
	s_delay_alu instid0(VALU_DEP_1) | instskip(NEXT) | instid1(VALU_DEP_1)
	v_mul_f32_e32 v29, v8, v5
	v_fma_f32 v30, -v4, v29, v8
	s_delay_alu instid0(VALU_DEP_1) | instskip(SKIP_1) | instid1(VALU_DEP_2)
	v_fmac_f32_e32 v29, v30, v5
	v_mov_b32_e32 v30, v6
	v_fma_f32 v4, -v4, v29, v8
	s_delay_alu instid0(VALU_DEP_1) | instskip(NEXT) | instid1(VALU_DEP_1)
	v_div_fmas_f32 v4, v4, v5, v29
	v_div_fixup_f32 v3, v4, v46, v3
	s_delay_alu instid0(VALU_DEP_1) | instskip(NEXT) | instid1(VALU_DEP_1)
	v_cvt_f16_f32_e32 v3, v3
	v_cvt_f32_f16_e32 v4, v3
	s_delay_alu instid0(VALU_DEP_1) | instskip(SKIP_2) | instid1(VALU_DEP_3)
	v_lshrrev_b32_e32 v8, 24, v4
	v_and_b32_e32 v29, 0x7f800000, v4
	v_and_b32_e32 v5, 0x7fffff, v4
	;; [unrolled: 1-line block ×3, first 2 shown]
	s_delay_alu instid0(VALU_DEP_3) | instskip(NEXT) | instid1(VALU_DEP_2)
	v_cmp_ne_u64_e32 vcc_lo, 0x7f800000, v[29:30]
	v_or_b32_e32 v29, 0x7e, v3
	s_and_saveexec_b32 s3, vcc_lo
	s_delay_alu instid0(SALU_CYCLE_1)
	s_xor_b32 s53, exec_lo, s3
	s_cbranch_execz .LBB11_514
; %bb.499:                              ;   in Loop: Header=BB11_372 Depth=2
	v_dual_mov_b32 v31, v6 :: v_dual_and_b32 v30, 0x7fffffff, v4
	s_mov_b32 s3, exec_lo
	s_delay_alu instid0(VALU_DEP_1)
	v_cmpx_gt_u64_e32 0x43e00001, v[30:31]
	s_xor_b32 s54, exec_lo, s3
	s_cbranch_execz .LBB11_513
; %bb.500:                              ;   in Loop: Header=BB11_372 Depth=2
	s_mov_b32 s55, exec_lo
	v_mov_b32_e32 v29, 0
	v_mov_b32_e32 v30, 0
	v_cmpx_ne_u32_e32 0, v4
	s_cbranch_execz .LBB11_512
; %bb.501:                              ;   in Loop: Header=BB11_372 Depth=2
	v_bfe_u32 v8, v4, 23, 8
	v_or_b32_e32 v34, 0x800000, v5
	s_delay_alu instid0(VALU_DEP_2) | instskip(SKIP_1) | instid1(VALU_DEP_2)
	v_sub_nc_u32_e32 v4, 0x79, v8
	v_cmp_gt_u32_e32 vcc_lo, 0x7a, v8
	v_cndmask_b32_e32 v4, 0, v4, vcc_lo
	v_cmp_eq_u32_e32 vcc_lo, 0, v8
	v_cndmask_b32_e32 v5, v34, v5, vcc_lo
	s_delay_alu instid0(VALU_DEP_3) | instskip(NEXT) | instid1(VALU_DEP_1)
	v_cndmask_b32_e64 v31, v4, 0x78, vcc_lo
	v_add_nc_u32_e32 v4, 20, v31
	s_delay_alu instid0(VALU_DEP_1) | instskip(SKIP_1) | instid1(VALU_DEP_2)
	v_lshlrev_b64 v[29:30], v4, -1
	v_add_nc_u32_e32 v4, 19, v31
	v_not_b32_e32 v47, v29
	s_delay_alu instid0(VALU_DEP_3) | instskip(NEXT) | instid1(VALU_DEP_3)
	v_not_b32_e32 v34, v30
	v_lshlrev_b64 v[29:30], v4, 1
	s_delay_alu instid0(VALU_DEP_3) | instskip(SKIP_1) | instid1(VALU_DEP_4)
	v_and_b32_e32 v47, v5, v47
	v_lshrrev_b64 v[4:5], v31, v[5:6]
	v_and_b32_e32 v48, 0, v34
	s_delay_alu instid0(VALU_DEP_1) | instskip(NEXT) | instid1(VALU_DEP_3)
	v_cmp_eq_u64_e64 s3, v[47:48], v[29:30]
	v_dual_mov_b32 v30, v5 :: v_dual_mov_b32 v29, v4
	s_delay_alu instid0(VALU_DEP_2)
	s_and_saveexec_b32 s56, s3
; %bb.502:                              ;   in Loop: Header=BB11_372 Depth=2
	v_bfe_u32 v29, v4, 20, 1
	s_delay_alu instid0(VALU_DEP_1) | instskip(NEXT) | instid1(VALU_DEP_1)
	v_add_co_u32 v29, s3, v4, v29
	v_add_co_u32 v29, s3, v29, -1
; %bb.503:                              ;   in Loop: Header=BB11_372 Depth=2
	s_or_b32 exec_lo, exec_lo, s56
	v_add_nc_u32_e32 v8, 0xffffff81, v8
	v_lshrrev_b32_e32 v30, 23, v4
	s_mov_b32 s3, exec_lo
	s_delay_alu instid0(VALU_DEP_2) | instskip(NEXT) | instid1(VALU_DEP_1)
	v_cndmask_b32_e64 v8, v8, 0xffffff82, vcc_lo
	v_add3_u32 v30, v31, v8, v30
	v_and_b32_e32 v8, 0xfffff, v29
	s_delay_alu instid0(VALU_DEP_2) | instskip(NEXT) | instid1(VALU_DEP_2)
	v_add_nc_u32_e32 v29, 6, v30
	v_add_co_u32 v4, vcc_lo, v8, v4
	v_add_co_ci_u32_e32 v5, vcc_lo, 0, v5, vcc_lo
                                        ; implicit-def: $vgpr8
	s_delay_alu instid0(VALU_DEP_3)
	v_cmpx_ne_u32_e32 0, v29
	s_xor_b32 s3, exec_lo, s3
; %bb.504:                              ;   in Loop: Header=BB11_372 Depth=2
	s_delay_alu instid0(VALU_DEP_2) | instskip(SKIP_1) | instid1(VALU_DEP_1)
	v_cmp_lt_u64_e32 vcc_lo, 0xffffff, v[4:5]
	v_add_nc_u32_e32 v8, 7, v30
	v_cndmask_b32_e32 v8, v29, v8, vcc_lo
	v_cndmask_b32_e64 v29, 0, 1, vcc_lo
	s_delay_alu instid0(VALU_DEP_1)
	v_lshrrev_b64 v[4:5], v29, v[4:5]
; %bb.505:                              ;   in Loop: Header=BB11_372 Depth=2
	s_and_not1_saveexec_b32 s3, s3
; %bb.506:                              ;   in Loop: Header=BB11_372 Depth=2
	s_delay_alu instid0(VALU_DEP_1)
	v_bfe_u32 v8, v4, 23, 1
; %bb.507:                              ;   in Loop: Header=BB11_372 Depth=2
	s_or_b32 exec_lo, exec_lo, s3
	s_delay_alu instid0(VALU_DEP_2) | instskip(NEXT) | instid1(VALU_DEP_2)
	v_lshrrev_b64 v[4:5], 20, v[4:5]
	v_cmp_gt_i32_e32 vcc_lo, 16, v8
	v_cmp_ne_u32_e64 s3, 0, v8
                                        ; implicit-def: $vgpr29_vgpr30
	s_delay_alu instid0(VALU_DEP_3) | instskip(NEXT) | instid1(VALU_DEP_1)
	v_dual_cndmask_b32 v5, 0, v5 :: v_dual_cndmask_b32 v4, 7, v4
	v_cmp_ne_u64_e32 vcc_lo, 0, v[4:5]
	s_delay_alu instid0(VALU_DEP_3) | instskip(NEXT) | instid1(SALU_CYCLE_1)
	s_or_b32 s3, s3, vcc_lo
	s_and_saveexec_b32 s56, s3
	s_delay_alu instid0(SALU_CYCLE_1)
	s_xor_b32 s3, exec_lo, s56
; %bb.508:                              ;   in Loop: Header=BB11_372 Depth=2
	v_min_i32_e32 v5, 15, v8
	s_delay_alu instid0(VALU_DEP_1) | instskip(NEXT) | instid1(VALU_DEP_1)
	v_lshl_or_b32 v3, v5, 3, v3
	v_and_or_b32 v29, v4, 7, v3
                                        ; implicit-def: $vgpr3
; %bb.509:                              ;   in Loop: Header=BB11_372 Depth=2
	s_and_not1_saveexec_b32 s3, s3
; %bb.510:                              ;   in Loop: Header=BB11_372 Depth=2
	v_dual_mov_b32 v30, v4 :: v_dual_mov_b32 v29, v3
; %bb.511:                              ;   in Loop: Header=BB11_372 Depth=2
	s_or_b32 exec_lo, exec_lo, s3
.LBB11_512:                             ;   in Loop: Header=BB11_372 Depth=2
	s_delay_alu instid0(SALU_CYCLE_1)
	s_or_b32 exec_lo, exec_lo, s55
.LBB11_513:                             ;   in Loop: Header=BB11_372 Depth=2
	s_and_not1_saveexec_b32 s3, s54
	s_delay_alu instid0(SALU_CYCLE_1)
	s_or_b32 exec_lo, exec_lo, s3
                                        ; implicit-def: $vgpr8
.LBB11_514:                             ;   in Loop: Header=BB11_372 Depth=2
	s_and_not1_saveexec_b32 s3, s53
	s_cbranch_execz .LBB11_371
; %bb.515:                              ;   in Loop: Header=BB11_372 Depth=2
	v_cmp_eq_u64_e32 vcc_lo, 0, v[5:6]
	v_or_b32_e32 v3, 0x7f, v8
	s_delay_alu instid0(VALU_DEP_1)
	v_cndmask_b32_e32 v29, v3, v29, vcc_lo
	s_branch .LBB11_371
.LBB11_516:                             ;   in Loop: Header=BB11_9 Depth=1
	s_or_b32 exec_lo, exec_lo, s51
	v_lshl_add_u32 v1, v15, 3, v36
	s_mov_b32 s51, exec_lo
	s_delay_alu instid0(VALU_DEP_1)
	v_cmpx_lt_i32_e64 v1, v32
	s_cbranch_execz .LBB11_537
; %bb.517:                              ;   in Loop: Header=BB11_9 Depth=1
	v_ashrrev_i32_e32 v2, 31, v1
	v_add_co_u32 v5, vcc_lo, v18, v13
	v_add_co_ci_u32_e32 v8, vcc_lo, v19, v14, vcc_lo
	s_delay_alu instid0(VALU_DEP_3) | instskip(SKIP_1) | instid1(VALU_DEP_1)
	v_lshlrev_b64 v[3:4], 1, v[1:2]
	s_mov_b32 s52, 0
	v_add_co_u32 v3, vcc_lo, v5, v3
	s_delay_alu instid0(VALU_DEP_2) | instskip(SKIP_2) | instid1(VALU_DEP_4)
	v_add_co_ci_u32_e32 v4, vcc_lo, v8, v4, vcc_lo
	v_add_co_u32 v5, vcc_lo, v16, v1
	v_add_co_ci_u32_e32 v8, vcc_lo, v17, v2, vcc_lo
	v_add_co_u32 v2, vcc_lo, s45, v3
	s_delay_alu instid0(VALU_DEP_4) | instskip(NEXT) | instid1(VALU_DEP_4)
	v_add_co_ci_u32_e32 v3, vcc_lo, s46, v4, vcc_lo
	v_add_co_u32 v13, vcc_lo, v43, v5
	s_delay_alu instid0(VALU_DEP_4)
	v_add_co_ci_u32_e32 v14, vcc_lo, v44, v8, vcc_lo
	s_branch .LBB11_519
.LBB11_518:                             ;   in Loop: Header=BB11_519 Depth=2
	s_or_b32 exec_lo, exec_lo, s3
	v_add_nc_u32_e32 v1, 32, v1
	v_add_co_u32 v2, vcc_lo, v2, 64
	v_add_co_ci_u32_e32 v3, vcc_lo, 0, v3, vcc_lo
	global_store_b8 v[13:14], v15, off
	v_cmp_ge_i32_e32 vcc_lo, v1, v32
	v_add_co_u32 v13, s3, v13, 32
	s_delay_alu instid0(VALU_DEP_1) | instskip(SKIP_1) | instid1(SALU_CYCLE_1)
	v_add_co_ci_u32_e64 v14, s3, 0, v14, s3
	s_or_b32 s52, vcc_lo, s52
	s_and_not1_b32 exec_lo, exec_lo, s52
	s_cbranch_execz .LBB11_537
.LBB11_519:                             ;   Parent Loop BB11_9 Depth=1
                                        ; =>  This Inner Loop Header: Depth=2
	global_load_u16 v4, v[2:3], off
	s_mov_b32 s3, exec_lo
	v_mov_b32_e32 v18, v6
	s_waitcnt vmcnt(0)
	v_cvt_f32_f16_e32 v4, v4
	s_delay_alu instid0(VALU_DEP_1) | instskip(NEXT) | instid1(VALU_DEP_1)
	v_div_scale_f32 v5, null, v46, v46, v4
	v_rcp_f32_e32 v8, v5
	s_waitcnt_depctr 0xfff
	v_fma_f32 v15, -v5, v8, 1.0
	s_delay_alu instid0(VALU_DEP_1) | instskip(SKIP_1) | instid1(VALU_DEP_1)
	v_fmac_f32_e32 v8, v15, v8
	v_div_scale_f32 v15, vcc_lo, v4, v46, v4
	v_mul_f32_e32 v16, v15, v8
	s_delay_alu instid0(VALU_DEP_1) | instskip(NEXT) | instid1(VALU_DEP_1)
	v_fma_f32 v17, -v5, v16, v15
	v_fmac_f32_e32 v16, v17, v8
	s_delay_alu instid0(VALU_DEP_1) | instskip(NEXT) | instid1(VALU_DEP_1)
	v_fma_f32 v5, -v5, v16, v15
	v_div_fmas_f32 v5, v5, v8, v16
	s_delay_alu instid0(VALU_DEP_1) | instskip(NEXT) | instid1(VALU_DEP_1)
	v_div_fixup_f32 v4, v5, v46, v4
	v_cvt_f16_f32_e32 v4, v4
	s_delay_alu instid0(VALU_DEP_1) | instskip(NEXT) | instid1(VALU_DEP_1)
	v_cvt_f32_f16_e32 v4, v4
	v_lshrrev_b32_e32 v16, 24, v4
	v_and_b32_e32 v17, 0x7f800000, v4
	v_and_b32_e32 v5, 0x7fffff, v4
	s_delay_alu instid0(VALU_DEP_3) | instskip(NEXT) | instid1(VALU_DEP_1)
	v_and_b32_e32 v8, 0x80, v16
	v_or_b32_e32 v15, 0x7e, v8
	s_delay_alu instid0(VALU_DEP_4)
	v_cmpx_ne_u64_e32 0x7f800000, v[17:18]
	s_xor_b32 s53, exec_lo, s3
	s_cbranch_execz .LBB11_535
; %bb.520:                              ;   in Loop: Header=BB11_519 Depth=2
	v_dual_mov_b32 v17, v6 :: v_dual_and_b32 v16, 0x7fffffff, v4
	s_mov_b32 s3, exec_lo
	s_delay_alu instid0(VALU_DEP_1)
	v_cmpx_gt_u64_e32 0x43e00001, v[16:17]
	s_xor_b32 s54, exec_lo, s3
	s_cbranch_execz .LBB11_534
; %bb.521:                              ;   in Loop: Header=BB11_519 Depth=2
	v_mov_b32_e32 v15, 0
	s_mov_b32 s55, exec_lo
	v_cmpx_ne_u32_e32 0, v4
	s_cbranch_execz .LBB11_533
; %bb.522:                              ;   in Loop: Header=BB11_519 Depth=2
	v_bfe_u32 v17, v4, 23, 8
	v_or_b32_e32 v19, 0x800000, v5
	s_delay_alu instid0(VALU_DEP_2) | instskip(SKIP_1) | instid1(VALU_DEP_2)
	v_sub_nc_u32_e32 v4, 0x79, v17
	v_cmp_gt_u32_e32 vcc_lo, 0x7a, v17
	v_cndmask_b32_e32 v4, 0, v4, vcc_lo
	v_cmp_eq_u32_e32 vcc_lo, 0, v17
	v_cndmask_b32_e32 v5, v19, v5, vcc_lo
	s_delay_alu instid0(VALU_DEP_3) | instskip(NEXT) | instid1(VALU_DEP_1)
	v_cndmask_b32_e64 v18, v4, 0x78, vcc_lo
	v_add_nc_u32_e32 v4, 20, v18
	s_delay_alu instid0(VALU_DEP_1) | instskip(SKIP_1) | instid1(VALU_DEP_2)
	v_lshlrev_b64 v[15:16], v4, -1
	v_add_nc_u32_e32 v4, 19, v18
	v_not_b32_e32 v19, v16
	s_delay_alu instid0(VALU_DEP_3) | instskip(NEXT) | instid1(VALU_DEP_3)
	v_not_b32_e32 v21, v15
	v_lshlrev_b64 v[15:16], v4, 1
	s_delay_alu instid0(VALU_DEP_3) | instskip(NEXT) | instid1(VALU_DEP_3)
	v_and_b32_e32 v20, 0, v19
	v_and_b32_e32 v19, v5, v21
	v_lshrrev_b64 v[4:5], v18, v[5:6]
	s_delay_alu instid0(VALU_DEP_2) | instskip(NEXT) | instid1(VALU_DEP_2)
	v_cmp_eq_u64_e64 s3, v[19:20], v[15:16]
	v_dual_mov_b32 v16, v5 :: v_dual_mov_b32 v15, v4
	s_delay_alu instid0(VALU_DEP_2)
	s_and_saveexec_b32 s56, s3
; %bb.523:                              ;   in Loop: Header=BB11_519 Depth=2
	v_bfe_u32 v15, v4, 20, 1
	s_delay_alu instid0(VALU_DEP_1) | instskip(NEXT) | instid1(VALU_DEP_1)
	v_add_co_u32 v15, s3, v4, v15
	v_add_co_u32 v15, s3, v15, -1
; %bb.524:                              ;   in Loop: Header=BB11_519 Depth=2
	s_or_b32 exec_lo, exec_lo, s56
	v_add_nc_u32_e32 v16, 0xffffff81, v17
	v_lshrrev_b32_e32 v17, 23, v4
	s_mov_b32 s3, exec_lo
	s_delay_alu instid0(VALU_DEP_2) | instskip(NEXT) | instid1(VALU_DEP_1)
	v_cndmask_b32_e64 v16, v16, 0xffffff82, vcc_lo
	v_add3_u32 v17, v18, v16, v17
	v_and_b32_e32 v16, 0xfffff, v15
	s_delay_alu instid0(VALU_DEP_2) | instskip(NEXT) | instid1(VALU_DEP_2)
	v_add_nc_u32_e32 v15, 6, v17
	v_add_co_u32 v4, vcc_lo, v16, v4
	v_add_co_ci_u32_e32 v5, vcc_lo, 0, v5, vcc_lo
                                        ; implicit-def: $vgpr16
	s_delay_alu instid0(VALU_DEP_3)
	v_cmpx_ne_u32_e32 0, v15
	s_xor_b32 s3, exec_lo, s3
; %bb.525:                              ;   in Loop: Header=BB11_519 Depth=2
	s_delay_alu instid0(VALU_DEP_2) | instskip(SKIP_1) | instid1(VALU_DEP_1)
	v_cmp_lt_u64_e32 vcc_lo, 0xffffff, v[4:5]
	v_add_nc_u32_e32 v16, 7, v17
	v_cndmask_b32_e32 v16, v15, v16, vcc_lo
	v_cndmask_b32_e64 v15, 0, 1, vcc_lo
	s_delay_alu instid0(VALU_DEP_1)
	v_lshrrev_b64 v[4:5], v15, v[4:5]
; %bb.526:                              ;   in Loop: Header=BB11_519 Depth=2
	s_and_not1_saveexec_b32 s3, s3
; %bb.527:                              ;   in Loop: Header=BB11_519 Depth=2
	s_delay_alu instid0(VALU_DEP_1)
	v_bfe_u32 v16, v4, 23, 1
; %bb.528:                              ;   in Loop: Header=BB11_519 Depth=2
	s_or_b32 exec_lo, exec_lo, s3
	s_delay_alu instid0(VALU_DEP_2) | instskip(NEXT) | instid1(VALU_DEP_2)
	v_lshrrev_b64 v[4:5], 20, v[4:5]
	v_cmp_gt_i32_e32 vcc_lo, 16, v16
	v_cmp_ne_u32_e64 s3, 0, v16
                                        ; implicit-def: $vgpr15
	s_delay_alu instid0(VALU_DEP_3) | instskip(NEXT) | instid1(VALU_DEP_1)
	v_dual_cndmask_b32 v5, 0, v5 :: v_dual_cndmask_b32 v4, 7, v4
	v_cmp_ne_u64_e32 vcc_lo, 0, v[4:5]
	s_delay_alu instid0(VALU_DEP_3) | instskip(NEXT) | instid1(SALU_CYCLE_1)
	s_or_b32 s3, s3, vcc_lo
	s_and_saveexec_b32 s56, s3
	s_delay_alu instid0(SALU_CYCLE_1)
	s_xor_b32 s3, exec_lo, s56
; %bb.529:                              ;   in Loop: Header=BB11_519 Depth=2
	v_min_i32_e32 v5, 15, v16
	s_delay_alu instid0(VALU_DEP_1) | instskip(NEXT) | instid1(VALU_DEP_1)
	v_lshl_or_b32 v5, v5, 3, v8
                                        ; implicit-def: $vgpr8
	v_and_or_b32 v15, v4, 7, v5
; %bb.530:                              ;   in Loop: Header=BB11_519 Depth=2
	s_and_not1_saveexec_b32 s3, s3
; %bb.531:                              ;   in Loop: Header=BB11_519 Depth=2
	v_mov_b32_e32 v15, v8
; %bb.532:                              ;   in Loop: Header=BB11_519 Depth=2
	s_or_b32 exec_lo, exec_lo, s3
.LBB11_533:                             ;   in Loop: Header=BB11_519 Depth=2
	s_delay_alu instid0(SALU_CYCLE_1)
	s_or_b32 exec_lo, exec_lo, s55
.LBB11_534:                             ;   in Loop: Header=BB11_519 Depth=2
	s_and_not1_saveexec_b32 s3, s54
	s_delay_alu instid0(SALU_CYCLE_1)
	s_or_b32 exec_lo, exec_lo, s3
                                        ; implicit-def: $vgpr16
.LBB11_535:                             ;   in Loop: Header=BB11_519 Depth=2
	s_and_not1_saveexec_b32 s3, s53
	s_cbranch_execz .LBB11_518
; %bb.536:                              ;   in Loop: Header=BB11_519 Depth=2
	v_cmp_eq_u64_e32 vcc_lo, 0, v[5:6]
	v_or_b32_e32 v4, 0x7f, v16
	s_delay_alu instid0(VALU_DEP_1)
	v_cndmask_b32_e32 v15, v4, v15, vcc_lo
	s_branch .LBB11_518
.LBB11_537:                             ;   in Loop: Header=BB11_9 Depth=1
	s_or_b32 exec_lo, exec_lo, s51
                                        ; implicit-def: $vgpr46
                                        ; implicit-def: $vgpr13_vgpr14
.LBB11_538:                             ;   in Loop: Header=BB11_9 Depth=1
	s_and_not1_saveexec_b32 s50, s50
	s_cbranch_execz .LBB11_8
; %bb.539:                              ;   in Loop: Header=BB11_9 Depth=1
	s_and_saveexec_b32 s51, s2
	s_cbranch_execz .LBB11_7
; %bb.540:                              ;   in Loop: Header=BB11_9 Depth=1
	v_add_co_u32 v13, vcc_lo, v39, v13
	v_add_co_ci_u32_e32 v14, vcc_lo, v40, v14, vcc_lo
	v_dual_mov_b32 v16, v12 :: v_dual_mov_b32 v15, v11
	v_mov_b32_e32 v25, v36
	s_mov_b32 s52, 0
	s_branch .LBB11_542
.LBB11_541:                             ;   in Loop: Header=BB11_542 Depth=2
	s_or_b32 exec_lo, exec_lo, s3
	v_lshlrev_b32_e32 v3, 16, v21
	v_lshlrev_b32_e32 v4, 16, v19
	;; [unrolled: 1-line block ×5, first 2 shown]
	v_and_b32_e32 v3, 0xff0000, v3
	v_perm_b32 v1, v1, v4, 0x4020c0c
	v_and_b32_e32 v4, 0xff, v20
	v_and_b32_e32 v17, 0xff, v17
	;; [unrolled: 1-line block ×3, first 2 shown]
	v_or_b32_e32 v3, v5, v3
	v_and_or_b32 v1, 0xff00, v8, v1
	v_add_nc_u32_e32 v25, 32, v25
	s_delay_alu instid0(VALU_DEP_3) | instskip(NEXT) | instid1(VALU_DEP_3)
	v_or3_b32 v2, v3, v2, v4
	v_or_b32_e32 v1, v1, v17
	s_delay_alu instid0(VALU_DEP_3) | instskip(SKIP_2) | instid1(VALU_DEP_1)
	v_cmp_le_i32_e32 vcc_lo, s40, v25
	global_store_b64 v[15:16], v[1:2], off
	v_add_co_u32 v15, s3, 0x100, v15
	v_add_co_ci_u32_e64 v16, s3, 0, v16, s3
	v_add_co_u32 v13, s3, 0x200, v13
	s_delay_alu instid0(VALU_DEP_1) | instskip(SKIP_1) | instid1(SALU_CYCLE_1)
	v_add_co_ci_u32_e64 v14, s3, 0, v14, s3
	s_or_b32 s52, vcc_lo, s52
	s_and_not1_b32 exec_lo, exec_lo, s52
	s_cbranch_execz .LBB11_7
.LBB11_542:                             ;   Parent Loop BB11_9 Depth=1
                                        ; =>  This Inner Loop Header: Depth=2
	global_load_b128 v[1:4], v[13:14], off
	v_mov_b32_e32 v21, v6
	s_mov_b32 s3, exec_lo
	s_waitcnt vmcnt(0)
	v_cvt_f32_f16_e32 v5, v1
	s_delay_alu instid0(VALU_DEP_1) | instskip(NEXT) | instid1(VALU_DEP_1)
	v_div_scale_f32 v8, null, v46, v46, v5
	v_rcp_f32_e32 v17, v8
	s_waitcnt_depctr 0xfff
	v_fma_f32 v18, -v8, v17, 1.0
	s_delay_alu instid0(VALU_DEP_1) | instskip(SKIP_1) | instid1(VALU_DEP_1)
	v_fmac_f32_e32 v17, v18, v17
	v_div_scale_f32 v18, vcc_lo, v5, v46, v5
	v_mul_f32_e32 v19, v18, v17
	s_delay_alu instid0(VALU_DEP_1) | instskip(NEXT) | instid1(VALU_DEP_1)
	v_fma_f32 v20, -v8, v19, v18
	v_fmac_f32_e32 v19, v20, v17
	s_delay_alu instid0(VALU_DEP_1) | instskip(NEXT) | instid1(VALU_DEP_1)
	v_fma_f32 v8, -v8, v19, v18
	v_div_fmas_f32 v8, v8, v17, v19
	s_delay_alu instid0(VALU_DEP_1) | instskip(NEXT) | instid1(VALU_DEP_1)
	v_div_fixup_f32 v5, v8, v46, v5
	v_cvt_f16_f32_e32 v5, v5
	s_delay_alu instid0(VALU_DEP_1) | instskip(NEXT) | instid1(VALU_DEP_1)
	v_cvt_f32_f16_e32 v19, v5
	v_lshrrev_b32_e32 v18, 24, v19
	v_and_b32_e32 v20, 0x7f800000, v19
	v_and_b32_e32 v5, 0x7fffff, v19
	s_delay_alu instid0(VALU_DEP_3) | instskip(NEXT) | instid1(VALU_DEP_1)
	v_and_b32_e32 v8, 0x80, v18
	v_or_b32_e32 v17, 0x7e, v8
	s_delay_alu instid0(VALU_DEP_4)
	v_cmpx_ne_u64_e32 0x7f800000, v[20:21]
	s_xor_b32 s53, exec_lo, s3
	s_cbranch_execz .LBB11_558
; %bb.543:                              ;   in Loop: Header=BB11_542 Depth=2
	v_dual_mov_b32 v21, v6 :: v_dual_and_b32 v20, 0x7fffffff, v19
	s_mov_b32 s3, exec_lo
	s_delay_alu instid0(VALU_DEP_1)
	v_cmpx_gt_u64_e32 0x43e00001, v[20:21]
	s_xor_b32 s54, exec_lo, s3
	s_cbranch_execz .LBB11_557
; %bb.544:                              ;   in Loop: Header=BB11_542 Depth=2
	s_mov_b32 s55, exec_lo
	v_mov_b32_e32 v17, 0
	v_mov_b32_e32 v18, 0
	v_cmpx_ne_u32_e32 0, v19
	s_cbranch_execz .LBB11_556
; %bb.545:                              ;   in Loop: Header=BB11_542 Depth=2
	v_bfe_u32 v21, v19, 23, 8
	v_or_b32_e32 v19, 0x800000, v5
	s_delay_alu instid0(VALU_DEP_2) | instskip(SKIP_1) | instid1(VALU_DEP_2)
	v_sub_nc_u32_e32 v17, 0x79, v21
	v_cmp_gt_u32_e32 vcc_lo, 0x7a, v21
	v_cndmask_b32_e32 v17, 0, v17, vcc_lo
	v_cmp_eq_u32_e32 vcc_lo, 0, v21
	s_delay_alu instid0(VALU_DEP_2) | instskip(SKIP_1) | instid1(VALU_DEP_2)
	v_cndmask_b32_e64 v22, v17, 0x78, vcc_lo
	v_cndmask_b32_e32 v5, v19, v5, vcc_lo
	v_add_nc_u32_e32 v17, 20, v22
	v_add_nc_u32_e32 v19, 19, v22
	s_delay_alu instid0(VALU_DEP_2) | instskip(NEXT) | instid1(VALU_DEP_2)
	v_lshlrev_b64 v[17:18], v17, -1
	v_lshlrev_b64 v[19:20], v19, 1
	s_delay_alu instid0(VALU_DEP_2) | instskip(NEXT) | instid1(VALU_DEP_3)
	v_not_b32_e32 v18, v18
	v_not_b32_e32 v17, v17
	s_delay_alu instid0(VALU_DEP_2) | instskip(NEXT) | instid1(VALU_DEP_2)
	v_and_b32_e32 v24, 0, v18
	v_and_b32_e32 v23, v5, v17
	v_lshrrev_b64 v[17:18], v22, v[5:6]
	s_delay_alu instid0(VALU_DEP_2) | instskip(NEXT) | instid1(VALU_DEP_2)
	v_cmp_eq_u64_e64 s3, v[23:24], v[19:20]
	v_dual_mov_b32 v20, v18 :: v_dual_mov_b32 v19, v17
	s_delay_alu instid0(VALU_DEP_2)
	s_and_saveexec_b32 s56, s3
; %bb.546:                              ;   in Loop: Header=BB11_542 Depth=2
	v_bfe_u32 v5, v17, 20, 1
	s_delay_alu instid0(VALU_DEP_1) | instskip(NEXT) | instid1(VALU_DEP_1)
	v_add_co_u32 v5, s3, v17, v5
	v_add_co_u32 v19, s3, v5, -1
; %bb.547:                              ;   in Loop: Header=BB11_542 Depth=2
	s_or_b32 exec_lo, exec_lo, s56
	v_add_nc_u32_e32 v5, 0xffffff81, v21
	v_lshrrev_b32_e32 v20, 23, v17
	s_mov_b32 s3, exec_lo
	s_delay_alu instid0(VALU_DEP_2) | instskip(NEXT) | instid1(VALU_DEP_1)
	v_cndmask_b32_e64 v5, v5, 0xffffff82, vcc_lo
	v_add3_u32 v20, v22, v5, v20
	v_and_b32_e32 v5, 0xfffff, v19
	s_delay_alu instid0(VALU_DEP_2) | instskip(NEXT) | instid1(VALU_DEP_2)
	v_add_nc_u32_e32 v19, 6, v20
	v_add_co_u32 v17, vcc_lo, v5, v17
	v_add_co_ci_u32_e32 v18, vcc_lo, 0, v18, vcc_lo
                                        ; implicit-def: $vgpr5
	s_delay_alu instid0(VALU_DEP_3)
	v_cmpx_ne_u32_e32 0, v19
	s_xor_b32 s3, exec_lo, s3
; %bb.548:                              ;   in Loop: Header=BB11_542 Depth=2
	s_delay_alu instid0(VALU_DEP_2) | instskip(SKIP_1) | instid1(VALU_DEP_1)
	v_cmp_lt_u64_e32 vcc_lo, 0xffffff, v[17:18]
	v_add_nc_u32_e32 v5, 7, v20
	v_cndmask_b32_e32 v5, v19, v5, vcc_lo
	v_cndmask_b32_e64 v19, 0, 1, vcc_lo
	s_delay_alu instid0(VALU_DEP_1)
	v_lshrrev_b64 v[17:18], v19, v[17:18]
; %bb.549:                              ;   in Loop: Header=BB11_542 Depth=2
	s_and_not1_saveexec_b32 s3, s3
; %bb.550:                              ;   in Loop: Header=BB11_542 Depth=2
	s_delay_alu instid0(VALU_DEP_1)
	v_bfe_u32 v5, v17, 23, 1
; %bb.551:                              ;   in Loop: Header=BB11_542 Depth=2
	s_or_b32 exec_lo, exec_lo, s3
	s_delay_alu instid0(VALU_DEP_2) | instskip(NEXT) | instid1(VALU_DEP_2)
	v_lshrrev_b64 v[17:18], 20, v[17:18]
	v_cmp_gt_i32_e32 vcc_lo, 16, v5
	v_cmp_ne_u32_e64 s3, 0, v5
	s_delay_alu instid0(VALU_DEP_3) | instskip(NEXT) | instid1(VALU_DEP_1)
	v_dual_cndmask_b32 v20, 0, v18 :: v_dual_cndmask_b32 v19, 7, v17
                                        ; implicit-def: $vgpr17_vgpr18
	v_cmp_ne_u64_e32 vcc_lo, 0, v[19:20]
	s_delay_alu instid0(VALU_DEP_3) | instskip(NEXT) | instid1(SALU_CYCLE_1)
	s_or_b32 s3, s3, vcc_lo
	s_and_saveexec_b32 s56, s3
	s_delay_alu instid0(SALU_CYCLE_1)
	s_xor_b32 s3, exec_lo, s56
; %bb.552:                              ;   in Loop: Header=BB11_542 Depth=2
	v_min_i32_e32 v5, 15, v5
	s_delay_alu instid0(VALU_DEP_1) | instskip(NEXT) | instid1(VALU_DEP_1)
	v_lshl_or_b32 v5, v5, 3, v8
                                        ; implicit-def: $vgpr8
	v_and_or_b32 v17, v19, 7, v5
; %bb.553:                              ;   in Loop: Header=BB11_542 Depth=2
	s_and_not1_saveexec_b32 s3, s3
; %bb.554:                              ;   in Loop: Header=BB11_542 Depth=2
	v_dual_mov_b32 v18, v9 :: v_dual_mov_b32 v17, v8
; %bb.555:                              ;   in Loop: Header=BB11_542 Depth=2
	s_or_b32 exec_lo, exec_lo, s3
.LBB11_556:                             ;   in Loop: Header=BB11_542 Depth=2
	s_delay_alu instid0(SALU_CYCLE_1)
	s_or_b32 exec_lo, exec_lo, s55
.LBB11_557:                             ;   in Loop: Header=BB11_542 Depth=2
	s_and_not1_saveexec_b32 s3, s54
	s_delay_alu instid0(SALU_CYCLE_1)
	s_or_b32 exec_lo, exec_lo, s3
                                        ; implicit-def: $vgpr18
.LBB11_558:                             ;   in Loop: Header=BB11_542 Depth=2
	s_and_not1_saveexec_b32 s3, s53
; %bb.559:                              ;   in Loop: Header=BB11_542 Depth=2
	v_cmp_eq_u64_e32 vcc_lo, 0, v[5:6]
	v_or_b32_e32 v8, 0x7f, v18
	s_delay_alu instid0(VALU_DEP_1)
	v_cndmask_b32_e32 v17, v8, v17, vcc_lo
; %bb.560:                              ;   in Loop: Header=BB11_542 Depth=2
	s_or_b32 exec_lo, exec_lo, s3
	v_lshrrev_b32_e32 v1, 16, v1
	s_mov_b32 s3, exec_lo
	v_mov_b32_e32 v21, v6
	s_delay_alu instid0(VALU_DEP_2) | instskip(NEXT) | instid1(VALU_DEP_1)
	v_cvt_f32_f16_e32 v1, v1
	v_div_scale_f32 v5, null, v46, v46, v1
	s_delay_alu instid0(VALU_DEP_1) | instskip(SKIP_2) | instid1(VALU_DEP_1)
	v_rcp_f32_e32 v8, v5
	s_waitcnt_depctr 0xfff
	v_fma_f32 v18, -v5, v8, 1.0
	v_fmac_f32_e32 v8, v18, v8
	v_div_scale_f32 v18, vcc_lo, v1, v46, v1
	s_delay_alu instid0(VALU_DEP_1) | instskip(NEXT) | instid1(VALU_DEP_1)
	v_mul_f32_e32 v19, v18, v8
	v_fma_f32 v20, -v5, v19, v18
	s_delay_alu instid0(VALU_DEP_1) | instskip(NEXT) | instid1(VALU_DEP_1)
	v_fmac_f32_e32 v19, v20, v8
	v_fma_f32 v5, -v5, v19, v18
	s_delay_alu instid0(VALU_DEP_1) | instskip(NEXT) | instid1(VALU_DEP_1)
	v_div_fmas_f32 v5, v5, v8, v19
	v_div_fixup_f32 v1, v5, v46, v1
	s_delay_alu instid0(VALU_DEP_1) | instskip(NEXT) | instid1(VALU_DEP_1)
	v_cvt_f16_f32_e32 v1, v1
	v_cvt_f32_f16_e32 v8, v1
	s_delay_alu instid0(VALU_DEP_1) | instskip(SKIP_2) | instid1(VALU_DEP_3)
	v_lshrrev_b32_e32 v19, 24, v8
	v_and_b32_e32 v20, 0x7f800000, v8
	v_and_b32_e32 v5, 0x7fffff, v8
	;; [unrolled: 1-line block ×3, first 2 shown]
	s_delay_alu instid0(VALU_DEP_1) | instskip(NEXT) | instid1(VALU_DEP_4)
	v_or_b32_e32 v18, 0x7e, v1
	v_cmpx_ne_u64_e32 0x7f800000, v[20:21]
	s_xor_b32 s53, exec_lo, s3
	s_cbranch_execz .LBB11_576
; %bb.561:                              ;   in Loop: Header=BB11_542 Depth=2
	v_dual_mov_b32 v20, v6 :: v_dual_and_b32 v19, 0x7fffffff, v8
	s_mov_b32 s3, exec_lo
	s_delay_alu instid0(VALU_DEP_1)
	v_cmpx_gt_u64_e32 0x43e00001, v[19:20]
	s_xor_b32 s54, exec_lo, s3
	s_cbranch_execz .LBB11_575
; %bb.562:                              ;   in Loop: Header=BB11_542 Depth=2
	s_mov_b32 s55, exec_lo
	v_mov_b32_e32 v18, 0
	v_mov_b32_e32 v19, 0
	v_cmpx_ne_u32_e32 0, v8
	s_cbranch_execz .LBB11_574
; %bb.563:                              ;   in Loop: Header=BB11_542 Depth=2
	v_bfe_u32 v8, v8, 23, 8
	v_or_b32_e32 v20, 0x800000, v5
	s_delay_alu instid0(VALU_DEP_2) | instskip(SKIP_1) | instid1(VALU_DEP_2)
	v_sub_nc_u32_e32 v18, 0x79, v8
	v_cmp_gt_u32_e32 vcc_lo, 0x7a, v8
	v_cndmask_b32_e32 v18, 0, v18, vcc_lo
	v_cmp_eq_u32_e32 vcc_lo, 0, v8
	v_cndmask_b32_e32 v5, v20, v5, vcc_lo
	s_delay_alu instid0(VALU_DEP_3) | instskip(NEXT) | instid1(VALU_DEP_1)
	v_cndmask_b32_e64 v22, v18, 0x78, vcc_lo
	v_add_nc_u32_e32 v18, 20, v22
	v_add_nc_u32_e32 v20, 19, v22
	s_delay_alu instid0(VALU_DEP_2) | instskip(NEXT) | instid1(VALU_DEP_2)
	v_lshlrev_b64 v[18:19], v18, -1
	v_lshlrev_b64 v[20:21], v20, 1
	s_delay_alu instid0(VALU_DEP_2) | instskip(NEXT) | instid1(VALU_DEP_3)
	v_not_b32_e32 v19, v19
	v_not_b32_e32 v18, v18
	s_delay_alu instid0(VALU_DEP_2) | instskip(NEXT) | instid1(VALU_DEP_2)
	v_and_b32_e32 v24, 0, v19
	v_and_b32_e32 v23, v5, v18
	v_lshrrev_b64 v[18:19], v22, v[5:6]
	s_delay_alu instid0(VALU_DEP_2) | instskip(NEXT) | instid1(VALU_DEP_2)
	v_cmp_eq_u64_e64 s3, v[23:24], v[20:21]
	v_dual_mov_b32 v21, v19 :: v_dual_mov_b32 v20, v18
	s_delay_alu instid0(VALU_DEP_2)
	s_and_saveexec_b32 s56, s3
; %bb.564:                              ;   in Loop: Header=BB11_542 Depth=2
	v_bfe_u32 v5, v18, 20, 1
	s_delay_alu instid0(VALU_DEP_1) | instskip(NEXT) | instid1(VALU_DEP_1)
	v_add_co_u32 v5, s3, v18, v5
	v_add_co_u32 v20, s3, v5, -1
; %bb.565:                              ;   in Loop: Header=BB11_542 Depth=2
	s_or_b32 exec_lo, exec_lo, s56
	v_add_nc_u32_e32 v5, 0xffffff81, v8
	v_lshrrev_b32_e32 v8, 23, v18
	s_mov_b32 s3, exec_lo
	s_delay_alu instid0(VALU_DEP_2) | instskip(NEXT) | instid1(VALU_DEP_1)
	v_cndmask_b32_e64 v5, v5, 0xffffff82, vcc_lo
	v_add3_u32 v8, v22, v5, v8
	v_and_b32_e32 v5, 0xfffff, v20
	s_delay_alu instid0(VALU_DEP_2) | instskip(NEXT) | instid1(VALU_DEP_2)
	v_add_nc_u32_e32 v20, 6, v8
	v_add_co_u32 v18, vcc_lo, v5, v18
	v_add_co_ci_u32_e32 v19, vcc_lo, 0, v19, vcc_lo
                                        ; implicit-def: $vgpr5
	s_delay_alu instid0(VALU_DEP_3)
	v_cmpx_ne_u32_e32 0, v20
	s_xor_b32 s3, exec_lo, s3
; %bb.566:                              ;   in Loop: Header=BB11_542 Depth=2
	s_delay_alu instid0(VALU_DEP_2) | instskip(SKIP_2) | instid1(VALU_DEP_2)
	v_cmp_lt_u64_e32 vcc_lo, 0xffffff, v[18:19]
	v_add_nc_u32_e32 v5, 7, v8
	v_cndmask_b32_e64 v8, 0, 1, vcc_lo
	v_cndmask_b32_e32 v5, v20, v5, vcc_lo
	s_delay_alu instid0(VALU_DEP_2)
	v_lshrrev_b64 v[18:19], v8, v[18:19]
; %bb.567:                              ;   in Loop: Header=BB11_542 Depth=2
	s_and_not1_saveexec_b32 s3, s3
; %bb.568:                              ;   in Loop: Header=BB11_542 Depth=2
	s_delay_alu instid0(VALU_DEP_1)
	v_bfe_u32 v5, v18, 23, 1
; %bb.569:                              ;   in Loop: Header=BB11_542 Depth=2
	s_or_b32 exec_lo, exec_lo, s3
	s_delay_alu instid0(VALU_DEP_2) | instskip(NEXT) | instid1(VALU_DEP_2)
	v_lshrrev_b64 v[18:19], 20, v[18:19]
	v_cmp_gt_i32_e32 vcc_lo, 16, v5
	v_cmp_ne_u32_e64 s3, 0, v5
	s_delay_alu instid0(VALU_DEP_3) | instskip(NEXT) | instid1(VALU_DEP_1)
	v_dual_cndmask_b32 v21, 0, v19 :: v_dual_cndmask_b32 v20, 7, v18
                                        ; implicit-def: $vgpr18_vgpr19
	v_cmp_ne_u64_e32 vcc_lo, 0, v[20:21]
	s_delay_alu instid0(VALU_DEP_3) | instskip(NEXT) | instid1(SALU_CYCLE_1)
	s_or_b32 s3, s3, vcc_lo
	s_and_saveexec_b32 s56, s3
	s_delay_alu instid0(SALU_CYCLE_1)
	s_xor_b32 s3, exec_lo, s56
; %bb.570:                              ;   in Loop: Header=BB11_542 Depth=2
	v_min_i32_e32 v5, 15, v5
	s_delay_alu instid0(VALU_DEP_1) | instskip(NEXT) | instid1(VALU_DEP_1)
	v_lshl_or_b32 v1, v5, 3, v1
	v_and_or_b32 v18, v20, 7, v1
                                        ; implicit-def: $vgpr1
; %bb.571:                              ;   in Loop: Header=BB11_542 Depth=2
	s_and_not1_saveexec_b32 s3, s3
; %bb.572:                              ;   in Loop: Header=BB11_542 Depth=2
	v_dual_mov_b32 v19, v2 :: v_dual_mov_b32 v18, v1
; %bb.573:                              ;   in Loop: Header=BB11_542 Depth=2
	s_or_b32 exec_lo, exec_lo, s3
.LBB11_574:                             ;   in Loop: Header=BB11_542 Depth=2
	s_delay_alu instid0(SALU_CYCLE_1)
	s_or_b32 exec_lo, exec_lo, s55
.LBB11_575:                             ;   in Loop: Header=BB11_542 Depth=2
	s_and_not1_saveexec_b32 s3, s54
	s_delay_alu instid0(SALU_CYCLE_1)
	s_or_b32 exec_lo, exec_lo, s3
                                        ; implicit-def: $vgpr19
.LBB11_576:                             ;   in Loop: Header=BB11_542 Depth=2
	s_and_not1_saveexec_b32 s3, s53
; %bb.577:                              ;   in Loop: Header=BB11_542 Depth=2
	v_cmp_eq_u64_e32 vcc_lo, 0, v[5:6]
	v_or_b32_e32 v1, 0x7f, v19
	s_delay_alu instid0(VALU_DEP_1)
	v_cndmask_b32_e32 v18, v1, v18, vcc_lo
; %bb.578:                              ;   in Loop: Header=BB11_542 Depth=2
	s_or_b32 exec_lo, exec_lo, s3
	v_cvt_f32_f16_e32 v1, v2
	s_mov_b32 s3, exec_lo
	v_mov_b32_e32 v22, v6
	s_delay_alu instid0(VALU_DEP_2) | instskip(NEXT) | instid1(VALU_DEP_1)
	v_div_scale_f32 v5, null, v46, v46, v1
	v_rcp_f32_e32 v8, v5
	s_waitcnt_depctr 0xfff
	v_fma_f32 v19, -v5, v8, 1.0
	s_delay_alu instid0(VALU_DEP_1) | instskip(SKIP_1) | instid1(VALU_DEP_1)
	v_fmac_f32_e32 v8, v19, v8
	v_div_scale_f32 v19, vcc_lo, v1, v46, v1
	v_mul_f32_e32 v20, v19, v8
	s_delay_alu instid0(VALU_DEP_1) | instskip(NEXT) | instid1(VALU_DEP_1)
	v_fma_f32 v21, -v5, v20, v19
	v_fmac_f32_e32 v20, v21, v8
	s_delay_alu instid0(VALU_DEP_1) | instskip(NEXT) | instid1(VALU_DEP_1)
	v_fma_f32 v5, -v5, v20, v19
	v_div_fmas_f32 v5, v5, v8, v20
	s_delay_alu instid0(VALU_DEP_1) | instskip(NEXT) | instid1(VALU_DEP_1)
	v_div_fixup_f32 v1, v5, v46, v1
	v_cvt_f16_f32_e32 v1, v1
	s_delay_alu instid0(VALU_DEP_1) | instskip(NEXT) | instid1(VALU_DEP_1)
	v_cvt_f32_f16_e32 v8, v1
	v_lshrrev_b32_e32 v20, 24, v8
	v_and_b32_e32 v21, 0x7f800000, v8
	v_and_b32_e32 v5, 0x7fffff, v8
	s_delay_alu instid0(VALU_DEP_3) | instskip(NEXT) | instid1(VALU_DEP_1)
	v_and_b32_e32 v1, 0x80, v20
	v_or_b32_e32 v19, 0x7e, v1
	s_delay_alu instid0(VALU_DEP_4)
	v_cmpx_ne_u64_e32 0x7f800000, v[21:22]
	s_xor_b32 s53, exec_lo, s3
	s_cbranch_execz .LBB11_594
; %bb.579:                              ;   in Loop: Header=BB11_542 Depth=2
	v_dual_mov_b32 v21, v6 :: v_dual_and_b32 v20, 0x7fffffff, v8
	s_mov_b32 s3, exec_lo
	s_delay_alu instid0(VALU_DEP_1)
	v_cmpx_gt_u64_e32 0x43e00001, v[20:21]
	s_xor_b32 s54, exec_lo, s3
	s_cbranch_execz .LBB11_593
; %bb.580:                              ;   in Loop: Header=BB11_542 Depth=2
	s_mov_b32 s55, exec_lo
	v_mov_b32_e32 v19, 0
	v_mov_b32_e32 v20, 0
	v_cmpx_ne_u32_e32 0, v8
	s_cbranch_execz .LBB11_592
; %bb.581:                              ;   in Loop: Header=BB11_542 Depth=2
	v_bfe_u32 v8, v8, 23, 8
	v_or_b32_e32 v21, 0x800000, v5
	s_delay_alu instid0(VALU_DEP_2) | instskip(SKIP_1) | instid1(VALU_DEP_2)
	v_sub_nc_u32_e32 v19, 0x79, v8
	v_cmp_gt_u32_e32 vcc_lo, 0x7a, v8
	v_cndmask_b32_e32 v19, 0, v19, vcc_lo
	v_cmp_eq_u32_e32 vcc_lo, 0, v8
	s_delay_alu instid0(VALU_DEP_2) | instskip(SKIP_1) | instid1(VALU_DEP_2)
	v_cndmask_b32_e64 v23, v19, 0x78, vcc_lo
	v_cndmask_b32_e32 v5, v21, v5, vcc_lo
	v_add_nc_u32_e32 v19, 20, v23
	v_add_nc_u32_e32 v21, 19, v23
	s_delay_alu instid0(VALU_DEP_2) | instskip(NEXT) | instid1(VALU_DEP_2)
	v_lshlrev_b64 v[19:20], v19, -1
	v_lshlrev_b64 v[21:22], v21, 1
	s_delay_alu instid0(VALU_DEP_2) | instskip(NEXT) | instid1(VALU_DEP_3)
	v_not_b32_e32 v20, v20
	v_not_b32_e32 v19, v19
	s_delay_alu instid0(VALU_DEP_2) | instskip(NEXT) | instid1(VALU_DEP_2)
	v_and_b32_e32 v27, 0, v20
	v_and_b32_e32 v26, v5, v19
	v_lshrrev_b64 v[19:20], v23, v[5:6]
	s_delay_alu instid0(VALU_DEP_2) | instskip(NEXT) | instid1(VALU_DEP_2)
	v_cmp_eq_u64_e64 s3, v[26:27], v[21:22]
	v_dual_mov_b32 v22, v20 :: v_dual_mov_b32 v21, v19
	s_delay_alu instid0(VALU_DEP_2)
	s_and_saveexec_b32 s56, s3
; %bb.582:                              ;   in Loop: Header=BB11_542 Depth=2
	v_bfe_u32 v5, v19, 20, 1
	s_delay_alu instid0(VALU_DEP_1) | instskip(NEXT) | instid1(VALU_DEP_1)
	v_add_co_u32 v5, s3, v19, v5
	v_add_co_u32 v21, s3, v5, -1
; %bb.583:                              ;   in Loop: Header=BB11_542 Depth=2
	s_or_b32 exec_lo, exec_lo, s56
	v_add_nc_u32_e32 v5, 0xffffff81, v8
	v_lshrrev_b32_e32 v8, 23, v19
	s_mov_b32 s3, exec_lo
	s_delay_alu instid0(VALU_DEP_2) | instskip(NEXT) | instid1(VALU_DEP_1)
	v_cndmask_b32_e64 v5, v5, 0xffffff82, vcc_lo
	v_add3_u32 v8, v23, v5, v8
	v_and_b32_e32 v5, 0xfffff, v21
	s_delay_alu instid0(VALU_DEP_2) | instskip(NEXT) | instid1(VALU_DEP_2)
	v_add_nc_u32_e32 v21, 6, v8
	v_add_co_u32 v19, vcc_lo, v5, v19
	v_add_co_ci_u32_e32 v20, vcc_lo, 0, v20, vcc_lo
                                        ; implicit-def: $vgpr5
	s_delay_alu instid0(VALU_DEP_3)
	v_cmpx_ne_u32_e32 0, v21
	s_xor_b32 s3, exec_lo, s3
; %bb.584:                              ;   in Loop: Header=BB11_542 Depth=2
	s_delay_alu instid0(VALU_DEP_2) | instskip(SKIP_2) | instid1(VALU_DEP_2)
	v_cmp_lt_u64_e32 vcc_lo, 0xffffff, v[19:20]
	v_add_nc_u32_e32 v5, 7, v8
	v_cndmask_b32_e64 v8, 0, 1, vcc_lo
	v_cndmask_b32_e32 v5, v21, v5, vcc_lo
	s_delay_alu instid0(VALU_DEP_2)
	v_lshrrev_b64 v[19:20], v8, v[19:20]
; %bb.585:                              ;   in Loop: Header=BB11_542 Depth=2
	s_and_not1_saveexec_b32 s3, s3
; %bb.586:                              ;   in Loop: Header=BB11_542 Depth=2
	s_delay_alu instid0(VALU_DEP_1)
	v_bfe_u32 v5, v19, 23, 1
; %bb.587:                              ;   in Loop: Header=BB11_542 Depth=2
	s_or_b32 exec_lo, exec_lo, s3
	s_delay_alu instid0(VALU_DEP_2) | instskip(NEXT) | instid1(VALU_DEP_2)
	v_lshrrev_b64 v[19:20], 20, v[19:20]
	v_cmp_gt_i32_e32 vcc_lo, 16, v5
	v_cmp_ne_u32_e64 s3, 0, v5
	s_delay_alu instid0(VALU_DEP_3) | instskip(NEXT) | instid1(VALU_DEP_1)
	v_dual_cndmask_b32 v22, 0, v20 :: v_dual_cndmask_b32 v21, 7, v19
                                        ; implicit-def: $vgpr19_vgpr20
	v_cmp_ne_u64_e32 vcc_lo, 0, v[21:22]
	s_delay_alu instid0(VALU_DEP_3) | instskip(NEXT) | instid1(SALU_CYCLE_1)
	s_or_b32 s3, s3, vcc_lo
	s_and_saveexec_b32 s56, s3
	s_delay_alu instid0(SALU_CYCLE_1)
	s_xor_b32 s3, exec_lo, s56
; %bb.588:                              ;   in Loop: Header=BB11_542 Depth=2
	v_min_i32_e32 v5, 15, v5
	s_delay_alu instid0(VALU_DEP_1) | instskip(NEXT) | instid1(VALU_DEP_1)
	v_lshl_or_b32 v1, v5, 3, v1
	v_and_or_b32 v19, v21, 7, v1
                                        ; implicit-def: $vgpr1
; %bb.589:                              ;   in Loop: Header=BB11_542 Depth=2
	s_and_not1_saveexec_b32 s3, s3
; %bb.590:                              ;   in Loop: Header=BB11_542 Depth=2
	v_dual_mov_b32 v20, v2 :: v_dual_mov_b32 v19, v1
; %bb.591:                              ;   in Loop: Header=BB11_542 Depth=2
	s_or_b32 exec_lo, exec_lo, s3
.LBB11_592:                             ;   in Loop: Header=BB11_542 Depth=2
	s_delay_alu instid0(SALU_CYCLE_1)
	s_or_b32 exec_lo, exec_lo, s55
.LBB11_593:                             ;   in Loop: Header=BB11_542 Depth=2
	s_and_not1_saveexec_b32 s3, s54
	s_delay_alu instid0(SALU_CYCLE_1)
	s_or_b32 exec_lo, exec_lo, s3
                                        ; implicit-def: $vgpr20
.LBB11_594:                             ;   in Loop: Header=BB11_542 Depth=2
	s_and_not1_saveexec_b32 s3, s53
; %bb.595:                              ;   in Loop: Header=BB11_542 Depth=2
	v_cmp_eq_u64_e32 vcc_lo, 0, v[5:6]
	v_or_b32_e32 v1, 0x7f, v20
	s_delay_alu instid0(VALU_DEP_1)
	v_cndmask_b32_e32 v19, v1, v19, vcc_lo
; %bb.596:                              ;   in Loop: Header=BB11_542 Depth=2
	s_or_b32 exec_lo, exec_lo, s3
	v_lshrrev_b32_e32 v1, 16, v2
	s_mov_b32 s3, exec_lo
	v_mov_b32_e32 v22, v6
	s_delay_alu instid0(VALU_DEP_2) | instskip(NEXT) | instid1(VALU_DEP_1)
	v_cvt_f32_f16_e32 v1, v1
	v_div_scale_f32 v2, null, v46, v46, v1
	s_delay_alu instid0(VALU_DEP_1) | instskip(SKIP_2) | instid1(VALU_DEP_1)
	v_rcp_f32_e32 v5, v2
	s_waitcnt_depctr 0xfff
	v_fma_f32 v8, -v2, v5, 1.0
	v_fmac_f32_e32 v5, v8, v5
	v_div_scale_f32 v8, vcc_lo, v1, v46, v1
	s_delay_alu instid0(VALU_DEP_1) | instskip(NEXT) | instid1(VALU_DEP_1)
	v_mul_f32_e32 v20, v8, v5
	v_fma_f32 v21, -v2, v20, v8
	s_delay_alu instid0(VALU_DEP_1) | instskip(NEXT) | instid1(VALU_DEP_1)
	v_fmac_f32_e32 v20, v21, v5
	v_fma_f32 v2, -v2, v20, v8
	s_delay_alu instid0(VALU_DEP_1) | instskip(NEXT) | instid1(VALU_DEP_1)
	v_div_fmas_f32 v2, v2, v5, v20
	v_div_fixup_f32 v1, v2, v46, v1
	s_delay_alu instid0(VALU_DEP_1) | instskip(NEXT) | instid1(VALU_DEP_1)
	v_cvt_f16_f32_e32 v1, v1
	v_cvt_f32_f16_e32 v20, v1
	s_delay_alu instid0(VALU_DEP_1) | instskip(SKIP_2) | instid1(VALU_DEP_3)
	v_lshrrev_b32_e32 v2, 24, v20
	v_and_b32_e32 v21, 0x7f800000, v20
	v_and_b32_e32 v5, 0x7fffff, v20
	;; [unrolled: 1-line block ×3, first 2 shown]
	s_delay_alu instid0(VALU_DEP_1) | instskip(NEXT) | instid1(VALU_DEP_4)
	v_or_b32_e32 v1, 0x7e, v8
	v_cmpx_ne_u64_e32 0x7f800000, v[21:22]
	s_xor_b32 s53, exec_lo, s3
	s_cbranch_execz .LBB11_612
; %bb.597:                              ;   in Loop: Header=BB11_542 Depth=2
	v_dual_mov_b32 v22, v6 :: v_dual_and_b32 v21, 0x7fffffff, v20
	s_mov_b32 s3, exec_lo
	s_delay_alu instid0(VALU_DEP_1)
	v_cmpx_gt_u64_e32 0x43e00001, v[21:22]
	s_xor_b32 s54, exec_lo, s3
	s_cbranch_execz .LBB11_611
; %bb.598:                              ;   in Loop: Header=BB11_542 Depth=2
	s_mov_b32 s55, exec_lo
	v_mov_b32_e32 v1, 0
	v_mov_b32_e32 v2, 0
	v_cmpx_ne_u32_e32 0, v20
	s_cbranch_execz .LBB11_610
; %bb.599:                              ;   in Loop: Header=BB11_542 Depth=2
	v_bfe_u32 v22, v20, 23, 8
	v_or_b32_e32 v20, 0x800000, v5
	s_delay_alu instid0(VALU_DEP_2) | instskip(SKIP_1) | instid1(VALU_DEP_2)
	v_sub_nc_u32_e32 v1, 0x79, v22
	v_cmp_gt_u32_e32 vcc_lo, 0x7a, v22
	v_cndmask_b32_e32 v1, 0, v1, vcc_lo
	v_cmp_eq_u32_e32 vcc_lo, 0, v22
	s_delay_alu instid0(VALU_DEP_2) | instskip(SKIP_1) | instid1(VALU_DEP_2)
	v_cndmask_b32_e64 v23, v1, 0x78, vcc_lo
	v_cndmask_b32_e32 v5, v20, v5, vcc_lo
	v_add_nc_u32_e32 v1, 20, v23
	v_add_nc_u32_e32 v20, 19, v23
	s_delay_alu instid0(VALU_DEP_2) | instskip(NEXT) | instid1(VALU_DEP_2)
	v_lshlrev_b64 v[1:2], v1, -1
	v_lshlrev_b64 v[20:21], v20, 1
	s_delay_alu instid0(VALU_DEP_2) | instskip(NEXT) | instid1(VALU_DEP_3)
	v_not_b32_e32 v2, v2
	v_not_b32_e32 v1, v1
	s_delay_alu instid0(VALU_DEP_2) | instskip(NEXT) | instid1(VALU_DEP_2)
	v_and_b32_e32 v27, 0, v2
	v_and_b32_e32 v26, v5, v1
	v_lshrrev_b64 v[1:2], v23, v[5:6]
	s_delay_alu instid0(VALU_DEP_2) | instskip(NEXT) | instid1(VALU_DEP_2)
	v_cmp_eq_u64_e64 s3, v[26:27], v[20:21]
	v_dual_mov_b32 v21, v2 :: v_dual_mov_b32 v20, v1
	s_delay_alu instid0(VALU_DEP_2)
	s_and_saveexec_b32 s56, s3
; %bb.600:                              ;   in Loop: Header=BB11_542 Depth=2
	v_bfe_u32 v5, v1, 20, 1
	s_delay_alu instid0(VALU_DEP_1) | instskip(NEXT) | instid1(VALU_DEP_1)
	v_add_co_u32 v5, s3, v1, v5
	v_add_co_u32 v20, s3, v5, -1
; %bb.601:                              ;   in Loop: Header=BB11_542 Depth=2
	s_or_b32 exec_lo, exec_lo, s56
	v_add_nc_u32_e32 v5, 0xffffff81, v22
	v_lshrrev_b32_e32 v21, 23, v1
	s_mov_b32 s3, exec_lo
	s_delay_alu instid0(VALU_DEP_2) | instskip(NEXT) | instid1(VALU_DEP_1)
	v_cndmask_b32_e64 v5, v5, 0xffffff82, vcc_lo
	v_add3_u32 v21, v23, v5, v21
	v_and_b32_e32 v5, 0xfffff, v20
	s_delay_alu instid0(VALU_DEP_2) | instskip(NEXT) | instid1(VALU_DEP_2)
	v_add_nc_u32_e32 v20, 6, v21
	v_add_co_u32 v1, vcc_lo, v5, v1
	v_add_co_ci_u32_e32 v2, vcc_lo, 0, v2, vcc_lo
                                        ; implicit-def: $vgpr5
	s_delay_alu instid0(VALU_DEP_3)
	v_cmpx_ne_u32_e32 0, v20
	s_xor_b32 s3, exec_lo, s3
; %bb.602:                              ;   in Loop: Header=BB11_542 Depth=2
	s_delay_alu instid0(VALU_DEP_2) | instskip(SKIP_1) | instid1(VALU_DEP_1)
	v_cmp_lt_u64_e32 vcc_lo, 0xffffff, v[1:2]
	v_add_nc_u32_e32 v5, 7, v21
	v_cndmask_b32_e32 v5, v20, v5, vcc_lo
	v_cndmask_b32_e64 v20, 0, 1, vcc_lo
	s_delay_alu instid0(VALU_DEP_1)
	v_lshrrev_b64 v[1:2], v20, v[1:2]
; %bb.603:                              ;   in Loop: Header=BB11_542 Depth=2
	s_and_not1_saveexec_b32 s3, s3
; %bb.604:                              ;   in Loop: Header=BB11_542 Depth=2
	s_delay_alu instid0(VALU_DEP_1)
	v_bfe_u32 v5, v1, 23, 1
; %bb.605:                              ;   in Loop: Header=BB11_542 Depth=2
	s_or_b32 exec_lo, exec_lo, s3
	s_delay_alu instid0(VALU_DEP_2) | instskip(NEXT) | instid1(VALU_DEP_2)
	v_lshrrev_b64 v[1:2], 20, v[1:2]
	v_cmp_gt_i32_e32 vcc_lo, 16, v5
	v_cmp_ne_u32_e64 s3, 0, v5
	s_delay_alu instid0(VALU_DEP_3) | instskip(NEXT) | instid1(VALU_DEP_1)
	v_dual_cndmask_b32 v21, 0, v2 :: v_dual_cndmask_b32 v20, 7, v1
                                        ; implicit-def: $vgpr1_vgpr2
	v_cmp_ne_u64_e32 vcc_lo, 0, v[20:21]
	s_delay_alu instid0(VALU_DEP_3) | instskip(NEXT) | instid1(SALU_CYCLE_1)
	s_or_b32 s3, s3, vcc_lo
	s_and_saveexec_b32 s56, s3
	s_delay_alu instid0(SALU_CYCLE_1)
	s_xor_b32 s3, exec_lo, s56
; %bb.606:                              ;   in Loop: Header=BB11_542 Depth=2
	v_min_i32_e32 v1, 15, v5
	s_delay_alu instid0(VALU_DEP_1) | instskip(NEXT) | instid1(VALU_DEP_1)
	v_lshl_or_b32 v1, v1, 3, v8
                                        ; implicit-def: $vgpr8
	v_and_or_b32 v1, v20, 7, v1
; %bb.607:                              ;   in Loop: Header=BB11_542 Depth=2
	s_and_not1_saveexec_b32 s3, s3
; %bb.608:                              ;   in Loop: Header=BB11_542 Depth=2
	v_dual_mov_b32 v1, v8 :: v_dual_mov_b32 v2, v9
; %bb.609:                              ;   in Loop: Header=BB11_542 Depth=2
	s_or_b32 exec_lo, exec_lo, s3
.LBB11_610:                             ;   in Loop: Header=BB11_542 Depth=2
	s_delay_alu instid0(SALU_CYCLE_1)
	s_or_b32 exec_lo, exec_lo, s55
.LBB11_611:                             ;   in Loop: Header=BB11_542 Depth=2
	s_and_not1_saveexec_b32 s3, s54
	s_delay_alu instid0(SALU_CYCLE_1)
	s_or_b32 exec_lo, exec_lo, s3
                                        ; implicit-def: $vgpr2
.LBB11_612:                             ;   in Loop: Header=BB11_542 Depth=2
	s_and_not1_saveexec_b32 s3, s53
; %bb.613:                              ;   in Loop: Header=BB11_542 Depth=2
	v_cmp_eq_u64_e32 vcc_lo, 0, v[5:6]
	v_or_b32_e32 v2, 0x7f, v2
	s_delay_alu instid0(VALU_DEP_1)
	v_cndmask_b32_e32 v1, v2, v1, vcc_lo
; %bb.614:                              ;   in Loop: Header=BB11_542 Depth=2
	s_or_b32 exec_lo, exec_lo, s3
	v_cvt_f32_f16_e32 v2, v3
	s_mov_b32 s3, exec_lo
	v_mov_b32_e32 v23, v6
	s_delay_alu instid0(VALU_DEP_2) | instskip(NEXT) | instid1(VALU_DEP_1)
	v_div_scale_f32 v5, null, v46, v46, v2
	v_rcp_f32_e32 v8, v5
	s_waitcnt_depctr 0xfff
	v_fma_f32 v20, -v5, v8, 1.0
	s_delay_alu instid0(VALU_DEP_1) | instskip(SKIP_1) | instid1(VALU_DEP_1)
	v_fmac_f32_e32 v8, v20, v8
	v_div_scale_f32 v20, vcc_lo, v2, v46, v2
	v_mul_f32_e32 v21, v20, v8
	s_delay_alu instid0(VALU_DEP_1) | instskip(NEXT) | instid1(VALU_DEP_1)
	v_fma_f32 v22, -v5, v21, v20
	v_fmac_f32_e32 v21, v22, v8
	s_delay_alu instid0(VALU_DEP_1) | instskip(NEXT) | instid1(VALU_DEP_1)
	v_fma_f32 v5, -v5, v21, v20
	v_div_fmas_f32 v5, v5, v8, v21
	s_delay_alu instid0(VALU_DEP_1) | instskip(NEXT) | instid1(VALU_DEP_1)
	v_div_fixup_f32 v2, v5, v46, v2
	v_cvt_f16_f32_e32 v2, v2
	s_delay_alu instid0(VALU_DEP_1) | instskip(NEXT) | instid1(VALU_DEP_1)
	v_cvt_f32_f16_e32 v8, v2
	v_lshrrev_b32_e32 v21, 24, v8
	v_and_b32_e32 v22, 0x7f800000, v8
	v_and_b32_e32 v5, 0x7fffff, v8
	s_delay_alu instid0(VALU_DEP_3) | instskip(NEXT) | instid1(VALU_DEP_1)
	v_and_b32_e32 v2, 0x80, v21
	v_or_b32_e32 v20, 0x7e, v2
	s_delay_alu instid0(VALU_DEP_4)
	v_cmpx_ne_u64_e32 0x7f800000, v[22:23]
	s_xor_b32 s53, exec_lo, s3
	s_cbranch_execz .LBB11_630
; %bb.615:                              ;   in Loop: Header=BB11_542 Depth=2
	v_dual_mov_b32 v22, v6 :: v_dual_and_b32 v21, 0x7fffffff, v8
	s_mov_b32 s3, exec_lo
	s_delay_alu instid0(VALU_DEP_1)
	v_cmpx_gt_u64_e32 0x43e00001, v[21:22]
	s_xor_b32 s54, exec_lo, s3
	s_cbranch_execz .LBB11_629
; %bb.616:                              ;   in Loop: Header=BB11_542 Depth=2
	s_mov_b32 s55, exec_lo
	v_mov_b32_e32 v20, 0
	v_mov_b32_e32 v21, 0
	v_cmpx_ne_u32_e32 0, v8
	s_cbranch_execz .LBB11_628
; %bb.617:                              ;   in Loop: Header=BB11_542 Depth=2
	v_bfe_u32 v8, v8, 23, 8
	v_or_b32_e32 v22, 0x800000, v5
	s_delay_alu instid0(VALU_DEP_2) | instskip(SKIP_1) | instid1(VALU_DEP_2)
	v_sub_nc_u32_e32 v20, 0x79, v8
	v_cmp_gt_u32_e32 vcc_lo, 0x7a, v8
	v_cndmask_b32_e32 v20, 0, v20, vcc_lo
	v_cmp_eq_u32_e32 vcc_lo, 0, v8
	v_cndmask_b32_e32 v5, v22, v5, vcc_lo
	s_delay_alu instid0(VALU_DEP_3) | instskip(NEXT) | instid1(VALU_DEP_1)
	v_cndmask_b32_e64 v24, v20, 0x78, vcc_lo
	v_add_nc_u32_e32 v20, 20, v24
	v_add_nc_u32_e32 v22, 19, v24
	s_delay_alu instid0(VALU_DEP_2) | instskip(NEXT) | instid1(VALU_DEP_2)
	v_lshlrev_b64 v[20:21], v20, -1
	v_lshlrev_b64 v[22:23], v22, 1
	s_delay_alu instid0(VALU_DEP_2) | instskip(NEXT) | instid1(VALU_DEP_3)
	v_not_b32_e32 v21, v21
	v_not_b32_e32 v20, v20
	s_delay_alu instid0(VALU_DEP_2) | instskip(NEXT) | instid1(VALU_DEP_2)
	v_and_b32_e32 v27, 0, v21
	v_and_b32_e32 v26, v5, v20
	v_lshrrev_b64 v[20:21], v24, v[5:6]
	s_delay_alu instid0(VALU_DEP_2) | instskip(NEXT) | instid1(VALU_DEP_2)
	v_cmp_eq_u64_e64 s3, v[26:27], v[22:23]
	v_dual_mov_b32 v23, v21 :: v_dual_mov_b32 v22, v20
	s_delay_alu instid0(VALU_DEP_2)
	s_and_saveexec_b32 s56, s3
; %bb.618:                              ;   in Loop: Header=BB11_542 Depth=2
	v_bfe_u32 v5, v20, 20, 1
	s_delay_alu instid0(VALU_DEP_1) | instskip(NEXT) | instid1(VALU_DEP_1)
	v_add_co_u32 v5, s3, v20, v5
	v_add_co_u32 v22, s3, v5, -1
; %bb.619:                              ;   in Loop: Header=BB11_542 Depth=2
	s_or_b32 exec_lo, exec_lo, s56
	v_add_nc_u32_e32 v5, 0xffffff81, v8
	v_lshrrev_b32_e32 v8, 23, v20
	s_mov_b32 s3, exec_lo
	s_delay_alu instid0(VALU_DEP_2) | instskip(NEXT) | instid1(VALU_DEP_1)
	v_cndmask_b32_e64 v5, v5, 0xffffff82, vcc_lo
	v_add3_u32 v8, v24, v5, v8
	v_and_b32_e32 v5, 0xfffff, v22
	s_delay_alu instid0(VALU_DEP_2) | instskip(NEXT) | instid1(VALU_DEP_2)
	v_add_nc_u32_e32 v22, 6, v8
	v_add_co_u32 v20, vcc_lo, v5, v20
	v_add_co_ci_u32_e32 v21, vcc_lo, 0, v21, vcc_lo
                                        ; implicit-def: $vgpr5
	s_delay_alu instid0(VALU_DEP_3)
	v_cmpx_ne_u32_e32 0, v22
	s_xor_b32 s3, exec_lo, s3
; %bb.620:                              ;   in Loop: Header=BB11_542 Depth=2
	s_delay_alu instid0(VALU_DEP_2) | instskip(SKIP_2) | instid1(VALU_DEP_2)
	v_cmp_lt_u64_e32 vcc_lo, 0xffffff, v[20:21]
	v_add_nc_u32_e32 v5, 7, v8
	v_cndmask_b32_e64 v8, 0, 1, vcc_lo
	v_cndmask_b32_e32 v5, v22, v5, vcc_lo
	s_delay_alu instid0(VALU_DEP_2)
	v_lshrrev_b64 v[20:21], v8, v[20:21]
; %bb.621:                              ;   in Loop: Header=BB11_542 Depth=2
	s_and_not1_saveexec_b32 s3, s3
; %bb.622:                              ;   in Loop: Header=BB11_542 Depth=2
	s_delay_alu instid0(VALU_DEP_1)
	v_bfe_u32 v5, v20, 23, 1
; %bb.623:                              ;   in Loop: Header=BB11_542 Depth=2
	s_or_b32 exec_lo, exec_lo, s3
	s_delay_alu instid0(VALU_DEP_2) | instskip(NEXT) | instid1(VALU_DEP_2)
	v_lshrrev_b64 v[20:21], 20, v[20:21]
	v_cmp_gt_i32_e32 vcc_lo, 16, v5
	v_cmp_ne_u32_e64 s3, 0, v5
	s_delay_alu instid0(VALU_DEP_3) | instskip(NEXT) | instid1(VALU_DEP_1)
	v_dual_cndmask_b32 v23, 0, v21 :: v_dual_cndmask_b32 v22, 7, v20
                                        ; implicit-def: $vgpr20_vgpr21
	v_cmp_ne_u64_e32 vcc_lo, 0, v[22:23]
	s_delay_alu instid0(VALU_DEP_3) | instskip(NEXT) | instid1(SALU_CYCLE_1)
	s_or_b32 s3, s3, vcc_lo
	s_and_saveexec_b32 s56, s3
	s_delay_alu instid0(SALU_CYCLE_1)
	s_xor_b32 s3, exec_lo, s56
; %bb.624:                              ;   in Loop: Header=BB11_542 Depth=2
	v_min_i32_e32 v5, 15, v5
	s_delay_alu instid0(VALU_DEP_1) | instskip(NEXT) | instid1(VALU_DEP_1)
	v_lshl_or_b32 v2, v5, 3, v2
	v_and_or_b32 v20, v22, 7, v2
                                        ; implicit-def: $vgpr2
; %bb.625:                              ;   in Loop: Header=BB11_542 Depth=2
	s_and_not1_saveexec_b32 s3, s3
; %bb.626:                              ;   in Loop: Header=BB11_542 Depth=2
	v_dual_mov_b32 v21, v3 :: v_dual_mov_b32 v20, v2
; %bb.627:                              ;   in Loop: Header=BB11_542 Depth=2
	s_or_b32 exec_lo, exec_lo, s3
.LBB11_628:                             ;   in Loop: Header=BB11_542 Depth=2
	s_delay_alu instid0(SALU_CYCLE_1)
	s_or_b32 exec_lo, exec_lo, s55
.LBB11_629:                             ;   in Loop: Header=BB11_542 Depth=2
	s_and_not1_saveexec_b32 s3, s54
	s_delay_alu instid0(SALU_CYCLE_1)
	s_or_b32 exec_lo, exec_lo, s3
                                        ; implicit-def: $vgpr21
.LBB11_630:                             ;   in Loop: Header=BB11_542 Depth=2
	s_and_not1_saveexec_b32 s3, s53
; %bb.631:                              ;   in Loop: Header=BB11_542 Depth=2
	v_cmp_eq_u64_e32 vcc_lo, 0, v[5:6]
	v_or_b32_e32 v2, 0x7f, v21
	s_delay_alu instid0(VALU_DEP_1)
	v_cndmask_b32_e32 v20, v2, v20, vcc_lo
; %bb.632:                              ;   in Loop: Header=BB11_542 Depth=2
	s_or_b32 exec_lo, exec_lo, s3
	v_lshrrev_b32_e32 v2, 16, v3
	s_mov_b32 s3, exec_lo
	v_mov_b32_e32 v23, v6
	s_delay_alu instid0(VALU_DEP_2) | instskip(NEXT) | instid1(VALU_DEP_1)
	v_cvt_f32_f16_e32 v2, v2
	v_div_scale_f32 v3, null, v46, v46, v2
	s_delay_alu instid0(VALU_DEP_1) | instskip(SKIP_2) | instid1(VALU_DEP_1)
	v_rcp_f32_e32 v5, v3
	s_waitcnt_depctr 0xfff
	v_fma_f32 v8, -v3, v5, 1.0
	v_fmac_f32_e32 v5, v8, v5
	v_div_scale_f32 v8, vcc_lo, v2, v46, v2
	s_delay_alu instid0(VALU_DEP_1) | instskip(NEXT) | instid1(VALU_DEP_1)
	v_mul_f32_e32 v21, v8, v5
	v_fma_f32 v22, -v3, v21, v8
	s_delay_alu instid0(VALU_DEP_1) | instskip(NEXT) | instid1(VALU_DEP_1)
	v_fmac_f32_e32 v21, v22, v5
	v_fma_f32 v3, -v3, v21, v8
	s_delay_alu instid0(VALU_DEP_1) | instskip(NEXT) | instid1(VALU_DEP_1)
	v_div_fmas_f32 v3, v3, v5, v21
	v_div_fixup_f32 v2, v3, v46, v2
	s_delay_alu instid0(VALU_DEP_1) | instskip(NEXT) | instid1(VALU_DEP_1)
	v_cvt_f16_f32_e32 v2, v2
	v_cvt_f32_f16_e32 v21, v2
	s_delay_alu instid0(VALU_DEP_1) | instskip(SKIP_2) | instid1(VALU_DEP_3)
	v_lshrrev_b32_e32 v3, 24, v21
	v_and_b32_e32 v22, 0x7f800000, v21
	v_and_b32_e32 v5, 0x7fffff, v21
	;; [unrolled: 1-line block ×3, first 2 shown]
	s_delay_alu instid0(VALU_DEP_1) | instskip(NEXT) | instid1(VALU_DEP_4)
	v_or_b32_e32 v2, 0x7e, v8
	v_cmpx_ne_u64_e32 0x7f800000, v[22:23]
	s_xor_b32 s53, exec_lo, s3
	s_cbranch_execz .LBB11_648
; %bb.633:                              ;   in Loop: Header=BB11_542 Depth=2
	v_dual_mov_b32 v23, v6 :: v_dual_and_b32 v22, 0x7fffffff, v21
	s_mov_b32 s3, exec_lo
	s_delay_alu instid0(VALU_DEP_1)
	v_cmpx_gt_u64_e32 0x43e00001, v[22:23]
	s_xor_b32 s54, exec_lo, s3
	s_cbranch_execz .LBB11_647
; %bb.634:                              ;   in Loop: Header=BB11_542 Depth=2
	s_mov_b32 s55, exec_lo
	v_mov_b32_e32 v2, 0
	v_mov_b32_e32 v3, 0
	v_cmpx_ne_u32_e32 0, v21
	s_cbranch_execz .LBB11_646
; %bb.635:                              ;   in Loop: Header=BB11_542 Depth=2
	v_bfe_u32 v23, v21, 23, 8
	v_or_b32_e32 v21, 0x800000, v5
	s_delay_alu instid0(VALU_DEP_2) | instskip(SKIP_1) | instid1(VALU_DEP_2)
	v_sub_nc_u32_e32 v2, 0x79, v23
	v_cmp_gt_u32_e32 vcc_lo, 0x7a, v23
	v_cndmask_b32_e32 v2, 0, v2, vcc_lo
	v_cmp_eq_u32_e32 vcc_lo, 0, v23
	v_cndmask_b32_e32 v5, v21, v5, vcc_lo
	s_delay_alu instid0(VALU_DEP_3) | instskip(NEXT) | instid1(VALU_DEP_1)
	v_cndmask_b32_e64 v24, v2, 0x78, vcc_lo
	v_add_nc_u32_e32 v2, 20, v24
	v_add_nc_u32_e32 v21, 19, v24
	s_delay_alu instid0(VALU_DEP_2) | instskip(NEXT) | instid1(VALU_DEP_2)
	v_lshlrev_b64 v[2:3], v2, -1
	v_lshlrev_b64 v[21:22], v21, 1
	s_delay_alu instid0(VALU_DEP_2) | instskip(NEXT) | instid1(VALU_DEP_3)
	v_not_b32_e32 v3, v3
	v_not_b32_e32 v2, v2
	s_delay_alu instid0(VALU_DEP_2) | instskip(NEXT) | instid1(VALU_DEP_2)
	v_and_b32_e32 v27, 0, v3
	v_and_b32_e32 v26, v5, v2
	v_lshrrev_b64 v[2:3], v24, v[5:6]
	s_delay_alu instid0(VALU_DEP_2) | instskip(NEXT) | instid1(VALU_DEP_2)
	v_cmp_eq_u64_e64 s3, v[26:27], v[21:22]
	v_dual_mov_b32 v22, v3 :: v_dual_mov_b32 v21, v2
	s_delay_alu instid0(VALU_DEP_2)
	s_and_saveexec_b32 s56, s3
; %bb.636:                              ;   in Loop: Header=BB11_542 Depth=2
	v_bfe_u32 v5, v2, 20, 1
	s_delay_alu instid0(VALU_DEP_1) | instskip(NEXT) | instid1(VALU_DEP_1)
	v_add_co_u32 v5, s3, v2, v5
	v_add_co_u32 v21, s3, v5, -1
; %bb.637:                              ;   in Loop: Header=BB11_542 Depth=2
	s_or_b32 exec_lo, exec_lo, s56
	v_add_nc_u32_e32 v5, 0xffffff81, v23
	v_lshrrev_b32_e32 v22, 23, v2
	s_mov_b32 s3, exec_lo
	s_delay_alu instid0(VALU_DEP_2) | instskip(NEXT) | instid1(VALU_DEP_1)
	v_cndmask_b32_e64 v5, v5, 0xffffff82, vcc_lo
	v_add3_u32 v22, v24, v5, v22
	v_and_b32_e32 v5, 0xfffff, v21
	s_delay_alu instid0(VALU_DEP_2) | instskip(NEXT) | instid1(VALU_DEP_2)
	v_add_nc_u32_e32 v21, 6, v22
	v_add_co_u32 v2, vcc_lo, v5, v2
	v_add_co_ci_u32_e32 v3, vcc_lo, 0, v3, vcc_lo
                                        ; implicit-def: $vgpr5
	s_delay_alu instid0(VALU_DEP_3)
	v_cmpx_ne_u32_e32 0, v21
	s_xor_b32 s3, exec_lo, s3
; %bb.638:                              ;   in Loop: Header=BB11_542 Depth=2
	s_delay_alu instid0(VALU_DEP_2) | instskip(SKIP_1) | instid1(VALU_DEP_1)
	v_cmp_lt_u64_e32 vcc_lo, 0xffffff, v[2:3]
	v_add_nc_u32_e32 v5, 7, v22
	v_cndmask_b32_e32 v5, v21, v5, vcc_lo
	v_cndmask_b32_e64 v21, 0, 1, vcc_lo
	s_delay_alu instid0(VALU_DEP_1)
	v_lshrrev_b64 v[2:3], v21, v[2:3]
; %bb.639:                              ;   in Loop: Header=BB11_542 Depth=2
	s_and_not1_saveexec_b32 s3, s3
; %bb.640:                              ;   in Loop: Header=BB11_542 Depth=2
	s_delay_alu instid0(VALU_DEP_1)
	v_bfe_u32 v5, v2, 23, 1
; %bb.641:                              ;   in Loop: Header=BB11_542 Depth=2
	s_or_b32 exec_lo, exec_lo, s3
	s_delay_alu instid0(VALU_DEP_2) | instskip(NEXT) | instid1(VALU_DEP_2)
	v_lshrrev_b64 v[2:3], 20, v[2:3]
	v_cmp_gt_i32_e32 vcc_lo, 16, v5
	v_cmp_ne_u32_e64 s3, 0, v5
	s_delay_alu instid0(VALU_DEP_3) | instskip(NEXT) | instid1(VALU_DEP_1)
	v_dual_cndmask_b32 v22, 0, v3 :: v_dual_cndmask_b32 v21, 7, v2
                                        ; implicit-def: $vgpr2_vgpr3
	v_cmp_ne_u64_e32 vcc_lo, 0, v[21:22]
	s_delay_alu instid0(VALU_DEP_3) | instskip(NEXT) | instid1(SALU_CYCLE_1)
	s_or_b32 s3, s3, vcc_lo
	s_and_saveexec_b32 s56, s3
	s_delay_alu instid0(SALU_CYCLE_1)
	s_xor_b32 s3, exec_lo, s56
; %bb.642:                              ;   in Loop: Header=BB11_542 Depth=2
	v_min_i32_e32 v2, 15, v5
	s_delay_alu instid0(VALU_DEP_1) | instskip(NEXT) | instid1(VALU_DEP_1)
	v_lshl_or_b32 v2, v2, 3, v8
                                        ; implicit-def: $vgpr8
	v_and_or_b32 v2, v21, 7, v2
; %bb.643:                              ;   in Loop: Header=BB11_542 Depth=2
	s_and_not1_saveexec_b32 s3, s3
; %bb.644:                              ;   in Loop: Header=BB11_542 Depth=2
	v_dual_mov_b32 v2, v8 :: v_dual_mov_b32 v3, v9
; %bb.645:                              ;   in Loop: Header=BB11_542 Depth=2
	s_or_b32 exec_lo, exec_lo, s3
.LBB11_646:                             ;   in Loop: Header=BB11_542 Depth=2
	s_delay_alu instid0(SALU_CYCLE_1)
	s_or_b32 exec_lo, exec_lo, s55
.LBB11_647:                             ;   in Loop: Header=BB11_542 Depth=2
	s_and_not1_saveexec_b32 s3, s54
	s_delay_alu instid0(SALU_CYCLE_1)
	s_or_b32 exec_lo, exec_lo, s3
                                        ; implicit-def: $vgpr3
.LBB11_648:                             ;   in Loop: Header=BB11_542 Depth=2
	s_and_not1_saveexec_b32 s3, s53
; %bb.649:                              ;   in Loop: Header=BB11_542 Depth=2
	v_cmp_eq_u64_e32 vcc_lo, 0, v[5:6]
	v_or_b32_e32 v3, 0x7f, v3
	s_delay_alu instid0(VALU_DEP_1)
	v_cndmask_b32_e32 v2, v3, v2, vcc_lo
; %bb.650:                              ;   in Loop: Header=BB11_542 Depth=2
	s_or_b32 exec_lo, exec_lo, s3
	v_cvt_f32_f16_e32 v3, v4
	s_mov_b32 s3, exec_lo
	v_mov_b32_e32 v24, v6
	s_delay_alu instid0(VALU_DEP_2) | instskip(NEXT) | instid1(VALU_DEP_1)
	v_div_scale_f32 v5, null, v46, v46, v3
	v_rcp_f32_e32 v8, v5
	s_waitcnt_depctr 0xfff
	v_fma_f32 v21, -v5, v8, 1.0
	s_delay_alu instid0(VALU_DEP_1) | instskip(SKIP_1) | instid1(VALU_DEP_1)
	v_fmac_f32_e32 v8, v21, v8
	v_div_scale_f32 v21, vcc_lo, v3, v46, v3
	v_mul_f32_e32 v22, v21, v8
	s_delay_alu instid0(VALU_DEP_1) | instskip(NEXT) | instid1(VALU_DEP_1)
	v_fma_f32 v23, -v5, v22, v21
	v_fmac_f32_e32 v22, v23, v8
	s_delay_alu instid0(VALU_DEP_1) | instskip(NEXT) | instid1(VALU_DEP_1)
	v_fma_f32 v5, -v5, v22, v21
	v_div_fmas_f32 v5, v5, v8, v22
	s_delay_alu instid0(VALU_DEP_1) | instskip(NEXT) | instid1(VALU_DEP_1)
	v_div_fixup_f32 v3, v5, v46, v3
	v_cvt_f16_f32_e32 v3, v3
	s_delay_alu instid0(VALU_DEP_1) | instskip(NEXT) | instid1(VALU_DEP_1)
	v_cvt_f32_f16_e32 v8, v3
	v_lshrrev_b32_e32 v22, 24, v8
	v_and_b32_e32 v23, 0x7f800000, v8
	v_and_b32_e32 v5, 0x7fffff, v8
	s_delay_alu instid0(VALU_DEP_3) | instskip(NEXT) | instid1(VALU_DEP_1)
	v_and_b32_e32 v3, 0x80, v22
	v_or_b32_e32 v21, 0x7e, v3
	s_delay_alu instid0(VALU_DEP_4)
	v_cmpx_ne_u64_e32 0x7f800000, v[23:24]
	s_xor_b32 s53, exec_lo, s3
	s_cbranch_execz .LBB11_666
; %bb.651:                              ;   in Loop: Header=BB11_542 Depth=2
	v_dual_mov_b32 v23, v6 :: v_dual_and_b32 v22, 0x7fffffff, v8
	s_mov_b32 s3, exec_lo
	s_delay_alu instid0(VALU_DEP_1)
	v_cmpx_gt_u64_e32 0x43e00001, v[22:23]
	s_xor_b32 s54, exec_lo, s3
	s_cbranch_execz .LBB11_665
; %bb.652:                              ;   in Loop: Header=BB11_542 Depth=2
	s_mov_b32 s55, exec_lo
	v_mov_b32_e32 v21, 0
	v_mov_b32_e32 v22, 0
	v_cmpx_ne_u32_e32 0, v8
	s_cbranch_execz .LBB11_664
; %bb.653:                              ;   in Loop: Header=BB11_542 Depth=2
	v_bfe_u32 v8, v8, 23, 8
	v_or_b32_e32 v23, 0x800000, v5
	s_delay_alu instid0(VALU_DEP_2) | instskip(SKIP_1) | instid1(VALU_DEP_2)
	v_sub_nc_u32_e32 v21, 0x79, v8
	v_cmp_gt_u32_e32 vcc_lo, 0x7a, v8
	v_cndmask_b32_e32 v21, 0, v21, vcc_lo
	v_cmp_eq_u32_e32 vcc_lo, 0, v8
	s_delay_alu instid0(VALU_DEP_2) | instskip(SKIP_1) | instid1(VALU_DEP_2)
	v_cndmask_b32_e64 v26, v21, 0x78, vcc_lo
	v_cndmask_b32_e32 v5, v23, v5, vcc_lo
	v_add_nc_u32_e32 v21, 20, v26
	v_add_nc_u32_e32 v23, 19, v26
	s_delay_alu instid0(VALU_DEP_2) | instskip(NEXT) | instid1(VALU_DEP_2)
	v_lshlrev_b64 v[21:22], v21, -1
	v_lshlrev_b64 v[23:24], v23, 1
	s_delay_alu instid0(VALU_DEP_2) | instskip(NEXT) | instid1(VALU_DEP_3)
	v_not_b32_e32 v22, v22
	v_not_b32_e32 v21, v21
	s_delay_alu instid0(VALU_DEP_2) | instskip(NEXT) | instid1(VALU_DEP_2)
	v_and_b32_e32 v28, 0, v22
	v_and_b32_e32 v27, v5, v21
	v_lshrrev_b64 v[21:22], v26, v[5:6]
	s_delay_alu instid0(VALU_DEP_2) | instskip(NEXT) | instid1(VALU_DEP_2)
	v_cmp_eq_u64_e64 s3, v[27:28], v[23:24]
	v_dual_mov_b32 v24, v22 :: v_dual_mov_b32 v23, v21
	s_delay_alu instid0(VALU_DEP_2)
	s_and_saveexec_b32 s56, s3
; %bb.654:                              ;   in Loop: Header=BB11_542 Depth=2
	v_bfe_u32 v5, v21, 20, 1
	s_delay_alu instid0(VALU_DEP_1) | instskip(NEXT) | instid1(VALU_DEP_1)
	v_add_co_u32 v5, s3, v21, v5
	v_add_co_u32 v23, s3, v5, -1
; %bb.655:                              ;   in Loop: Header=BB11_542 Depth=2
	s_or_b32 exec_lo, exec_lo, s56
	v_add_nc_u32_e32 v5, 0xffffff81, v8
	v_lshrrev_b32_e32 v8, 23, v21
	s_mov_b32 s3, exec_lo
	s_delay_alu instid0(VALU_DEP_2) | instskip(NEXT) | instid1(VALU_DEP_1)
	v_cndmask_b32_e64 v5, v5, 0xffffff82, vcc_lo
	v_add3_u32 v8, v26, v5, v8
	v_and_b32_e32 v5, 0xfffff, v23
	s_delay_alu instid0(VALU_DEP_2) | instskip(NEXT) | instid1(VALU_DEP_2)
	v_add_nc_u32_e32 v23, 6, v8
	v_add_co_u32 v21, vcc_lo, v5, v21
	v_add_co_ci_u32_e32 v22, vcc_lo, 0, v22, vcc_lo
                                        ; implicit-def: $vgpr5
	s_delay_alu instid0(VALU_DEP_3)
	v_cmpx_ne_u32_e32 0, v23
	s_xor_b32 s3, exec_lo, s3
; %bb.656:                              ;   in Loop: Header=BB11_542 Depth=2
	s_delay_alu instid0(VALU_DEP_2) | instskip(SKIP_2) | instid1(VALU_DEP_2)
	v_cmp_lt_u64_e32 vcc_lo, 0xffffff, v[21:22]
	v_add_nc_u32_e32 v5, 7, v8
	v_cndmask_b32_e64 v8, 0, 1, vcc_lo
	v_cndmask_b32_e32 v5, v23, v5, vcc_lo
	s_delay_alu instid0(VALU_DEP_2)
	v_lshrrev_b64 v[21:22], v8, v[21:22]
; %bb.657:                              ;   in Loop: Header=BB11_542 Depth=2
	s_and_not1_saveexec_b32 s3, s3
; %bb.658:                              ;   in Loop: Header=BB11_542 Depth=2
	s_delay_alu instid0(VALU_DEP_1)
	v_bfe_u32 v5, v21, 23, 1
; %bb.659:                              ;   in Loop: Header=BB11_542 Depth=2
	s_or_b32 exec_lo, exec_lo, s3
	s_delay_alu instid0(VALU_DEP_2) | instskip(NEXT) | instid1(VALU_DEP_2)
	v_lshrrev_b64 v[21:22], 20, v[21:22]
	v_cmp_gt_i32_e32 vcc_lo, 16, v5
	v_cmp_ne_u32_e64 s3, 0, v5
	s_delay_alu instid0(VALU_DEP_3) | instskip(NEXT) | instid1(VALU_DEP_1)
	v_dual_cndmask_b32 v24, 0, v22 :: v_dual_cndmask_b32 v23, 7, v21
                                        ; implicit-def: $vgpr21_vgpr22
	v_cmp_ne_u64_e32 vcc_lo, 0, v[23:24]
	s_delay_alu instid0(VALU_DEP_3) | instskip(NEXT) | instid1(SALU_CYCLE_1)
	s_or_b32 s3, s3, vcc_lo
	s_and_saveexec_b32 s56, s3
	s_delay_alu instid0(SALU_CYCLE_1)
	s_xor_b32 s3, exec_lo, s56
; %bb.660:                              ;   in Loop: Header=BB11_542 Depth=2
	v_min_i32_e32 v5, 15, v5
	s_delay_alu instid0(VALU_DEP_1) | instskip(NEXT) | instid1(VALU_DEP_1)
	v_lshl_or_b32 v3, v5, 3, v3
	v_and_or_b32 v21, v23, 7, v3
                                        ; implicit-def: $vgpr3
; %bb.661:                              ;   in Loop: Header=BB11_542 Depth=2
	s_and_not1_saveexec_b32 s3, s3
; %bb.662:                              ;   in Loop: Header=BB11_542 Depth=2
	v_dual_mov_b32 v22, v4 :: v_dual_mov_b32 v21, v3
; %bb.663:                              ;   in Loop: Header=BB11_542 Depth=2
	s_or_b32 exec_lo, exec_lo, s3
.LBB11_664:                             ;   in Loop: Header=BB11_542 Depth=2
	s_delay_alu instid0(SALU_CYCLE_1)
	s_or_b32 exec_lo, exec_lo, s55
.LBB11_665:                             ;   in Loop: Header=BB11_542 Depth=2
	s_and_not1_saveexec_b32 s3, s54
	s_delay_alu instid0(SALU_CYCLE_1)
	s_or_b32 exec_lo, exec_lo, s3
                                        ; implicit-def: $vgpr22
.LBB11_666:                             ;   in Loop: Header=BB11_542 Depth=2
	s_and_not1_saveexec_b32 s3, s53
; %bb.667:                              ;   in Loop: Header=BB11_542 Depth=2
	v_cmp_eq_u64_e32 vcc_lo, 0, v[5:6]
	v_or_b32_e32 v3, 0x7f, v22
	s_delay_alu instid0(VALU_DEP_1)
	v_cndmask_b32_e32 v21, v3, v21, vcc_lo
; %bb.668:                              ;   in Loop: Header=BB11_542 Depth=2
	s_or_b32 exec_lo, exec_lo, s3
	v_lshrrev_b32_e32 v3, 16, v4
	s_delay_alu instid0(VALU_DEP_1) | instskip(NEXT) | instid1(VALU_DEP_1)
	v_cvt_f32_f16_e32 v3, v3
	v_div_scale_f32 v4, null, v46, v46, v3
	s_delay_alu instid0(VALU_DEP_1) | instskip(SKIP_2) | instid1(VALU_DEP_1)
	v_rcp_f32_e32 v5, v4
	s_waitcnt_depctr 0xfff
	v_fma_f32 v8, -v4, v5, 1.0
	v_fmac_f32_e32 v5, v8, v5
	v_div_scale_f32 v8, vcc_lo, v3, v46, v3
	s_delay_alu instid0(VALU_DEP_1) | instskip(NEXT) | instid1(VALU_DEP_1)
	v_mul_f32_e32 v22, v8, v5
	v_fma_f32 v23, -v4, v22, v8
	s_delay_alu instid0(VALU_DEP_1) | instskip(NEXT) | instid1(VALU_DEP_1)
	v_dual_fmac_f32 v22, v23, v5 :: v_dual_mov_b32 v23, v6
	v_fma_f32 v4, -v4, v22, v8
	s_delay_alu instid0(VALU_DEP_1) | instskip(NEXT) | instid1(VALU_DEP_1)
	v_div_fmas_f32 v4, v4, v5, v22
	v_div_fixup_f32 v3, v4, v46, v3
	s_delay_alu instid0(VALU_DEP_1) | instskip(NEXT) | instid1(VALU_DEP_1)
	v_cvt_f16_f32_e32 v3, v3
	v_cvt_f32_f16_e32 v4, v3
	s_delay_alu instid0(VALU_DEP_1) | instskip(SKIP_2) | instid1(VALU_DEP_3)
	v_lshrrev_b32_e32 v8, 24, v4
	v_and_b32_e32 v22, 0x7f800000, v4
	v_and_b32_e32 v5, 0x7fffff, v4
	;; [unrolled: 1-line block ×3, first 2 shown]
	s_delay_alu instid0(VALU_DEP_3) | instskip(NEXT) | instid1(VALU_DEP_2)
	v_cmp_ne_u64_e32 vcc_lo, 0x7f800000, v[22:23]
	v_or_b32_e32 v22, 0x7e, v3
	s_and_saveexec_b32 s3, vcc_lo
	s_delay_alu instid0(SALU_CYCLE_1)
	s_xor_b32 s53, exec_lo, s3
	s_cbranch_execz .LBB11_684
; %bb.669:                              ;   in Loop: Header=BB11_542 Depth=2
	v_dual_mov_b32 v24, v6 :: v_dual_and_b32 v23, 0x7fffffff, v4
	s_mov_b32 s3, exec_lo
	s_delay_alu instid0(VALU_DEP_1)
	v_cmpx_gt_u64_e32 0x43e00001, v[23:24]
	s_xor_b32 s54, exec_lo, s3
	s_cbranch_execz .LBB11_683
; %bb.670:                              ;   in Loop: Header=BB11_542 Depth=2
	s_mov_b32 s55, exec_lo
	v_mov_b32_e32 v22, 0
	v_mov_b32_e32 v23, 0
	v_cmpx_ne_u32_e32 0, v4
	s_cbranch_execz .LBB11_682
; %bb.671:                              ;   in Loop: Header=BB11_542 Depth=2
	v_bfe_u32 v8, v4, 23, 8
	v_or_b32_e32 v26, 0x800000, v5
	s_delay_alu instid0(VALU_DEP_2) | instskip(SKIP_1) | instid1(VALU_DEP_2)
	v_sub_nc_u32_e32 v4, 0x79, v8
	v_cmp_gt_u32_e32 vcc_lo, 0x7a, v8
	v_cndmask_b32_e32 v4, 0, v4, vcc_lo
	v_cmp_eq_u32_e32 vcc_lo, 0, v8
	v_cndmask_b32_e32 v5, v26, v5, vcc_lo
	s_delay_alu instid0(VALU_DEP_3) | instskip(NEXT) | instid1(VALU_DEP_1)
	v_cndmask_b32_e64 v24, v4, 0x78, vcc_lo
	v_add_nc_u32_e32 v4, 20, v24
	s_delay_alu instid0(VALU_DEP_1) | instskip(SKIP_1) | instid1(VALU_DEP_2)
	v_lshlrev_b64 v[22:23], v4, -1
	v_add_nc_u32_e32 v4, 19, v24
	v_not_b32_e32 v26, v23
	s_delay_alu instid0(VALU_DEP_3) | instskip(NEXT) | instid1(VALU_DEP_3)
	v_not_b32_e32 v28, v22
	v_lshlrev_b64 v[22:23], v4, 1
	s_delay_alu instid0(VALU_DEP_3) | instskip(NEXT) | instid1(VALU_DEP_3)
	v_and_b32_e32 v27, 0, v26
	v_and_b32_e32 v26, v5, v28
	v_lshrrev_b64 v[4:5], v24, v[5:6]
	s_delay_alu instid0(VALU_DEP_2) | instskip(NEXT) | instid1(VALU_DEP_2)
	v_cmp_eq_u64_e64 s3, v[26:27], v[22:23]
	v_dual_mov_b32 v23, v5 :: v_dual_mov_b32 v22, v4
	s_delay_alu instid0(VALU_DEP_2)
	s_and_saveexec_b32 s56, s3
; %bb.672:                              ;   in Loop: Header=BB11_542 Depth=2
	v_bfe_u32 v22, v4, 20, 1
	s_delay_alu instid0(VALU_DEP_1) | instskip(NEXT) | instid1(VALU_DEP_1)
	v_add_co_u32 v22, s3, v4, v22
	v_add_co_u32 v22, s3, v22, -1
; %bb.673:                              ;   in Loop: Header=BB11_542 Depth=2
	s_or_b32 exec_lo, exec_lo, s56
	v_add_nc_u32_e32 v8, 0xffffff81, v8
	v_lshrrev_b32_e32 v23, 23, v4
	s_mov_b32 s3, exec_lo
	s_delay_alu instid0(VALU_DEP_2) | instskip(NEXT) | instid1(VALU_DEP_1)
	v_cndmask_b32_e64 v8, v8, 0xffffff82, vcc_lo
	v_add3_u32 v23, v24, v8, v23
	v_and_b32_e32 v8, 0xfffff, v22
	s_delay_alu instid0(VALU_DEP_2) | instskip(NEXT) | instid1(VALU_DEP_2)
	v_add_nc_u32_e32 v22, 6, v23
	v_add_co_u32 v4, vcc_lo, v8, v4
	v_add_co_ci_u32_e32 v5, vcc_lo, 0, v5, vcc_lo
                                        ; implicit-def: $vgpr8
	s_delay_alu instid0(VALU_DEP_3)
	v_cmpx_ne_u32_e32 0, v22
	s_xor_b32 s3, exec_lo, s3
; %bb.674:                              ;   in Loop: Header=BB11_542 Depth=2
	s_delay_alu instid0(VALU_DEP_2) | instskip(SKIP_1) | instid1(VALU_DEP_1)
	v_cmp_lt_u64_e32 vcc_lo, 0xffffff, v[4:5]
	v_add_nc_u32_e32 v8, 7, v23
	v_cndmask_b32_e32 v8, v22, v8, vcc_lo
	v_cndmask_b32_e64 v22, 0, 1, vcc_lo
	s_delay_alu instid0(VALU_DEP_1)
	v_lshrrev_b64 v[4:5], v22, v[4:5]
; %bb.675:                              ;   in Loop: Header=BB11_542 Depth=2
	s_and_not1_saveexec_b32 s3, s3
; %bb.676:                              ;   in Loop: Header=BB11_542 Depth=2
	s_delay_alu instid0(VALU_DEP_1)
	v_bfe_u32 v8, v4, 23, 1
; %bb.677:                              ;   in Loop: Header=BB11_542 Depth=2
	s_or_b32 exec_lo, exec_lo, s3
	s_delay_alu instid0(VALU_DEP_2) | instskip(NEXT) | instid1(VALU_DEP_2)
	v_lshrrev_b64 v[4:5], 20, v[4:5]
	v_cmp_gt_i32_e32 vcc_lo, 16, v8
	v_cmp_ne_u32_e64 s3, 0, v8
                                        ; implicit-def: $vgpr22_vgpr23
	s_delay_alu instid0(VALU_DEP_3) | instskip(NEXT) | instid1(VALU_DEP_1)
	v_dual_cndmask_b32 v5, 0, v5 :: v_dual_cndmask_b32 v4, 7, v4
	v_cmp_ne_u64_e32 vcc_lo, 0, v[4:5]
	s_delay_alu instid0(VALU_DEP_3) | instskip(NEXT) | instid1(SALU_CYCLE_1)
	s_or_b32 s3, s3, vcc_lo
	s_and_saveexec_b32 s56, s3
	s_delay_alu instid0(SALU_CYCLE_1)
	s_xor_b32 s3, exec_lo, s56
; %bb.678:                              ;   in Loop: Header=BB11_542 Depth=2
	v_min_i32_e32 v5, 15, v8
	s_delay_alu instid0(VALU_DEP_1) | instskip(NEXT) | instid1(VALU_DEP_1)
	v_lshl_or_b32 v3, v5, 3, v3
	v_and_or_b32 v22, v4, 7, v3
                                        ; implicit-def: $vgpr3
; %bb.679:                              ;   in Loop: Header=BB11_542 Depth=2
	s_and_not1_saveexec_b32 s3, s3
; %bb.680:                              ;   in Loop: Header=BB11_542 Depth=2
	v_dual_mov_b32 v23, v4 :: v_dual_mov_b32 v22, v3
; %bb.681:                              ;   in Loop: Header=BB11_542 Depth=2
	s_or_b32 exec_lo, exec_lo, s3
.LBB11_682:                             ;   in Loop: Header=BB11_542 Depth=2
	s_delay_alu instid0(SALU_CYCLE_1)
	s_or_b32 exec_lo, exec_lo, s55
.LBB11_683:                             ;   in Loop: Header=BB11_542 Depth=2
	s_and_not1_saveexec_b32 s3, s54
	s_delay_alu instid0(SALU_CYCLE_1)
	s_or_b32 exec_lo, exec_lo, s3
                                        ; implicit-def: $vgpr8
.LBB11_684:                             ;   in Loop: Header=BB11_542 Depth=2
	s_and_not1_saveexec_b32 s3, s53
	s_cbranch_execz .LBB11_541
; %bb.685:                              ;   in Loop: Header=BB11_542 Depth=2
	v_cmp_eq_u64_e32 vcc_lo, 0, v[5:6]
	v_or_b32_e32 v3, 0x7f, v8
	s_delay_alu instid0(VALU_DEP_1)
	v_cndmask_b32_e32 v22, v3, v22, vcc_lo
	s_branch .LBB11_541
.LBB11_686:
	s_or_b32 exec_lo, exec_lo, s7
	s_mov_b32 s2, 0
.LBB11_687:
	s_delay_alu instid0(SALU_CYCLE_1)
	s_and_not1_b32 vcc_lo, exec_lo, s2
	s_cbranch_vccnz .LBB11_1378
; %bb.688:
	s_load_b32 s2, s[0:1], 0x84
	s_load_b32 s39, s[24:25], 0x0
	;; [unrolled: 1-line block ×3, first 2 shown]
	s_and_b32 s0, s5, 15
	s_mov_b32 s1, 0
	s_mul_i32 s13, s13, s12
	s_waitcnt lgkmcnt(0)
	s_and_b32 s27, s2, 0xffff
	s_cmp_lg_u64 s[0:1], 0
	s_cselect_b32 s0, -1, 0
	s_and_b32 s1, s13, 7
	s_delay_alu instid0(SALU_CYCLE_1) | instskip(SKIP_3) | instid1(SALU_CYCLE_1)
	s_cmp_eq_u32 s1, 0
	s_cselect_b32 s40, -1, 0
	s_cmp_lg_u32 s1, 0
	s_cselect_b32 s1, -1, 0
	s_or_b32 s0, s0, s1
	s_delay_alu instid0(SALU_CYCLE_1)
	s_and_b32 vcc_lo, exec_lo, s0
	s_mov_b32 s0, -1
	s_cbranch_vccz .LBB11_885
; %bb.689:
	s_sub_i32 s0, 0, s5
	s_mov_b32 s1, exec_lo
	s_bfe_u32 s0, s0, 0x30001
	s_delay_alu instid0(SALU_CYCLE_1) | instskip(NEXT) | instid1(SALU_CYCLE_1)
	s_min_i32 s24, s0, s13
	v_cmpx_gt_i32_e64 s24, v0
	s_cbranch_execz .LBB11_711
; %bb.690:
	v_dual_mov_b32 v2, 0 :: v_dual_lshlrev_b32 v3, 1, v0
	s_add_u32 s0, s16, s28
	s_addc_u32 s2, s17, s29
	s_lshl_b32 s3, s27, 1
	s_delay_alu instid0(VALU_DEP_1) | instskip(SKIP_1) | instid1(VALU_DEP_1)
	v_mov_b32_e32 v1, v2
	v_add_co_u32 v3, s0, s0, v3
	v_add_co_ci_u32_e64 v4, null, s2, 0, s0
	s_delay_alu instid0(VALU_DEP_3)
	v_dual_mov_b32 v6, v1 :: v_dual_mov_b32 v5, v0
	s_mov_b32 s2, 0
	s_branch .LBB11_692
.LBB11_691:                             ;   in Loop: Header=BB11_692 Depth=1
	s_or_b32 exec_lo, exec_lo, s0
	v_add_co_u32 v9, vcc_lo, s4, v5
	v_add_co_ci_u32_e32 v10, vcc_lo, s6, v6, vcc_lo
	v_add_co_u32 v5, vcc_lo, v5, s27
	v_add_co_ci_u32_e32 v6, vcc_lo, 0, v6, vcc_lo
	v_add_co_u32 v3, s0, v3, s3
	s_delay_alu instid0(VALU_DEP_3) | instskip(SKIP_3) | instid1(SALU_CYCLE_1)
	v_cmp_le_i32_e32 vcc_lo, s24, v5
	v_add_co_ci_u32_e64 v4, s0, 0, v4, s0
	global_store_b8 v[9:10], v8, off
	s_or_b32 s2, vcc_lo, s2
	s_and_not1_b32 exec_lo, exec_lo, s2
	s_cbranch_execz .LBB11_711
.LBB11_692:                             ; =>This Inner Loop Header: Depth=1
	global_load_u16 v1, v[3:4], off
	s_mov_b32 s0, exec_lo
	v_mov_b32_e32 v13, v2
	s_waitcnt vmcnt(0)
	v_cvt_f32_f16_e32 v1, v1
	s_delay_alu instid0(VALU_DEP_1) | instskip(NEXT) | instid1(VALU_DEP_1)
	v_div_scale_f32 v7, null, s39, s39, v1
	v_rcp_f32_e32 v8, v7
	s_waitcnt_depctr 0xfff
	v_fma_f32 v9, -v7, v8, 1.0
	s_delay_alu instid0(VALU_DEP_1) | instskip(SKIP_1) | instid1(VALU_DEP_1)
	v_fmac_f32_e32 v8, v9, v8
	v_div_scale_f32 v9, vcc_lo, v1, s39, v1
	v_mul_f32_e32 v10, v9, v8
	s_delay_alu instid0(VALU_DEP_1) | instskip(NEXT) | instid1(VALU_DEP_1)
	v_fma_f32 v11, -v7, v10, v9
	v_fmac_f32_e32 v10, v11, v8
	s_delay_alu instid0(VALU_DEP_1) | instskip(NEXT) | instid1(VALU_DEP_1)
	v_fma_f32 v7, -v7, v10, v9
	v_div_fmas_f32 v7, v7, v8, v10
	s_delay_alu instid0(VALU_DEP_1) | instskip(NEXT) | instid1(VALU_DEP_1)
	v_div_fixup_f32 v1, v7, s39, v1
	v_cvt_f16_f32_e32 v1, v1
	s_delay_alu instid0(VALU_DEP_1) | instskip(NEXT) | instid1(VALU_DEP_1)
	v_cvt_f32_f16_e32 v7, v1
	v_and_b32_e32 v1, 0x7fffff, v7
	v_lshrrev_b32_e32 v9, 24, v7
	v_and_b32_e32 v12, 0x7f800000, v7
	s_delay_alu instid0(VALU_DEP_2) | instskip(NEXT) | instid1(VALU_DEP_1)
	v_and_b32_e32 v11, 0x80, v9
	v_or_b32_e32 v8, 0x7e, v11
	s_delay_alu instid0(VALU_DEP_3)
	v_cmpx_ne_u64_e32 0x7f800000, v[12:13]
	s_xor_b32 s7, exec_lo, s0
	s_cbranch_execz .LBB11_708
; %bb.693:                              ;   in Loop: Header=BB11_692 Depth=1
	v_dual_mov_b32 v10, v2 :: v_dual_and_b32 v9, 0x7fffffff, v7
	s_mov_b32 s0, exec_lo
	s_delay_alu instid0(VALU_DEP_1)
	v_cmpx_gt_u64_e32 0x43e00001, v[9:10]
	s_xor_b32 s8, exec_lo, s0
	s_cbranch_execz .LBB11_707
; %bb.694:                              ;   in Loop: Header=BB11_692 Depth=1
	v_mov_b32_e32 v8, 0
	s_mov_b32 s9, exec_lo
	v_cmpx_ne_u32_e32 0, v7
	s_cbranch_execz .LBB11_706
; %bb.695:                              ;   in Loop: Header=BB11_692 Depth=1
	v_bfe_u32 v12, v7, 23, 8
	v_or_b32_e32 v9, 0x800000, v1
	s_delay_alu instid0(VALU_DEP_2) | instskip(SKIP_1) | instid1(VALU_DEP_2)
	v_sub_nc_u32_e32 v7, 0x79, v12
	v_cmp_gt_u32_e32 vcc_lo, 0x7a, v12
	v_cndmask_b32_e32 v7, 0, v7, vcc_lo
	v_cmp_eq_u32_e32 vcc_lo, 0, v12
	s_delay_alu instid0(VALU_DEP_2) | instskip(SKIP_1) | instid1(VALU_DEP_2)
	v_cndmask_b32_e64 v13, v7, 0x78, vcc_lo
	v_cndmask_b32_e32 v1, v9, v1, vcc_lo
	v_add_nc_u32_e32 v7, 20, v13
	v_add_nc_u32_e32 v9, 19, v13
	s_delay_alu instid0(VALU_DEP_2) | instskip(NEXT) | instid1(VALU_DEP_2)
	v_lshlrev_b64 v[7:8], v7, -1
	v_lshlrev_b64 v[9:10], v9, 1
	s_delay_alu instid0(VALU_DEP_2) | instskip(NEXT) | instid1(VALU_DEP_3)
	v_not_b32_e32 v8, v8
	v_not_b32_e32 v7, v7
	s_delay_alu instid0(VALU_DEP_2) | instskip(NEXT) | instid1(VALU_DEP_2)
	v_and_b32_e32 v15, 0, v8
	v_and_b32_e32 v14, v1, v7
	v_lshrrev_b64 v[7:8], v13, v[1:2]
	s_delay_alu instid0(VALU_DEP_2) | instskip(NEXT) | instid1(VALU_DEP_2)
	v_cmp_eq_u64_e64 s0, v[14:15], v[9:10]
	v_dual_mov_b32 v10, v8 :: v_dual_mov_b32 v9, v7
	s_delay_alu instid0(VALU_DEP_2)
	s_and_saveexec_b32 s11, s0
; %bb.696:                              ;   in Loop: Header=BB11_692 Depth=1
	v_bfe_u32 v1, v7, 20, 1
	s_delay_alu instid0(VALU_DEP_1) | instskip(NEXT) | instid1(VALU_DEP_1)
	v_add_co_u32 v1, s0, v7, v1
	v_add_co_u32 v9, s0, v1, -1
; %bb.697:                              ;   in Loop: Header=BB11_692 Depth=1
	s_or_b32 exec_lo, exec_lo, s11
	v_add_nc_u32_e32 v1, 0xffffff81, v12
	v_lshrrev_b32_e32 v10, 23, v7
	s_mov_b32 s0, exec_lo
	s_delay_alu instid0(VALU_DEP_2) | instskip(NEXT) | instid1(VALU_DEP_1)
	v_cndmask_b32_e64 v1, v1, 0xffffff82, vcc_lo
	v_add3_u32 v10, v13, v1, v10
	v_and_b32_e32 v1, 0xfffff, v9
	s_delay_alu instid0(VALU_DEP_2) | instskip(NEXT) | instid1(VALU_DEP_2)
	v_add_nc_u32_e32 v9, 6, v10
	v_add_co_u32 v7, vcc_lo, v1, v7
	v_add_co_ci_u32_e32 v8, vcc_lo, 0, v8, vcc_lo
                                        ; implicit-def: $vgpr1
	s_delay_alu instid0(VALU_DEP_3)
	v_cmpx_ne_u32_e32 0, v9
	s_xor_b32 s0, exec_lo, s0
; %bb.698:                              ;   in Loop: Header=BB11_692 Depth=1
	s_delay_alu instid0(VALU_DEP_2) | instskip(SKIP_1) | instid1(VALU_DEP_1)
	v_cmp_lt_u64_e32 vcc_lo, 0xffffff, v[7:8]
	v_add_nc_u32_e32 v1, 7, v10
	v_cndmask_b32_e32 v1, v9, v1, vcc_lo
	v_cndmask_b32_e64 v9, 0, 1, vcc_lo
	s_delay_alu instid0(VALU_DEP_1)
	v_lshrrev_b64 v[7:8], v9, v[7:8]
; %bb.699:                              ;   in Loop: Header=BB11_692 Depth=1
	s_and_not1_saveexec_b32 s0, s0
; %bb.700:                              ;   in Loop: Header=BB11_692 Depth=1
	s_delay_alu instid0(VALU_DEP_1)
	v_bfe_u32 v1, v7, 23, 1
; %bb.701:                              ;   in Loop: Header=BB11_692 Depth=1
	s_or_b32 exec_lo, exec_lo, s0
	s_delay_alu instid0(VALU_DEP_2) | instskip(NEXT) | instid1(VALU_DEP_2)
	v_lshrrev_b64 v[7:8], 20, v[7:8]
	v_cmp_gt_i32_e32 vcc_lo, 16, v1
	v_cmp_ne_u32_e64 s0, 0, v1
	s_delay_alu instid0(VALU_DEP_3) | instskip(NEXT) | instid1(VALU_DEP_1)
	v_dual_cndmask_b32 v8, 0, v8 :: v_dual_cndmask_b32 v7, 7, v7
	v_cmp_ne_u64_e32 vcc_lo, 0, v[7:8]
                                        ; implicit-def: $vgpr8
	s_delay_alu instid0(VALU_DEP_3) | instskip(NEXT) | instid1(SALU_CYCLE_1)
	s_or_b32 s0, s0, vcc_lo
	s_and_saveexec_b32 s11, s0
	s_delay_alu instid0(SALU_CYCLE_1)
	s_xor_b32 s0, exec_lo, s11
; %bb.702:                              ;   in Loop: Header=BB11_692 Depth=1
	v_min_i32_e32 v1, 15, v1
	s_delay_alu instid0(VALU_DEP_1) | instskip(NEXT) | instid1(VALU_DEP_1)
	v_lshl_or_b32 v1, v1, 3, v11
                                        ; implicit-def: $vgpr11
	v_and_or_b32 v8, v7, 7, v1
; %bb.703:                              ;   in Loop: Header=BB11_692 Depth=1
	s_and_not1_saveexec_b32 s0, s0
; %bb.704:                              ;   in Loop: Header=BB11_692 Depth=1
	v_mov_b32_e32 v8, v11
; %bb.705:                              ;   in Loop: Header=BB11_692 Depth=1
	s_or_b32 exec_lo, exec_lo, s0
.LBB11_706:                             ;   in Loop: Header=BB11_692 Depth=1
	s_delay_alu instid0(SALU_CYCLE_1)
	s_or_b32 exec_lo, exec_lo, s9
.LBB11_707:                             ;   in Loop: Header=BB11_692 Depth=1
	s_and_not1_saveexec_b32 s0, s8
	s_delay_alu instid0(SALU_CYCLE_1)
	s_or_b32 exec_lo, exec_lo, s0
                                        ; implicit-def: $vgpr9
.LBB11_708:                             ;   in Loop: Header=BB11_692 Depth=1
	s_and_not1_saveexec_b32 s0, s7
	s_cbranch_execz .LBB11_691
; %bb.709:                              ;   in Loop: Header=BB11_692 Depth=1
	v_cmp_eq_u64_e32 vcc_lo, 0, v[1:2]
	v_or_b32_e32 v7, 0x7f, v9
	s_delay_alu instid0(VALU_DEP_1)
	v_cndmask_b32_e32 v8, v7, v8, vcc_lo
	s_branch .LBB11_691
.LBB11_710:
                                        ; implicit-def: $sgpr30_sgpr31
	s_branch .LBB11_3
.LBB11_711:
	s_or_b32 exec_lo, exec_lo, s1
	s_sub_i32 s41, s13, s24
	s_ashr_i32 s25, s24, 31
	s_ashr_i32 s0, s41, 31
	s_mov_b32 s2, exec_lo
	s_lshr_b32 s0, s0, 29
	s_delay_alu instid0(SALU_CYCLE_1) | instskip(NEXT) | instid1(SALU_CYCLE_1)
	s_add_i32 s0, s41, s0
	s_ashr_i32 s1, s0, 3
	s_delay_alu instid0(SALU_CYCLE_1)
	v_cmpx_gt_i32_e64 s1, v0
	s_cbranch_execz .LBB11_858
; %bb.712:
	s_add_u32 s0, s24, s30
	s_addc_u32 s3, s25, s31
	v_dual_mov_b32 v10, 0 :: v_dual_lshlrev_b32 v1, 3, v0
	s_add_u32 s0, s0, s34
	s_addc_u32 s3, s3, s33
	s_add_u32 s0, s20, s0
	s_addc_u32 s3, s21, s3
	v_add_co_u32 v5, s0, s0, v1
	s_lshl_b64 s[8:9], s[24:25], 1
	v_add_co_ci_u32_e64 v6, null, s3, 0, s0
	s_lshl_b32 s3, s27, 3
	v_dual_mov_b32 v20, v0 :: v_dual_lshlrev_b32 v1, 4, v0
	s_add_u32 s0, s16, s8
	s_addc_u32 s7, s17, s9
	s_add_u32 s0, s0, s28
	s_addc_u32 s7, s7, s29
	v_add_co_u32 v7, s0, s0, v1
	s_delay_alu instid0(VALU_DEP_1)
	v_add_co_ci_u32_e64 v8, null, s7, 0, s0
	s_mov_b32 s7, 0
	s_lshl_b32 s8, s27, 4
	s_branch .LBB11_714
.LBB11_713:                             ;   in Loop: Header=BB11_714 Depth=1
	s_or_b32 exec_lo, exec_lo, s0
	v_lshlrev_b32_e32 v3, 16, v15
	v_lshlrev_b32_e32 v4, 16, v13
	;; [unrolled: 1-line block ×5, first 2 shown]
	v_and_b32_e32 v3, 0xff0000, v3
	v_perm_b32 v1, v1, v4, 0x4020c0c
	v_and_b32_e32 v4, 0xff, v14
	v_and_b32_e32 v11, 0xff, v11
	;; [unrolled: 1-line block ×3, first 2 shown]
	v_or_b32_e32 v3, v9, v3
	v_and_or_b32 v1, 0xff00, v12, v1
	v_add_nc_u32_e32 v20, s27, v20
	s_delay_alu instid0(VALU_DEP_3) | instskip(NEXT) | instid1(VALU_DEP_3)
	v_or3_b32 v2, v3, v2, v4
	v_or_b32_e32 v1, v1, v11
	s_delay_alu instid0(VALU_DEP_3) | instskip(SKIP_2) | instid1(VALU_DEP_1)
	v_cmp_le_i32_e32 vcc_lo, s1, v20
	global_store_b64 v[5:6], v[1:2], off
	v_add_co_u32 v5, s0, v5, s3
	v_add_co_ci_u32_e64 v6, s0, 0, v6, s0
	v_add_co_u32 v7, s0, v7, s8
	s_delay_alu instid0(VALU_DEP_1) | instskip(SKIP_1) | instid1(SALU_CYCLE_1)
	v_add_co_ci_u32_e64 v8, s0, 0, v8, s0
	s_or_b32 s7, vcc_lo, s7
	s_and_not1_b32 exec_lo, exec_lo, s7
	s_cbranch_execz .LBB11_858
.LBB11_714:                             ; =>This Inner Loop Header: Depth=1
	global_load_b128 v[1:4], v[7:8], off
	s_mov_b32 s0, exec_lo
	s_waitcnt vmcnt(0)
	v_cvt_f32_f16_e32 v9, v1
	s_delay_alu instid0(VALU_DEP_1) | instskip(NEXT) | instid1(VALU_DEP_1)
	v_div_scale_f32 v11, null, s39, s39, v9
	v_rcp_f32_e32 v12, v11
	s_waitcnt_depctr 0xfff
	v_fma_f32 v13, -v11, v12, 1.0
	s_delay_alu instid0(VALU_DEP_1) | instskip(SKIP_1) | instid1(VALU_DEP_1)
	v_fmac_f32_e32 v12, v13, v12
	v_div_scale_f32 v13, vcc_lo, v9, s39, v9
	v_mul_f32_e32 v14, v13, v12
	s_delay_alu instid0(VALU_DEP_1) | instskip(NEXT) | instid1(VALU_DEP_1)
	v_fma_f32 v15, -v11, v14, v13
	v_fmac_f32_e32 v14, v15, v12
	s_delay_alu instid0(VALU_DEP_1) | instskip(NEXT) | instid1(VALU_DEP_1)
	v_fma_f32 v11, -v11, v14, v13
	v_div_fmas_f32 v11, v11, v12, v14
	s_delay_alu instid0(VALU_DEP_1) | instskip(NEXT) | instid1(VALU_DEP_1)
	v_div_fixup_f32 v9, v11, s39, v9
	v_cvt_f16_f32_e32 v9, v9
	s_delay_alu instid0(VALU_DEP_1) | instskip(NEXT) | instid1(VALU_DEP_1)
	v_cvt_f32_f16_e32 v14, v9
	v_and_b32_e32 v15, 0x7f800000, v14
	v_lshrrev_b32_e32 v12, 24, v14
	v_dual_mov_b32 v16, v10 :: v_dual_and_b32 v9, 0x7fffff, v14
	s_delay_alu instid0(VALU_DEP_2) | instskip(NEXT) | instid1(VALU_DEP_1)
	v_and_b32_e32 v13, 0x80, v12
	v_or_b32_e32 v11, 0x7e, v13
	s_delay_alu instid0(VALU_DEP_3)
	v_cmpx_ne_u64_e32 0x7f800000, v[15:16]
	s_xor_b32 s9, exec_lo, s0
	s_cbranch_execz .LBB11_730
; %bb.715:                              ;   in Loop: Header=BB11_714 Depth=1
	v_dual_mov_b32 v16, v10 :: v_dual_and_b32 v15, 0x7fffffff, v14
	s_mov_b32 s0, exec_lo
	s_delay_alu instid0(VALU_DEP_1)
	v_cmpx_gt_u64_e32 0x43e00001, v[15:16]
	s_xor_b32 s11, exec_lo, s0
	s_cbranch_execz .LBB11_729
; %bb.716:                              ;   in Loop: Header=BB11_714 Depth=1
	s_mov_b32 s12, exec_lo
	v_mov_b32_e32 v11, 0
	v_mov_b32_e32 v12, 0
	v_cmpx_ne_u32_e32 0, v14
	s_cbranch_execz .LBB11_728
; %bb.717:                              ;   in Loop: Header=BB11_714 Depth=1
	v_bfe_u32 v16, v14, 23, 8
	v_or_b32_e32 v14, 0x800000, v9
	s_delay_alu instid0(VALU_DEP_2) | instskip(SKIP_1) | instid1(VALU_DEP_2)
	v_sub_nc_u32_e32 v11, 0x79, v16
	v_cmp_gt_u32_e32 vcc_lo, 0x7a, v16
	v_cndmask_b32_e32 v11, 0, v11, vcc_lo
	v_cmp_eq_u32_e32 vcc_lo, 0, v16
	s_delay_alu instid0(VALU_DEP_2) | instskip(SKIP_1) | instid1(VALU_DEP_2)
	v_cndmask_b32_e64 v17, v11, 0x78, vcc_lo
	v_cndmask_b32_e32 v9, v14, v9, vcc_lo
	v_add_nc_u32_e32 v11, 20, v17
	v_add_nc_u32_e32 v14, 19, v17
	s_delay_alu instid0(VALU_DEP_2) | instskip(NEXT) | instid1(VALU_DEP_2)
	v_lshlrev_b64 v[11:12], v11, -1
	v_lshlrev_b64 v[14:15], v14, 1
	s_delay_alu instid0(VALU_DEP_2) | instskip(NEXT) | instid1(VALU_DEP_3)
	v_not_b32_e32 v12, v12
	v_not_b32_e32 v11, v11
	s_delay_alu instid0(VALU_DEP_2) | instskip(NEXT) | instid1(VALU_DEP_2)
	v_and_b32_e32 v19, 0, v12
	v_and_b32_e32 v18, v9, v11
	v_lshrrev_b64 v[11:12], v17, v[9:10]
	s_delay_alu instid0(VALU_DEP_2) | instskip(NEXT) | instid1(VALU_DEP_2)
	v_cmp_eq_u64_e64 s0, v[18:19], v[14:15]
	v_dual_mov_b32 v15, v12 :: v_dual_mov_b32 v14, v11
	s_delay_alu instid0(VALU_DEP_2)
	s_and_saveexec_b32 s42, s0
; %bb.718:                              ;   in Loop: Header=BB11_714 Depth=1
	v_bfe_u32 v9, v11, 20, 1
	s_delay_alu instid0(VALU_DEP_1) | instskip(NEXT) | instid1(VALU_DEP_1)
	v_add_co_u32 v9, s0, v11, v9
	v_add_co_u32 v14, s0, v9, -1
; %bb.719:                              ;   in Loop: Header=BB11_714 Depth=1
	s_or_b32 exec_lo, exec_lo, s42
	v_add_nc_u32_e32 v9, 0xffffff81, v16
	v_lshrrev_b32_e32 v15, 23, v11
	s_mov_b32 s0, exec_lo
	s_delay_alu instid0(VALU_DEP_2) | instskip(NEXT) | instid1(VALU_DEP_1)
	v_cndmask_b32_e64 v9, v9, 0xffffff82, vcc_lo
	v_add3_u32 v15, v17, v9, v15
	v_and_b32_e32 v9, 0xfffff, v14
	s_delay_alu instid0(VALU_DEP_2) | instskip(NEXT) | instid1(VALU_DEP_2)
	v_add_nc_u32_e32 v14, 6, v15
	v_add_co_u32 v11, vcc_lo, v9, v11
	v_add_co_ci_u32_e32 v12, vcc_lo, 0, v12, vcc_lo
                                        ; implicit-def: $vgpr9
	s_delay_alu instid0(VALU_DEP_3)
	v_cmpx_ne_u32_e32 0, v14
	s_xor_b32 s0, exec_lo, s0
; %bb.720:                              ;   in Loop: Header=BB11_714 Depth=1
	s_delay_alu instid0(VALU_DEP_2) | instskip(SKIP_1) | instid1(VALU_DEP_1)
	v_cmp_lt_u64_e32 vcc_lo, 0xffffff, v[11:12]
	v_add_nc_u32_e32 v9, 7, v15
	v_cndmask_b32_e32 v9, v14, v9, vcc_lo
	v_cndmask_b32_e64 v14, 0, 1, vcc_lo
	s_delay_alu instid0(VALU_DEP_1)
	v_lshrrev_b64 v[11:12], v14, v[11:12]
; %bb.721:                              ;   in Loop: Header=BB11_714 Depth=1
	s_and_not1_saveexec_b32 s0, s0
; %bb.722:                              ;   in Loop: Header=BB11_714 Depth=1
	s_delay_alu instid0(VALU_DEP_1)
	v_bfe_u32 v9, v11, 23, 1
; %bb.723:                              ;   in Loop: Header=BB11_714 Depth=1
	s_or_b32 exec_lo, exec_lo, s0
	s_delay_alu instid0(VALU_DEP_2) | instskip(NEXT) | instid1(VALU_DEP_2)
	v_lshrrev_b64 v[11:12], 20, v[11:12]
	v_cmp_gt_i32_e32 vcc_lo, 16, v9
	v_cmp_ne_u32_e64 s0, 0, v9
	s_delay_alu instid0(VALU_DEP_3) | instskip(NEXT) | instid1(VALU_DEP_1)
	v_dual_cndmask_b32 v15, 0, v12 :: v_dual_cndmask_b32 v14, 7, v11
                                        ; implicit-def: $vgpr11_vgpr12
	v_cmp_ne_u64_e32 vcc_lo, 0, v[14:15]
	s_delay_alu instid0(VALU_DEP_3) | instskip(NEXT) | instid1(SALU_CYCLE_1)
	s_or_b32 s0, s0, vcc_lo
	s_and_saveexec_b32 s42, s0
	s_delay_alu instid0(SALU_CYCLE_1)
	s_xor_b32 s0, exec_lo, s42
; %bb.724:                              ;   in Loop: Header=BB11_714 Depth=1
	v_min_i32_e32 v9, 15, v9
	s_delay_alu instid0(VALU_DEP_1) | instskip(NEXT) | instid1(VALU_DEP_1)
	v_lshl_or_b32 v9, v9, 3, v13
                                        ; implicit-def: $vgpr13
	v_and_or_b32 v11, v14, 7, v9
; %bb.725:                              ;   in Loop: Header=BB11_714 Depth=1
	s_and_not1_saveexec_b32 s0, s0
; %bb.726:                              ;   in Loop: Header=BB11_714 Depth=1
	v_dual_mov_b32 v11, v13 :: v_dual_mov_b32 v12, v14
; %bb.727:                              ;   in Loop: Header=BB11_714 Depth=1
	s_or_b32 exec_lo, exec_lo, s0
.LBB11_728:                             ;   in Loop: Header=BB11_714 Depth=1
	s_delay_alu instid0(SALU_CYCLE_1)
	s_or_b32 exec_lo, exec_lo, s12
.LBB11_729:                             ;   in Loop: Header=BB11_714 Depth=1
	s_and_not1_saveexec_b32 s0, s11
	s_delay_alu instid0(SALU_CYCLE_1)
	s_or_b32 exec_lo, exec_lo, s0
                                        ; implicit-def: $vgpr12
.LBB11_730:                             ;   in Loop: Header=BB11_714 Depth=1
	s_and_not1_saveexec_b32 s0, s9
; %bb.731:                              ;   in Loop: Header=BB11_714 Depth=1
	v_cmp_eq_u64_e32 vcc_lo, 0, v[9:10]
	v_or_b32_e32 v12, 0x7f, v12
	s_delay_alu instid0(VALU_DEP_1)
	v_cndmask_b32_e32 v11, v12, v11, vcc_lo
; %bb.732:                              ;   in Loop: Header=BB11_714 Depth=1
	s_or_b32 exec_lo, exec_lo, s0
	v_lshrrev_b32_e32 v1, 16, v1
	s_mov_b32 s0, exec_lo
	s_delay_alu instid0(VALU_DEP_1) | instskip(NEXT) | instid1(VALU_DEP_1)
	v_cvt_f32_f16_e32 v1, v1
	v_div_scale_f32 v9, null, s39, s39, v1
	s_delay_alu instid0(VALU_DEP_1) | instskip(SKIP_2) | instid1(VALU_DEP_1)
	v_rcp_f32_e32 v12, v9
	s_waitcnt_depctr 0xfff
	v_fma_f32 v13, -v9, v12, 1.0
	v_fmac_f32_e32 v12, v13, v12
	v_div_scale_f32 v13, vcc_lo, v1, s39, v1
	s_delay_alu instid0(VALU_DEP_1) | instskip(NEXT) | instid1(VALU_DEP_1)
	v_mul_f32_e32 v14, v13, v12
	v_fma_f32 v15, -v9, v14, v13
	s_delay_alu instid0(VALU_DEP_1) | instskip(NEXT) | instid1(VALU_DEP_1)
	v_fmac_f32_e32 v14, v15, v12
	v_fma_f32 v9, -v9, v14, v13
	s_delay_alu instid0(VALU_DEP_1) | instskip(NEXT) | instid1(VALU_DEP_1)
	v_div_fmas_f32 v9, v9, v12, v14
	v_div_fixup_f32 v1, v9, s39, v1
	s_delay_alu instid0(VALU_DEP_1) | instskip(NEXT) | instid1(VALU_DEP_1)
	v_cvt_f16_f32_e32 v1, v1
	v_cvt_f32_f16_e32 v14, v1
	s_delay_alu instid0(VALU_DEP_1) | instskip(SKIP_2) | instid1(VALU_DEP_2)
	v_dual_mov_b32 v16, v10 :: v_dual_and_b32 v9, 0x7fffff, v14
	v_lshrrev_b32_e32 v13, 24, v14
	v_and_b32_e32 v15, 0x7f800000, v14
	v_and_b32_e32 v1, 0x80, v13
	s_delay_alu instid0(VALU_DEP_1) | instskip(NEXT) | instid1(VALU_DEP_3)
	v_or_b32_e32 v12, 0x7e, v1
	v_cmpx_ne_u64_e32 0x7f800000, v[15:16]
	s_xor_b32 s9, exec_lo, s0
	s_cbranch_execz .LBB11_748
; %bb.733:                              ;   in Loop: Header=BB11_714 Depth=1
	v_dual_mov_b32 v16, v10 :: v_dual_and_b32 v15, 0x7fffffff, v14
	s_mov_b32 s0, exec_lo
	s_delay_alu instid0(VALU_DEP_1)
	v_cmpx_gt_u64_e32 0x43e00001, v[15:16]
	s_xor_b32 s11, exec_lo, s0
	s_cbranch_execz .LBB11_747
; %bb.734:                              ;   in Loop: Header=BB11_714 Depth=1
	s_mov_b32 s12, exec_lo
	v_mov_b32_e32 v12, 0
	v_mov_b32_e32 v13, 0
	v_cmpx_ne_u32_e32 0, v14
	s_cbranch_execz .LBB11_746
; %bb.735:                              ;   in Loop: Header=BB11_714 Depth=1
	v_bfe_u32 v16, v14, 23, 8
	v_or_b32_e32 v14, 0x800000, v9
	s_delay_alu instid0(VALU_DEP_2) | instskip(SKIP_1) | instid1(VALU_DEP_2)
	v_sub_nc_u32_e32 v12, 0x79, v16
	v_cmp_gt_u32_e32 vcc_lo, 0x7a, v16
	v_cndmask_b32_e32 v12, 0, v12, vcc_lo
	v_cmp_eq_u32_e32 vcc_lo, 0, v16
	v_cndmask_b32_e32 v9, v14, v9, vcc_lo
	s_delay_alu instid0(VALU_DEP_3) | instskip(NEXT) | instid1(VALU_DEP_1)
	v_cndmask_b32_e64 v17, v12, 0x78, vcc_lo
	v_add_nc_u32_e32 v12, 20, v17
	v_add_nc_u32_e32 v14, 19, v17
	s_delay_alu instid0(VALU_DEP_2) | instskip(NEXT) | instid1(VALU_DEP_2)
	v_lshlrev_b64 v[12:13], v12, -1
	v_lshlrev_b64 v[14:15], v14, 1
	s_delay_alu instid0(VALU_DEP_2) | instskip(NEXT) | instid1(VALU_DEP_3)
	v_not_b32_e32 v13, v13
	v_not_b32_e32 v12, v12
	s_delay_alu instid0(VALU_DEP_2) | instskip(NEXT) | instid1(VALU_DEP_2)
	v_and_b32_e32 v19, 0, v13
	v_and_b32_e32 v18, v9, v12
	v_lshrrev_b64 v[12:13], v17, v[9:10]
	s_delay_alu instid0(VALU_DEP_2) | instskip(NEXT) | instid1(VALU_DEP_2)
	v_cmp_eq_u64_e64 s0, v[18:19], v[14:15]
	v_dual_mov_b32 v15, v13 :: v_dual_mov_b32 v14, v12
	s_delay_alu instid0(VALU_DEP_2)
	s_and_saveexec_b32 s42, s0
; %bb.736:                              ;   in Loop: Header=BB11_714 Depth=1
	v_bfe_u32 v9, v12, 20, 1
	s_delay_alu instid0(VALU_DEP_1) | instskip(NEXT) | instid1(VALU_DEP_1)
	v_add_co_u32 v9, s0, v12, v9
	v_add_co_u32 v14, s0, v9, -1
; %bb.737:                              ;   in Loop: Header=BB11_714 Depth=1
	s_or_b32 exec_lo, exec_lo, s42
	v_add_nc_u32_e32 v9, 0xffffff81, v16
	v_lshrrev_b32_e32 v15, 23, v12
	s_mov_b32 s0, exec_lo
	s_delay_alu instid0(VALU_DEP_2) | instskip(NEXT) | instid1(VALU_DEP_1)
	v_cndmask_b32_e64 v9, v9, 0xffffff82, vcc_lo
	v_add3_u32 v15, v17, v9, v15
	v_and_b32_e32 v9, 0xfffff, v14
	s_delay_alu instid0(VALU_DEP_2) | instskip(NEXT) | instid1(VALU_DEP_2)
	v_add_nc_u32_e32 v14, 6, v15
	v_add_co_u32 v12, vcc_lo, v9, v12
	v_add_co_ci_u32_e32 v13, vcc_lo, 0, v13, vcc_lo
                                        ; implicit-def: $vgpr9
	s_delay_alu instid0(VALU_DEP_3)
	v_cmpx_ne_u32_e32 0, v14
	s_xor_b32 s0, exec_lo, s0
; %bb.738:                              ;   in Loop: Header=BB11_714 Depth=1
	s_delay_alu instid0(VALU_DEP_2) | instskip(SKIP_1) | instid1(VALU_DEP_1)
	v_cmp_lt_u64_e32 vcc_lo, 0xffffff, v[12:13]
	v_add_nc_u32_e32 v9, 7, v15
	v_cndmask_b32_e32 v9, v14, v9, vcc_lo
	v_cndmask_b32_e64 v14, 0, 1, vcc_lo
	s_delay_alu instid0(VALU_DEP_1)
	v_lshrrev_b64 v[12:13], v14, v[12:13]
; %bb.739:                              ;   in Loop: Header=BB11_714 Depth=1
	s_and_not1_saveexec_b32 s0, s0
; %bb.740:                              ;   in Loop: Header=BB11_714 Depth=1
	s_delay_alu instid0(VALU_DEP_1)
	v_bfe_u32 v9, v12, 23, 1
; %bb.741:                              ;   in Loop: Header=BB11_714 Depth=1
	s_or_b32 exec_lo, exec_lo, s0
	s_delay_alu instid0(VALU_DEP_2) | instskip(NEXT) | instid1(VALU_DEP_2)
	v_lshrrev_b64 v[12:13], 20, v[12:13]
	v_cmp_gt_i32_e32 vcc_lo, 16, v9
	v_cmp_ne_u32_e64 s0, 0, v9
	s_delay_alu instid0(VALU_DEP_3) | instskip(NEXT) | instid1(VALU_DEP_1)
	v_dual_cndmask_b32 v15, 0, v13 :: v_dual_cndmask_b32 v14, 7, v12
                                        ; implicit-def: $vgpr12_vgpr13
	v_cmp_ne_u64_e32 vcc_lo, 0, v[14:15]
	s_delay_alu instid0(VALU_DEP_3) | instskip(NEXT) | instid1(SALU_CYCLE_1)
	s_or_b32 s0, s0, vcc_lo
	s_and_saveexec_b32 s42, s0
	s_delay_alu instid0(SALU_CYCLE_1)
	s_xor_b32 s0, exec_lo, s42
; %bb.742:                              ;   in Loop: Header=BB11_714 Depth=1
	v_min_i32_e32 v9, 15, v9
	s_delay_alu instid0(VALU_DEP_1) | instskip(NEXT) | instid1(VALU_DEP_1)
	v_lshl_or_b32 v1, v9, 3, v1
	v_and_or_b32 v12, v14, 7, v1
                                        ; implicit-def: $vgpr1
; %bb.743:                              ;   in Loop: Header=BB11_714 Depth=1
	s_and_not1_saveexec_b32 s0, s0
; %bb.744:                              ;   in Loop: Header=BB11_714 Depth=1
	v_dual_mov_b32 v13, v2 :: v_dual_mov_b32 v12, v1
; %bb.745:                              ;   in Loop: Header=BB11_714 Depth=1
	s_or_b32 exec_lo, exec_lo, s0
.LBB11_746:                             ;   in Loop: Header=BB11_714 Depth=1
	s_delay_alu instid0(SALU_CYCLE_1)
	s_or_b32 exec_lo, exec_lo, s12
.LBB11_747:                             ;   in Loop: Header=BB11_714 Depth=1
	s_and_not1_saveexec_b32 s0, s11
	s_delay_alu instid0(SALU_CYCLE_1)
	s_or_b32 exec_lo, exec_lo, s0
                                        ; implicit-def: $vgpr13
.LBB11_748:                             ;   in Loop: Header=BB11_714 Depth=1
	s_and_not1_saveexec_b32 s0, s9
; %bb.749:                              ;   in Loop: Header=BB11_714 Depth=1
	v_cmp_eq_u64_e32 vcc_lo, 0, v[9:10]
	v_or_b32_e32 v1, 0x7f, v13
	s_delay_alu instid0(VALU_DEP_1)
	v_cndmask_b32_e32 v12, v1, v12, vcc_lo
; %bb.750:                              ;   in Loop: Header=BB11_714 Depth=1
	s_or_b32 exec_lo, exec_lo, s0
	v_cvt_f32_f16_e32 v1, v2
	v_mov_b32_e32 v17, v10
	s_mov_b32 s0, exec_lo
	s_delay_alu instid0(VALU_DEP_2) | instskip(NEXT) | instid1(VALU_DEP_1)
	v_div_scale_f32 v9, null, s39, s39, v1
	v_rcp_f32_e32 v13, v9
	s_waitcnt_depctr 0xfff
	v_fma_f32 v14, -v9, v13, 1.0
	s_delay_alu instid0(VALU_DEP_1) | instskip(SKIP_1) | instid1(VALU_DEP_1)
	v_fmac_f32_e32 v13, v14, v13
	v_div_scale_f32 v14, vcc_lo, v1, s39, v1
	v_mul_f32_e32 v15, v14, v13
	s_delay_alu instid0(VALU_DEP_1) | instskip(NEXT) | instid1(VALU_DEP_1)
	v_fma_f32 v16, -v9, v15, v14
	v_fmac_f32_e32 v15, v16, v13
	s_delay_alu instid0(VALU_DEP_1) | instskip(NEXT) | instid1(VALU_DEP_1)
	v_fma_f32 v9, -v9, v15, v14
	v_div_fmas_f32 v9, v9, v13, v15
	s_delay_alu instid0(VALU_DEP_1) | instskip(NEXT) | instid1(VALU_DEP_1)
	v_div_fixup_f32 v1, v9, s39, v1
	v_cvt_f16_f32_e32 v1, v1
	s_delay_alu instid0(VALU_DEP_1) | instskip(NEXT) | instid1(VALU_DEP_1)
	v_cvt_f32_f16_e32 v15, v1
	v_and_b32_e32 v16, 0x7f800000, v15
	v_lshrrev_b32_e32 v14, 24, v15
	v_and_b32_e32 v9, 0x7fffff, v15
	s_delay_alu instid0(VALU_DEP_2) | instskip(NEXT) | instid1(VALU_DEP_1)
	v_and_b32_e32 v1, 0x80, v14
	v_or_b32_e32 v13, 0x7e, v1
	v_cmpx_ne_u64_e32 0x7f800000, v[16:17]
	s_xor_b32 s9, exec_lo, s0
	s_cbranch_execz .LBB11_766
; %bb.751:                              ;   in Loop: Header=BB11_714 Depth=1
	v_dual_mov_b32 v17, v10 :: v_dual_and_b32 v16, 0x7fffffff, v15
	s_mov_b32 s0, exec_lo
	s_delay_alu instid0(VALU_DEP_1)
	v_cmpx_gt_u64_e32 0x43e00001, v[16:17]
	s_xor_b32 s11, exec_lo, s0
	s_cbranch_execz .LBB11_765
; %bb.752:                              ;   in Loop: Header=BB11_714 Depth=1
	s_mov_b32 s12, exec_lo
	v_mov_b32_e32 v13, 0
	v_mov_b32_e32 v14, 0
	v_cmpx_ne_u32_e32 0, v15
	s_cbranch_execz .LBB11_764
; %bb.753:                              ;   in Loop: Header=BB11_714 Depth=1
	v_bfe_u32 v17, v15, 23, 8
	v_or_b32_e32 v15, 0x800000, v9
	s_delay_alu instid0(VALU_DEP_2) | instskip(SKIP_1) | instid1(VALU_DEP_2)
	v_sub_nc_u32_e32 v13, 0x79, v17
	v_cmp_gt_u32_e32 vcc_lo, 0x7a, v17
	v_cndmask_b32_e32 v13, 0, v13, vcc_lo
	v_cmp_eq_u32_e32 vcc_lo, 0, v17
	s_delay_alu instid0(VALU_DEP_2) | instskip(SKIP_1) | instid1(VALU_DEP_2)
	v_cndmask_b32_e64 v18, v13, 0x78, vcc_lo
	v_cndmask_b32_e32 v9, v15, v9, vcc_lo
	v_add_nc_u32_e32 v13, 20, v18
	v_add_nc_u32_e32 v15, 19, v18
	s_delay_alu instid0(VALU_DEP_2) | instskip(NEXT) | instid1(VALU_DEP_2)
	v_lshlrev_b64 v[13:14], v13, -1
	v_lshlrev_b64 v[15:16], v15, 1
	s_delay_alu instid0(VALU_DEP_2) | instskip(NEXT) | instid1(VALU_DEP_3)
	v_not_b32_e32 v14, v14
	v_not_b32_e32 v13, v13
	s_delay_alu instid0(VALU_DEP_2) | instskip(NEXT) | instid1(VALU_DEP_2)
	v_and_b32_e32 v22, 0, v14
	v_and_b32_e32 v21, v9, v13
	v_lshrrev_b64 v[13:14], v18, v[9:10]
	s_delay_alu instid0(VALU_DEP_2) | instskip(NEXT) | instid1(VALU_DEP_2)
	v_cmp_eq_u64_e64 s0, v[21:22], v[15:16]
	v_dual_mov_b32 v16, v14 :: v_dual_mov_b32 v15, v13
	s_delay_alu instid0(VALU_DEP_2)
	s_and_saveexec_b32 s42, s0
; %bb.754:                              ;   in Loop: Header=BB11_714 Depth=1
	v_bfe_u32 v9, v13, 20, 1
	s_delay_alu instid0(VALU_DEP_1) | instskip(NEXT) | instid1(VALU_DEP_1)
	v_add_co_u32 v9, s0, v13, v9
	v_add_co_u32 v15, s0, v9, -1
; %bb.755:                              ;   in Loop: Header=BB11_714 Depth=1
	s_or_b32 exec_lo, exec_lo, s42
	v_add_nc_u32_e32 v9, 0xffffff81, v17
	v_lshrrev_b32_e32 v16, 23, v13
	s_mov_b32 s0, exec_lo
	s_delay_alu instid0(VALU_DEP_2) | instskip(NEXT) | instid1(VALU_DEP_1)
	v_cndmask_b32_e64 v9, v9, 0xffffff82, vcc_lo
	v_add3_u32 v16, v18, v9, v16
	v_and_b32_e32 v9, 0xfffff, v15
	s_delay_alu instid0(VALU_DEP_2) | instskip(NEXT) | instid1(VALU_DEP_2)
	v_add_nc_u32_e32 v15, 6, v16
	v_add_co_u32 v13, vcc_lo, v9, v13
	v_add_co_ci_u32_e32 v14, vcc_lo, 0, v14, vcc_lo
                                        ; implicit-def: $vgpr9
	s_delay_alu instid0(VALU_DEP_3)
	v_cmpx_ne_u32_e32 0, v15
	s_xor_b32 s0, exec_lo, s0
; %bb.756:                              ;   in Loop: Header=BB11_714 Depth=1
	s_delay_alu instid0(VALU_DEP_2) | instskip(SKIP_1) | instid1(VALU_DEP_1)
	v_cmp_lt_u64_e32 vcc_lo, 0xffffff, v[13:14]
	v_add_nc_u32_e32 v9, 7, v16
	v_cndmask_b32_e32 v9, v15, v9, vcc_lo
	v_cndmask_b32_e64 v15, 0, 1, vcc_lo
	s_delay_alu instid0(VALU_DEP_1)
	v_lshrrev_b64 v[13:14], v15, v[13:14]
; %bb.757:                              ;   in Loop: Header=BB11_714 Depth=1
	s_and_not1_saveexec_b32 s0, s0
; %bb.758:                              ;   in Loop: Header=BB11_714 Depth=1
	s_delay_alu instid0(VALU_DEP_1)
	v_bfe_u32 v9, v13, 23, 1
; %bb.759:                              ;   in Loop: Header=BB11_714 Depth=1
	s_or_b32 exec_lo, exec_lo, s0
	s_delay_alu instid0(VALU_DEP_2) | instskip(NEXT) | instid1(VALU_DEP_2)
	v_lshrrev_b64 v[13:14], 20, v[13:14]
	v_cmp_gt_i32_e32 vcc_lo, 16, v9
	v_cmp_ne_u32_e64 s0, 0, v9
	s_delay_alu instid0(VALU_DEP_3) | instskip(NEXT) | instid1(VALU_DEP_1)
	v_dual_cndmask_b32 v16, 0, v14 :: v_dual_cndmask_b32 v15, 7, v13
                                        ; implicit-def: $vgpr13_vgpr14
	v_cmp_ne_u64_e32 vcc_lo, 0, v[15:16]
	s_delay_alu instid0(VALU_DEP_3) | instskip(NEXT) | instid1(SALU_CYCLE_1)
	s_or_b32 s0, s0, vcc_lo
	s_and_saveexec_b32 s42, s0
	s_delay_alu instid0(SALU_CYCLE_1)
	s_xor_b32 s0, exec_lo, s42
; %bb.760:                              ;   in Loop: Header=BB11_714 Depth=1
	v_min_i32_e32 v9, 15, v9
	s_delay_alu instid0(VALU_DEP_1) | instskip(NEXT) | instid1(VALU_DEP_1)
	v_lshl_or_b32 v1, v9, 3, v1
	v_and_or_b32 v13, v15, 7, v1
                                        ; implicit-def: $vgpr1
; %bb.761:                              ;   in Loop: Header=BB11_714 Depth=1
	s_and_not1_saveexec_b32 s0, s0
; %bb.762:                              ;   in Loop: Header=BB11_714 Depth=1
	v_dual_mov_b32 v14, v2 :: v_dual_mov_b32 v13, v1
; %bb.763:                              ;   in Loop: Header=BB11_714 Depth=1
	s_or_b32 exec_lo, exec_lo, s0
.LBB11_764:                             ;   in Loop: Header=BB11_714 Depth=1
	s_delay_alu instid0(SALU_CYCLE_1)
	s_or_b32 exec_lo, exec_lo, s12
.LBB11_765:                             ;   in Loop: Header=BB11_714 Depth=1
	s_and_not1_saveexec_b32 s0, s11
	s_delay_alu instid0(SALU_CYCLE_1)
	s_or_b32 exec_lo, exec_lo, s0
                                        ; implicit-def: $vgpr14
.LBB11_766:                             ;   in Loop: Header=BB11_714 Depth=1
	s_and_not1_saveexec_b32 s0, s9
; %bb.767:                              ;   in Loop: Header=BB11_714 Depth=1
	v_cmp_eq_u64_e32 vcc_lo, 0, v[9:10]
	v_or_b32_e32 v1, 0x7f, v14
	s_delay_alu instid0(VALU_DEP_1)
	v_cndmask_b32_e32 v13, v1, v13, vcc_lo
; %bb.768:                              ;   in Loop: Header=BB11_714 Depth=1
	s_or_b32 exec_lo, exec_lo, s0
	v_lshrrev_b32_e32 v1, 16, v2
	v_mov_b32_e32 v17, v10
	s_mov_b32 s0, exec_lo
	s_delay_alu instid0(VALU_DEP_2) | instskip(NEXT) | instid1(VALU_DEP_1)
	v_cvt_f32_f16_e32 v1, v1
	v_div_scale_f32 v2, null, s39, s39, v1
	s_delay_alu instid0(VALU_DEP_1) | instskip(SKIP_2) | instid1(VALU_DEP_1)
	v_rcp_f32_e32 v9, v2
	s_waitcnt_depctr 0xfff
	v_fma_f32 v14, -v2, v9, 1.0
	v_fmac_f32_e32 v9, v14, v9
	v_div_scale_f32 v14, vcc_lo, v1, s39, v1
	s_delay_alu instid0(VALU_DEP_1) | instskip(NEXT) | instid1(VALU_DEP_1)
	v_mul_f32_e32 v15, v14, v9
	v_fma_f32 v16, -v2, v15, v14
	s_delay_alu instid0(VALU_DEP_1) | instskip(NEXT) | instid1(VALU_DEP_1)
	v_fmac_f32_e32 v15, v16, v9
	v_fma_f32 v2, -v2, v15, v14
	s_delay_alu instid0(VALU_DEP_1) | instskip(NEXT) | instid1(VALU_DEP_1)
	v_div_fmas_f32 v2, v2, v9, v15
	v_div_fixup_f32 v1, v2, s39, v1
	s_delay_alu instid0(VALU_DEP_1) | instskip(NEXT) | instid1(VALU_DEP_1)
	v_cvt_f16_f32_e32 v1, v1
	v_cvt_f32_f16_e32 v15, v1
	s_delay_alu instid0(VALU_DEP_1) | instskip(SKIP_2) | instid1(VALU_DEP_3)
	v_lshrrev_b32_e32 v2, 24, v15
	v_and_b32_e32 v16, 0x7f800000, v15
	v_and_b32_e32 v9, 0x7fffff, v15
	;; [unrolled: 1-line block ×3, first 2 shown]
	s_delay_alu instid0(VALU_DEP_1) | instskip(NEXT) | instid1(VALU_DEP_4)
	v_or_b32_e32 v1, 0x7e, v14
	v_cmpx_ne_u64_e32 0x7f800000, v[16:17]
	s_xor_b32 s9, exec_lo, s0
	s_cbranch_execz .LBB11_784
; %bb.769:                              ;   in Loop: Header=BB11_714 Depth=1
	v_dual_mov_b32 v17, v10 :: v_dual_and_b32 v16, 0x7fffffff, v15
	s_mov_b32 s0, exec_lo
	s_delay_alu instid0(VALU_DEP_1)
	v_cmpx_gt_u64_e32 0x43e00001, v[16:17]
	s_xor_b32 s11, exec_lo, s0
	s_cbranch_execz .LBB11_783
; %bb.770:                              ;   in Loop: Header=BB11_714 Depth=1
	s_mov_b32 s12, exec_lo
	v_mov_b32_e32 v1, 0
	v_mov_b32_e32 v2, 0
	v_cmpx_ne_u32_e32 0, v15
	s_cbranch_execz .LBB11_782
; %bb.771:                              ;   in Loop: Header=BB11_714 Depth=1
	v_bfe_u32 v17, v15, 23, 8
	v_or_b32_e32 v15, 0x800000, v9
	s_delay_alu instid0(VALU_DEP_2) | instskip(SKIP_1) | instid1(VALU_DEP_2)
	v_sub_nc_u32_e32 v1, 0x79, v17
	v_cmp_gt_u32_e32 vcc_lo, 0x7a, v17
	v_cndmask_b32_e32 v1, 0, v1, vcc_lo
	v_cmp_eq_u32_e32 vcc_lo, 0, v17
	s_delay_alu instid0(VALU_DEP_2) | instskip(SKIP_1) | instid1(VALU_DEP_2)
	v_cndmask_b32_e64 v18, v1, 0x78, vcc_lo
	v_cndmask_b32_e32 v9, v15, v9, vcc_lo
	v_add_nc_u32_e32 v1, 20, v18
	v_add_nc_u32_e32 v15, 19, v18
	s_delay_alu instid0(VALU_DEP_2) | instskip(NEXT) | instid1(VALU_DEP_2)
	v_lshlrev_b64 v[1:2], v1, -1
	v_lshlrev_b64 v[15:16], v15, 1
	s_delay_alu instid0(VALU_DEP_2) | instskip(NEXT) | instid1(VALU_DEP_3)
	v_not_b32_e32 v2, v2
	v_not_b32_e32 v1, v1
	s_delay_alu instid0(VALU_DEP_2) | instskip(NEXT) | instid1(VALU_DEP_2)
	v_and_b32_e32 v22, 0, v2
	v_and_b32_e32 v21, v9, v1
	v_lshrrev_b64 v[1:2], v18, v[9:10]
	s_delay_alu instid0(VALU_DEP_2) | instskip(NEXT) | instid1(VALU_DEP_2)
	v_cmp_eq_u64_e64 s0, v[21:22], v[15:16]
	v_dual_mov_b32 v16, v2 :: v_dual_mov_b32 v15, v1
	s_delay_alu instid0(VALU_DEP_2)
	s_and_saveexec_b32 s42, s0
; %bb.772:                              ;   in Loop: Header=BB11_714 Depth=1
	v_bfe_u32 v9, v1, 20, 1
	s_delay_alu instid0(VALU_DEP_1) | instskip(NEXT) | instid1(VALU_DEP_1)
	v_add_co_u32 v9, s0, v1, v9
	v_add_co_u32 v15, s0, v9, -1
; %bb.773:                              ;   in Loop: Header=BB11_714 Depth=1
	s_or_b32 exec_lo, exec_lo, s42
	v_add_nc_u32_e32 v9, 0xffffff81, v17
	v_lshrrev_b32_e32 v16, 23, v1
	s_mov_b32 s0, exec_lo
	s_delay_alu instid0(VALU_DEP_2) | instskip(NEXT) | instid1(VALU_DEP_1)
	v_cndmask_b32_e64 v9, v9, 0xffffff82, vcc_lo
	v_add3_u32 v16, v18, v9, v16
	v_and_b32_e32 v9, 0xfffff, v15
	s_delay_alu instid0(VALU_DEP_2) | instskip(NEXT) | instid1(VALU_DEP_2)
	v_add_nc_u32_e32 v15, 6, v16
	v_add_co_u32 v1, vcc_lo, v9, v1
	v_add_co_ci_u32_e32 v2, vcc_lo, 0, v2, vcc_lo
                                        ; implicit-def: $vgpr9
	s_delay_alu instid0(VALU_DEP_3)
	v_cmpx_ne_u32_e32 0, v15
	s_xor_b32 s0, exec_lo, s0
; %bb.774:                              ;   in Loop: Header=BB11_714 Depth=1
	s_delay_alu instid0(VALU_DEP_2) | instskip(SKIP_1) | instid1(VALU_DEP_1)
	v_cmp_lt_u64_e32 vcc_lo, 0xffffff, v[1:2]
	v_add_nc_u32_e32 v9, 7, v16
	v_cndmask_b32_e32 v9, v15, v9, vcc_lo
	v_cndmask_b32_e64 v15, 0, 1, vcc_lo
	s_delay_alu instid0(VALU_DEP_1)
	v_lshrrev_b64 v[1:2], v15, v[1:2]
; %bb.775:                              ;   in Loop: Header=BB11_714 Depth=1
	s_and_not1_saveexec_b32 s0, s0
; %bb.776:                              ;   in Loop: Header=BB11_714 Depth=1
	s_delay_alu instid0(VALU_DEP_1)
	v_bfe_u32 v9, v1, 23, 1
; %bb.777:                              ;   in Loop: Header=BB11_714 Depth=1
	s_or_b32 exec_lo, exec_lo, s0
	s_delay_alu instid0(VALU_DEP_2) | instskip(NEXT) | instid1(VALU_DEP_2)
	v_lshrrev_b64 v[1:2], 20, v[1:2]
	v_cmp_gt_i32_e32 vcc_lo, 16, v9
	v_cmp_ne_u32_e64 s0, 0, v9
	s_delay_alu instid0(VALU_DEP_3) | instskip(NEXT) | instid1(VALU_DEP_1)
	v_dual_cndmask_b32 v16, 0, v2 :: v_dual_cndmask_b32 v15, 7, v1
                                        ; implicit-def: $vgpr1_vgpr2
	v_cmp_ne_u64_e32 vcc_lo, 0, v[15:16]
	s_delay_alu instid0(VALU_DEP_3) | instskip(NEXT) | instid1(SALU_CYCLE_1)
	s_or_b32 s0, s0, vcc_lo
	s_and_saveexec_b32 s42, s0
	s_delay_alu instid0(SALU_CYCLE_1)
	s_xor_b32 s0, exec_lo, s42
; %bb.778:                              ;   in Loop: Header=BB11_714 Depth=1
	v_min_i32_e32 v1, 15, v9
	s_delay_alu instid0(VALU_DEP_1) | instskip(NEXT) | instid1(VALU_DEP_1)
	v_lshl_or_b32 v1, v1, 3, v14
                                        ; implicit-def: $vgpr14
	v_and_or_b32 v1, v15, 7, v1
; %bb.779:                              ;   in Loop: Header=BB11_714 Depth=1
	s_and_not1_saveexec_b32 s0, s0
; %bb.780:                              ;   in Loop: Header=BB11_714 Depth=1
	v_dual_mov_b32 v1, v14 :: v_dual_mov_b32 v2, v15
; %bb.781:                              ;   in Loop: Header=BB11_714 Depth=1
	s_or_b32 exec_lo, exec_lo, s0
.LBB11_782:                             ;   in Loop: Header=BB11_714 Depth=1
	s_delay_alu instid0(SALU_CYCLE_1)
	s_or_b32 exec_lo, exec_lo, s12
.LBB11_783:                             ;   in Loop: Header=BB11_714 Depth=1
	s_and_not1_saveexec_b32 s0, s11
	s_delay_alu instid0(SALU_CYCLE_1)
	s_or_b32 exec_lo, exec_lo, s0
                                        ; implicit-def: $vgpr2
.LBB11_784:                             ;   in Loop: Header=BB11_714 Depth=1
	s_and_not1_saveexec_b32 s0, s9
; %bb.785:                              ;   in Loop: Header=BB11_714 Depth=1
	v_cmp_eq_u64_e32 vcc_lo, 0, v[9:10]
	v_or_b32_e32 v2, 0x7f, v2
	s_delay_alu instid0(VALU_DEP_1)
	v_cndmask_b32_e32 v1, v2, v1, vcc_lo
; %bb.786:                              ;   in Loop: Header=BB11_714 Depth=1
	s_or_b32 exec_lo, exec_lo, s0
	v_cvt_f32_f16_e32 v2, v3
	s_mov_b32 s0, exec_lo
	s_delay_alu instid0(VALU_DEP_1) | instskip(NEXT) | instid1(VALU_DEP_1)
	v_div_scale_f32 v9, null, s39, s39, v2
	v_rcp_f32_e32 v14, v9
	s_waitcnt_depctr 0xfff
	v_fma_f32 v15, -v9, v14, 1.0
	s_delay_alu instid0(VALU_DEP_1) | instskip(SKIP_1) | instid1(VALU_DEP_1)
	v_fmac_f32_e32 v14, v15, v14
	v_div_scale_f32 v15, vcc_lo, v2, s39, v2
	v_mul_f32_e32 v16, v15, v14
	s_delay_alu instid0(VALU_DEP_1) | instskip(NEXT) | instid1(VALU_DEP_1)
	v_fma_f32 v17, -v9, v16, v15
	v_fmac_f32_e32 v16, v17, v14
	s_delay_alu instid0(VALU_DEP_1) | instskip(NEXT) | instid1(VALU_DEP_1)
	v_fma_f32 v9, -v9, v16, v15
	v_div_fmas_f32 v9, v9, v14, v16
	s_delay_alu instid0(VALU_DEP_1) | instskip(NEXT) | instid1(VALU_DEP_1)
	v_div_fixup_f32 v2, v9, s39, v2
	v_cvt_f16_f32_e32 v2, v2
	s_delay_alu instid0(VALU_DEP_1) | instskip(NEXT) | instid1(VALU_DEP_1)
	v_cvt_f32_f16_e32 v16, v2
	v_dual_mov_b32 v18, v10 :: v_dual_and_b32 v9, 0x7fffff, v16
	v_lshrrev_b32_e32 v15, 24, v16
	v_and_b32_e32 v17, 0x7f800000, v16
	s_delay_alu instid0(VALU_DEP_2) | instskip(NEXT) | instid1(VALU_DEP_1)
	v_and_b32_e32 v2, 0x80, v15
	v_or_b32_e32 v14, 0x7e, v2
	s_delay_alu instid0(VALU_DEP_3)
	v_cmpx_ne_u64_e32 0x7f800000, v[17:18]
	s_xor_b32 s9, exec_lo, s0
	s_cbranch_execz .LBB11_802
; %bb.787:                              ;   in Loop: Header=BB11_714 Depth=1
	v_dual_mov_b32 v18, v10 :: v_dual_and_b32 v17, 0x7fffffff, v16
	s_mov_b32 s0, exec_lo
	s_delay_alu instid0(VALU_DEP_1)
	v_cmpx_gt_u64_e32 0x43e00001, v[17:18]
	s_xor_b32 s11, exec_lo, s0
	s_cbranch_execz .LBB11_801
; %bb.788:                              ;   in Loop: Header=BB11_714 Depth=1
	s_mov_b32 s12, exec_lo
	v_mov_b32_e32 v14, 0
	v_mov_b32_e32 v15, 0
	v_cmpx_ne_u32_e32 0, v16
	s_cbranch_execz .LBB11_800
; %bb.789:                              ;   in Loop: Header=BB11_714 Depth=1
	v_bfe_u32 v18, v16, 23, 8
	v_or_b32_e32 v16, 0x800000, v9
	s_delay_alu instid0(VALU_DEP_2) | instskip(SKIP_1) | instid1(VALU_DEP_2)
	v_sub_nc_u32_e32 v14, 0x79, v18
	v_cmp_gt_u32_e32 vcc_lo, 0x7a, v18
	v_cndmask_b32_e32 v14, 0, v14, vcc_lo
	v_cmp_eq_u32_e32 vcc_lo, 0, v18
	v_cndmask_b32_e32 v9, v16, v9, vcc_lo
	s_delay_alu instid0(VALU_DEP_3) | instskip(NEXT) | instid1(VALU_DEP_1)
	v_cndmask_b32_e64 v19, v14, 0x78, vcc_lo
	v_add_nc_u32_e32 v14, 20, v19
	v_add_nc_u32_e32 v16, 19, v19
	s_delay_alu instid0(VALU_DEP_2) | instskip(NEXT) | instid1(VALU_DEP_2)
	v_lshlrev_b64 v[14:15], v14, -1
	v_lshlrev_b64 v[16:17], v16, 1
	s_delay_alu instid0(VALU_DEP_2) | instskip(NEXT) | instid1(VALU_DEP_3)
	v_not_b32_e32 v15, v15
	v_not_b32_e32 v14, v14
	s_delay_alu instid0(VALU_DEP_2) | instskip(NEXT) | instid1(VALU_DEP_2)
	v_and_b32_e32 v22, 0, v15
	v_and_b32_e32 v21, v9, v14
	v_lshrrev_b64 v[14:15], v19, v[9:10]
	s_delay_alu instid0(VALU_DEP_2) | instskip(NEXT) | instid1(VALU_DEP_2)
	v_cmp_eq_u64_e64 s0, v[21:22], v[16:17]
	v_dual_mov_b32 v17, v15 :: v_dual_mov_b32 v16, v14
	s_delay_alu instid0(VALU_DEP_2)
	s_and_saveexec_b32 s42, s0
; %bb.790:                              ;   in Loop: Header=BB11_714 Depth=1
	v_bfe_u32 v9, v14, 20, 1
	s_delay_alu instid0(VALU_DEP_1) | instskip(NEXT) | instid1(VALU_DEP_1)
	v_add_co_u32 v9, s0, v14, v9
	v_add_co_u32 v16, s0, v9, -1
; %bb.791:                              ;   in Loop: Header=BB11_714 Depth=1
	s_or_b32 exec_lo, exec_lo, s42
	v_add_nc_u32_e32 v9, 0xffffff81, v18
	v_lshrrev_b32_e32 v17, 23, v14
	s_mov_b32 s0, exec_lo
	s_delay_alu instid0(VALU_DEP_2) | instskip(NEXT) | instid1(VALU_DEP_1)
	v_cndmask_b32_e64 v9, v9, 0xffffff82, vcc_lo
	v_add3_u32 v17, v19, v9, v17
	v_and_b32_e32 v9, 0xfffff, v16
	s_delay_alu instid0(VALU_DEP_2) | instskip(NEXT) | instid1(VALU_DEP_2)
	v_add_nc_u32_e32 v16, 6, v17
	v_add_co_u32 v14, vcc_lo, v9, v14
	v_add_co_ci_u32_e32 v15, vcc_lo, 0, v15, vcc_lo
                                        ; implicit-def: $vgpr9
	s_delay_alu instid0(VALU_DEP_3)
	v_cmpx_ne_u32_e32 0, v16
	s_xor_b32 s0, exec_lo, s0
; %bb.792:                              ;   in Loop: Header=BB11_714 Depth=1
	s_delay_alu instid0(VALU_DEP_2) | instskip(SKIP_1) | instid1(VALU_DEP_1)
	v_cmp_lt_u64_e32 vcc_lo, 0xffffff, v[14:15]
	v_add_nc_u32_e32 v9, 7, v17
	v_cndmask_b32_e32 v9, v16, v9, vcc_lo
	v_cndmask_b32_e64 v16, 0, 1, vcc_lo
	s_delay_alu instid0(VALU_DEP_1)
	v_lshrrev_b64 v[14:15], v16, v[14:15]
; %bb.793:                              ;   in Loop: Header=BB11_714 Depth=1
	s_and_not1_saveexec_b32 s0, s0
; %bb.794:                              ;   in Loop: Header=BB11_714 Depth=1
	s_delay_alu instid0(VALU_DEP_1)
	v_bfe_u32 v9, v14, 23, 1
; %bb.795:                              ;   in Loop: Header=BB11_714 Depth=1
	s_or_b32 exec_lo, exec_lo, s0
	s_delay_alu instid0(VALU_DEP_2) | instskip(NEXT) | instid1(VALU_DEP_2)
	v_lshrrev_b64 v[14:15], 20, v[14:15]
	v_cmp_gt_i32_e32 vcc_lo, 16, v9
	v_cmp_ne_u32_e64 s0, 0, v9
	s_delay_alu instid0(VALU_DEP_3) | instskip(NEXT) | instid1(VALU_DEP_1)
	v_dual_cndmask_b32 v17, 0, v15 :: v_dual_cndmask_b32 v16, 7, v14
                                        ; implicit-def: $vgpr14_vgpr15
	v_cmp_ne_u64_e32 vcc_lo, 0, v[16:17]
	s_delay_alu instid0(VALU_DEP_3) | instskip(NEXT) | instid1(SALU_CYCLE_1)
	s_or_b32 s0, s0, vcc_lo
	s_and_saveexec_b32 s42, s0
	s_delay_alu instid0(SALU_CYCLE_1)
	s_xor_b32 s0, exec_lo, s42
; %bb.796:                              ;   in Loop: Header=BB11_714 Depth=1
	v_min_i32_e32 v9, 15, v9
	s_delay_alu instid0(VALU_DEP_1) | instskip(NEXT) | instid1(VALU_DEP_1)
	v_lshl_or_b32 v2, v9, 3, v2
	v_and_or_b32 v14, v16, 7, v2
                                        ; implicit-def: $vgpr2
; %bb.797:                              ;   in Loop: Header=BB11_714 Depth=1
	s_and_not1_saveexec_b32 s0, s0
; %bb.798:                              ;   in Loop: Header=BB11_714 Depth=1
	v_dual_mov_b32 v15, v3 :: v_dual_mov_b32 v14, v2
; %bb.799:                              ;   in Loop: Header=BB11_714 Depth=1
	s_or_b32 exec_lo, exec_lo, s0
.LBB11_800:                             ;   in Loop: Header=BB11_714 Depth=1
	s_delay_alu instid0(SALU_CYCLE_1)
	s_or_b32 exec_lo, exec_lo, s12
.LBB11_801:                             ;   in Loop: Header=BB11_714 Depth=1
	s_and_not1_saveexec_b32 s0, s11
	s_delay_alu instid0(SALU_CYCLE_1)
	s_or_b32 exec_lo, exec_lo, s0
                                        ; implicit-def: $vgpr15
.LBB11_802:                             ;   in Loop: Header=BB11_714 Depth=1
	s_and_not1_saveexec_b32 s0, s9
; %bb.803:                              ;   in Loop: Header=BB11_714 Depth=1
	v_cmp_eq_u64_e32 vcc_lo, 0, v[9:10]
	v_or_b32_e32 v2, 0x7f, v15
	s_delay_alu instid0(VALU_DEP_1)
	v_cndmask_b32_e32 v14, v2, v14, vcc_lo
; %bb.804:                              ;   in Loop: Header=BB11_714 Depth=1
	s_or_b32 exec_lo, exec_lo, s0
	v_lshrrev_b32_e32 v2, 16, v3
	s_mov_b32 s0, exec_lo
	v_mov_b32_e32 v18, v10
	s_delay_alu instid0(VALU_DEP_2) | instskip(NEXT) | instid1(VALU_DEP_1)
	v_cvt_f32_f16_e32 v2, v2
	v_div_scale_f32 v3, null, s39, s39, v2
	s_delay_alu instid0(VALU_DEP_1) | instskip(SKIP_2) | instid1(VALU_DEP_1)
	v_rcp_f32_e32 v9, v3
	s_waitcnt_depctr 0xfff
	v_fma_f32 v15, -v3, v9, 1.0
	v_fmac_f32_e32 v9, v15, v9
	v_div_scale_f32 v15, vcc_lo, v2, s39, v2
	s_delay_alu instid0(VALU_DEP_1) | instskip(NEXT) | instid1(VALU_DEP_1)
	v_mul_f32_e32 v16, v15, v9
	v_fma_f32 v17, -v3, v16, v15
	s_delay_alu instid0(VALU_DEP_1) | instskip(NEXT) | instid1(VALU_DEP_1)
	v_fmac_f32_e32 v16, v17, v9
	v_fma_f32 v3, -v3, v16, v15
	s_delay_alu instid0(VALU_DEP_1) | instskip(NEXT) | instid1(VALU_DEP_1)
	v_div_fmas_f32 v3, v3, v9, v16
	v_div_fixup_f32 v2, v3, s39, v2
	s_delay_alu instid0(VALU_DEP_1) | instskip(NEXT) | instid1(VALU_DEP_1)
	v_cvt_f16_f32_e32 v2, v2
	v_cvt_f32_f16_e32 v16, v2
	s_delay_alu instid0(VALU_DEP_1) | instskip(SKIP_2) | instid1(VALU_DEP_3)
	v_lshrrev_b32_e32 v3, 24, v16
	v_and_b32_e32 v17, 0x7f800000, v16
	v_and_b32_e32 v9, 0x7fffff, v16
	;; [unrolled: 1-line block ×3, first 2 shown]
	s_delay_alu instid0(VALU_DEP_1) | instskip(NEXT) | instid1(VALU_DEP_4)
	v_or_b32_e32 v2, 0x7e, v15
	v_cmpx_ne_u64_e32 0x7f800000, v[17:18]
	s_xor_b32 s9, exec_lo, s0
	s_cbranch_execz .LBB11_820
; %bb.805:                              ;   in Loop: Header=BB11_714 Depth=1
	v_dual_mov_b32 v18, v10 :: v_dual_and_b32 v17, 0x7fffffff, v16
	s_mov_b32 s0, exec_lo
	s_delay_alu instid0(VALU_DEP_1)
	v_cmpx_gt_u64_e32 0x43e00001, v[17:18]
	s_xor_b32 s11, exec_lo, s0
	s_cbranch_execz .LBB11_819
; %bb.806:                              ;   in Loop: Header=BB11_714 Depth=1
	s_mov_b32 s12, exec_lo
	v_mov_b32_e32 v2, 0
	v_mov_b32_e32 v3, 0
	v_cmpx_ne_u32_e32 0, v16
	s_cbranch_execz .LBB11_818
; %bb.807:                              ;   in Loop: Header=BB11_714 Depth=1
	v_bfe_u32 v18, v16, 23, 8
	v_or_b32_e32 v16, 0x800000, v9
	s_delay_alu instid0(VALU_DEP_2) | instskip(SKIP_1) | instid1(VALU_DEP_2)
	v_sub_nc_u32_e32 v2, 0x79, v18
	v_cmp_gt_u32_e32 vcc_lo, 0x7a, v18
	v_cndmask_b32_e32 v2, 0, v2, vcc_lo
	v_cmp_eq_u32_e32 vcc_lo, 0, v18
	v_cndmask_b32_e32 v9, v16, v9, vcc_lo
	s_delay_alu instid0(VALU_DEP_3) | instskip(NEXT) | instid1(VALU_DEP_1)
	v_cndmask_b32_e64 v19, v2, 0x78, vcc_lo
	v_add_nc_u32_e32 v2, 20, v19
	v_add_nc_u32_e32 v16, 19, v19
	s_delay_alu instid0(VALU_DEP_2) | instskip(NEXT) | instid1(VALU_DEP_2)
	v_lshlrev_b64 v[2:3], v2, -1
	v_lshlrev_b64 v[16:17], v16, 1
	s_delay_alu instid0(VALU_DEP_2) | instskip(NEXT) | instid1(VALU_DEP_3)
	v_not_b32_e32 v3, v3
	v_not_b32_e32 v2, v2
	s_delay_alu instid0(VALU_DEP_2) | instskip(NEXT) | instid1(VALU_DEP_2)
	v_and_b32_e32 v22, 0, v3
	v_and_b32_e32 v21, v9, v2
	v_lshrrev_b64 v[2:3], v19, v[9:10]
	s_delay_alu instid0(VALU_DEP_2) | instskip(NEXT) | instid1(VALU_DEP_2)
	v_cmp_eq_u64_e64 s0, v[21:22], v[16:17]
	v_dual_mov_b32 v17, v3 :: v_dual_mov_b32 v16, v2
	s_delay_alu instid0(VALU_DEP_2)
	s_and_saveexec_b32 s42, s0
; %bb.808:                              ;   in Loop: Header=BB11_714 Depth=1
	v_bfe_u32 v9, v2, 20, 1
	s_delay_alu instid0(VALU_DEP_1) | instskip(NEXT) | instid1(VALU_DEP_1)
	v_add_co_u32 v9, s0, v2, v9
	v_add_co_u32 v16, s0, v9, -1
; %bb.809:                              ;   in Loop: Header=BB11_714 Depth=1
	s_or_b32 exec_lo, exec_lo, s42
	v_add_nc_u32_e32 v9, 0xffffff81, v18
	v_lshrrev_b32_e32 v17, 23, v2
	s_mov_b32 s0, exec_lo
	s_delay_alu instid0(VALU_DEP_2) | instskip(NEXT) | instid1(VALU_DEP_1)
	v_cndmask_b32_e64 v9, v9, 0xffffff82, vcc_lo
	v_add3_u32 v17, v19, v9, v17
	v_and_b32_e32 v9, 0xfffff, v16
	s_delay_alu instid0(VALU_DEP_2) | instskip(NEXT) | instid1(VALU_DEP_2)
	v_add_nc_u32_e32 v16, 6, v17
	v_add_co_u32 v2, vcc_lo, v9, v2
	v_add_co_ci_u32_e32 v3, vcc_lo, 0, v3, vcc_lo
                                        ; implicit-def: $vgpr9
	s_delay_alu instid0(VALU_DEP_3)
	v_cmpx_ne_u32_e32 0, v16
	s_xor_b32 s0, exec_lo, s0
; %bb.810:                              ;   in Loop: Header=BB11_714 Depth=1
	s_delay_alu instid0(VALU_DEP_2) | instskip(SKIP_1) | instid1(VALU_DEP_1)
	v_cmp_lt_u64_e32 vcc_lo, 0xffffff, v[2:3]
	v_add_nc_u32_e32 v9, 7, v17
	v_cndmask_b32_e32 v9, v16, v9, vcc_lo
	v_cndmask_b32_e64 v16, 0, 1, vcc_lo
	s_delay_alu instid0(VALU_DEP_1)
	v_lshrrev_b64 v[2:3], v16, v[2:3]
; %bb.811:                              ;   in Loop: Header=BB11_714 Depth=1
	s_and_not1_saveexec_b32 s0, s0
; %bb.812:                              ;   in Loop: Header=BB11_714 Depth=1
	s_delay_alu instid0(VALU_DEP_1)
	v_bfe_u32 v9, v2, 23, 1
; %bb.813:                              ;   in Loop: Header=BB11_714 Depth=1
	s_or_b32 exec_lo, exec_lo, s0
	s_delay_alu instid0(VALU_DEP_2) | instskip(NEXT) | instid1(VALU_DEP_2)
	v_lshrrev_b64 v[2:3], 20, v[2:3]
	v_cmp_gt_i32_e32 vcc_lo, 16, v9
	v_cmp_ne_u32_e64 s0, 0, v9
	s_delay_alu instid0(VALU_DEP_3) | instskip(NEXT) | instid1(VALU_DEP_1)
	v_dual_cndmask_b32 v17, 0, v3 :: v_dual_cndmask_b32 v16, 7, v2
                                        ; implicit-def: $vgpr2_vgpr3
	v_cmp_ne_u64_e32 vcc_lo, 0, v[16:17]
	s_delay_alu instid0(VALU_DEP_3) | instskip(NEXT) | instid1(SALU_CYCLE_1)
	s_or_b32 s0, s0, vcc_lo
	s_and_saveexec_b32 s42, s0
	s_delay_alu instid0(SALU_CYCLE_1)
	s_xor_b32 s0, exec_lo, s42
; %bb.814:                              ;   in Loop: Header=BB11_714 Depth=1
	v_min_i32_e32 v2, 15, v9
	s_delay_alu instid0(VALU_DEP_1) | instskip(NEXT) | instid1(VALU_DEP_1)
	v_lshl_or_b32 v2, v2, 3, v15
                                        ; implicit-def: $vgpr15
	v_and_or_b32 v2, v16, 7, v2
; %bb.815:                              ;   in Loop: Header=BB11_714 Depth=1
	s_and_not1_saveexec_b32 s0, s0
; %bb.816:                              ;   in Loop: Header=BB11_714 Depth=1
	v_dual_mov_b32 v2, v15 :: v_dual_mov_b32 v3, v16
; %bb.817:                              ;   in Loop: Header=BB11_714 Depth=1
	s_or_b32 exec_lo, exec_lo, s0
.LBB11_818:                             ;   in Loop: Header=BB11_714 Depth=1
	s_delay_alu instid0(SALU_CYCLE_1)
	s_or_b32 exec_lo, exec_lo, s12
.LBB11_819:                             ;   in Loop: Header=BB11_714 Depth=1
	s_and_not1_saveexec_b32 s0, s11
	s_delay_alu instid0(SALU_CYCLE_1)
	s_or_b32 exec_lo, exec_lo, s0
                                        ; implicit-def: $vgpr3
.LBB11_820:                             ;   in Loop: Header=BB11_714 Depth=1
	s_and_not1_saveexec_b32 s0, s9
; %bb.821:                              ;   in Loop: Header=BB11_714 Depth=1
	v_cmp_eq_u64_e32 vcc_lo, 0, v[9:10]
	v_or_b32_e32 v3, 0x7f, v3
	s_delay_alu instid0(VALU_DEP_1)
	v_cndmask_b32_e32 v2, v3, v2, vcc_lo
; %bb.822:                              ;   in Loop: Header=BB11_714 Depth=1
	s_or_b32 exec_lo, exec_lo, s0
	v_cvt_f32_f16_e32 v3, v4
	v_mov_b32_e32 v19, v10
	s_mov_b32 s0, exec_lo
	s_delay_alu instid0(VALU_DEP_2) | instskip(NEXT) | instid1(VALU_DEP_1)
	v_div_scale_f32 v9, null, s39, s39, v3
	v_rcp_f32_e32 v15, v9
	s_waitcnt_depctr 0xfff
	v_fma_f32 v16, -v9, v15, 1.0
	s_delay_alu instid0(VALU_DEP_1) | instskip(SKIP_1) | instid1(VALU_DEP_1)
	v_fmac_f32_e32 v15, v16, v15
	v_div_scale_f32 v16, vcc_lo, v3, s39, v3
	v_mul_f32_e32 v17, v16, v15
	s_delay_alu instid0(VALU_DEP_1) | instskip(NEXT) | instid1(VALU_DEP_1)
	v_fma_f32 v18, -v9, v17, v16
	v_fmac_f32_e32 v17, v18, v15
	s_delay_alu instid0(VALU_DEP_1) | instskip(NEXT) | instid1(VALU_DEP_1)
	v_fma_f32 v9, -v9, v17, v16
	v_div_fmas_f32 v9, v9, v15, v17
	s_delay_alu instid0(VALU_DEP_1) | instskip(NEXT) | instid1(VALU_DEP_1)
	v_div_fixup_f32 v3, v9, s39, v3
	v_cvt_f16_f32_e32 v3, v3
	s_delay_alu instid0(VALU_DEP_1) | instskip(NEXT) | instid1(VALU_DEP_1)
	v_cvt_f32_f16_e32 v17, v3
	v_and_b32_e32 v18, 0x7f800000, v17
	v_lshrrev_b32_e32 v16, 24, v17
	v_and_b32_e32 v9, 0x7fffff, v17
	s_delay_alu instid0(VALU_DEP_2) | instskip(NEXT) | instid1(VALU_DEP_1)
	v_and_b32_e32 v3, 0x80, v16
	v_or_b32_e32 v15, 0x7e, v3
	v_cmpx_ne_u64_e32 0x7f800000, v[18:19]
	s_xor_b32 s9, exec_lo, s0
	s_cbranch_execz .LBB11_838
; %bb.823:                              ;   in Loop: Header=BB11_714 Depth=1
	v_dual_mov_b32 v19, v10 :: v_dual_and_b32 v18, 0x7fffffff, v17
	s_mov_b32 s0, exec_lo
	s_delay_alu instid0(VALU_DEP_1)
	v_cmpx_gt_u64_e32 0x43e00001, v[18:19]
	s_xor_b32 s11, exec_lo, s0
	s_cbranch_execz .LBB11_837
; %bb.824:                              ;   in Loop: Header=BB11_714 Depth=1
	s_mov_b32 s12, exec_lo
	v_mov_b32_e32 v15, 0
	v_mov_b32_e32 v16, 0
	v_cmpx_ne_u32_e32 0, v17
	s_cbranch_execz .LBB11_836
; %bb.825:                              ;   in Loop: Header=BB11_714 Depth=1
	v_bfe_u32 v19, v17, 23, 8
	v_or_b32_e32 v17, 0x800000, v9
	s_delay_alu instid0(VALU_DEP_2) | instskip(SKIP_1) | instid1(VALU_DEP_2)
	v_sub_nc_u32_e32 v15, 0x79, v19
	v_cmp_gt_u32_e32 vcc_lo, 0x7a, v19
	v_cndmask_b32_e32 v15, 0, v15, vcc_lo
	v_cmp_eq_u32_e32 vcc_lo, 0, v19
	s_delay_alu instid0(VALU_DEP_2) | instskip(SKIP_1) | instid1(VALU_DEP_2)
	v_cndmask_b32_e64 v21, v15, 0x78, vcc_lo
	v_cndmask_b32_e32 v9, v17, v9, vcc_lo
	v_add_nc_u32_e32 v15, 20, v21
	v_add_nc_u32_e32 v17, 19, v21
	s_delay_alu instid0(VALU_DEP_2) | instskip(NEXT) | instid1(VALU_DEP_2)
	v_lshlrev_b64 v[15:16], v15, -1
	v_lshlrev_b64 v[17:18], v17, 1
	s_delay_alu instid0(VALU_DEP_2) | instskip(NEXT) | instid1(VALU_DEP_3)
	v_not_b32_e32 v16, v16
	v_not_b32_e32 v15, v15
	s_delay_alu instid0(VALU_DEP_2) | instskip(NEXT) | instid1(VALU_DEP_2)
	v_and_b32_e32 v23, 0, v16
	v_and_b32_e32 v22, v9, v15
	v_lshrrev_b64 v[15:16], v21, v[9:10]
	s_delay_alu instid0(VALU_DEP_2) | instskip(NEXT) | instid1(VALU_DEP_2)
	v_cmp_eq_u64_e64 s0, v[22:23], v[17:18]
	v_dual_mov_b32 v18, v16 :: v_dual_mov_b32 v17, v15
	s_delay_alu instid0(VALU_DEP_2)
	s_and_saveexec_b32 s42, s0
; %bb.826:                              ;   in Loop: Header=BB11_714 Depth=1
	v_bfe_u32 v9, v15, 20, 1
	s_delay_alu instid0(VALU_DEP_1) | instskip(NEXT) | instid1(VALU_DEP_1)
	v_add_co_u32 v9, s0, v15, v9
	v_add_co_u32 v17, s0, v9, -1
; %bb.827:                              ;   in Loop: Header=BB11_714 Depth=1
	s_or_b32 exec_lo, exec_lo, s42
	v_add_nc_u32_e32 v9, 0xffffff81, v19
	v_lshrrev_b32_e32 v18, 23, v15
	s_mov_b32 s0, exec_lo
	s_delay_alu instid0(VALU_DEP_2) | instskip(NEXT) | instid1(VALU_DEP_1)
	v_cndmask_b32_e64 v9, v9, 0xffffff82, vcc_lo
	v_add3_u32 v18, v21, v9, v18
	v_and_b32_e32 v9, 0xfffff, v17
	s_delay_alu instid0(VALU_DEP_2) | instskip(NEXT) | instid1(VALU_DEP_2)
	v_add_nc_u32_e32 v17, 6, v18
	v_add_co_u32 v15, vcc_lo, v9, v15
	v_add_co_ci_u32_e32 v16, vcc_lo, 0, v16, vcc_lo
                                        ; implicit-def: $vgpr9
	s_delay_alu instid0(VALU_DEP_3)
	v_cmpx_ne_u32_e32 0, v17
	s_xor_b32 s0, exec_lo, s0
; %bb.828:                              ;   in Loop: Header=BB11_714 Depth=1
	s_delay_alu instid0(VALU_DEP_2) | instskip(SKIP_1) | instid1(VALU_DEP_1)
	v_cmp_lt_u64_e32 vcc_lo, 0xffffff, v[15:16]
	v_add_nc_u32_e32 v9, 7, v18
	v_cndmask_b32_e32 v9, v17, v9, vcc_lo
	v_cndmask_b32_e64 v17, 0, 1, vcc_lo
	s_delay_alu instid0(VALU_DEP_1)
	v_lshrrev_b64 v[15:16], v17, v[15:16]
; %bb.829:                              ;   in Loop: Header=BB11_714 Depth=1
	s_and_not1_saveexec_b32 s0, s0
; %bb.830:                              ;   in Loop: Header=BB11_714 Depth=1
	s_delay_alu instid0(VALU_DEP_1)
	v_bfe_u32 v9, v15, 23, 1
; %bb.831:                              ;   in Loop: Header=BB11_714 Depth=1
	s_or_b32 exec_lo, exec_lo, s0
	s_delay_alu instid0(VALU_DEP_2) | instskip(NEXT) | instid1(VALU_DEP_2)
	v_lshrrev_b64 v[15:16], 20, v[15:16]
	v_cmp_gt_i32_e32 vcc_lo, 16, v9
	v_cmp_ne_u32_e64 s0, 0, v9
	s_delay_alu instid0(VALU_DEP_3) | instskip(NEXT) | instid1(VALU_DEP_1)
	v_dual_cndmask_b32 v18, 0, v16 :: v_dual_cndmask_b32 v17, 7, v15
                                        ; implicit-def: $vgpr15_vgpr16
	v_cmp_ne_u64_e32 vcc_lo, 0, v[17:18]
	s_delay_alu instid0(VALU_DEP_3) | instskip(NEXT) | instid1(SALU_CYCLE_1)
	s_or_b32 s0, s0, vcc_lo
	s_and_saveexec_b32 s42, s0
	s_delay_alu instid0(SALU_CYCLE_1)
	s_xor_b32 s0, exec_lo, s42
; %bb.832:                              ;   in Loop: Header=BB11_714 Depth=1
	v_min_i32_e32 v9, 15, v9
	s_delay_alu instid0(VALU_DEP_1) | instskip(NEXT) | instid1(VALU_DEP_1)
	v_lshl_or_b32 v3, v9, 3, v3
	v_and_or_b32 v15, v17, 7, v3
                                        ; implicit-def: $vgpr3
; %bb.833:                              ;   in Loop: Header=BB11_714 Depth=1
	s_and_not1_saveexec_b32 s0, s0
; %bb.834:                              ;   in Loop: Header=BB11_714 Depth=1
	v_dual_mov_b32 v16, v4 :: v_dual_mov_b32 v15, v3
; %bb.835:                              ;   in Loop: Header=BB11_714 Depth=1
	s_or_b32 exec_lo, exec_lo, s0
.LBB11_836:                             ;   in Loop: Header=BB11_714 Depth=1
	s_delay_alu instid0(SALU_CYCLE_1)
	s_or_b32 exec_lo, exec_lo, s12
.LBB11_837:                             ;   in Loop: Header=BB11_714 Depth=1
	s_and_not1_saveexec_b32 s0, s11
	s_delay_alu instid0(SALU_CYCLE_1)
	s_or_b32 exec_lo, exec_lo, s0
                                        ; implicit-def: $vgpr16
.LBB11_838:                             ;   in Loop: Header=BB11_714 Depth=1
	s_and_not1_saveexec_b32 s0, s9
; %bb.839:                              ;   in Loop: Header=BB11_714 Depth=1
	v_cmp_eq_u64_e32 vcc_lo, 0, v[9:10]
	v_or_b32_e32 v3, 0x7f, v16
	s_delay_alu instid0(VALU_DEP_1)
	v_cndmask_b32_e32 v15, v3, v15, vcc_lo
; %bb.840:                              ;   in Loop: Header=BB11_714 Depth=1
	s_or_b32 exec_lo, exec_lo, s0
	v_lshrrev_b32_e32 v3, 16, v4
	v_mov_b32_e32 v19, v10
	s_mov_b32 s0, exec_lo
	s_delay_alu instid0(VALU_DEP_2) | instskip(NEXT) | instid1(VALU_DEP_1)
	v_cvt_f32_f16_e32 v3, v3
	v_div_scale_f32 v4, null, s39, s39, v3
	s_delay_alu instid0(VALU_DEP_1) | instskip(SKIP_2) | instid1(VALU_DEP_1)
	v_rcp_f32_e32 v9, v4
	s_waitcnt_depctr 0xfff
	v_fma_f32 v16, -v4, v9, 1.0
	v_fmac_f32_e32 v9, v16, v9
	v_div_scale_f32 v16, vcc_lo, v3, s39, v3
	s_delay_alu instid0(VALU_DEP_1) | instskip(NEXT) | instid1(VALU_DEP_1)
	v_mul_f32_e32 v17, v16, v9
	v_fma_f32 v18, -v4, v17, v16
	s_delay_alu instid0(VALU_DEP_1) | instskip(NEXT) | instid1(VALU_DEP_1)
	v_fmac_f32_e32 v17, v18, v9
	v_fma_f32 v4, -v4, v17, v16
	s_delay_alu instid0(VALU_DEP_1) | instskip(NEXT) | instid1(VALU_DEP_1)
	v_div_fmas_f32 v4, v4, v9, v17
	v_div_fixup_f32 v3, v4, s39, v3
	s_delay_alu instid0(VALU_DEP_1) | instskip(NEXT) | instid1(VALU_DEP_1)
	v_cvt_f16_f32_e32 v3, v3
	v_cvt_f32_f16_e32 v4, v3
	s_delay_alu instid0(VALU_DEP_1) | instskip(SKIP_2) | instid1(VALU_DEP_2)
	v_and_b32_e32 v18, 0x7f800000, v4
	v_lshrrev_b32_e32 v17, 24, v4
	v_and_b32_e32 v9, 0x7fffff, v4
	v_and_b32_e32 v3, 0x80, v17
	s_delay_alu instid0(VALU_DEP_1)
	v_or_b32_e32 v16, 0x7e, v3
	v_cmpx_ne_u64_e32 0x7f800000, v[18:19]
	s_xor_b32 s9, exec_lo, s0
	s_cbranch_execz .LBB11_856
; %bb.841:                              ;   in Loop: Header=BB11_714 Depth=1
	v_dual_mov_b32 v18, v10 :: v_dual_and_b32 v17, 0x7fffffff, v4
	s_mov_b32 s0, exec_lo
	s_delay_alu instid0(VALU_DEP_1)
	v_cmpx_gt_u64_e32 0x43e00001, v[17:18]
	s_xor_b32 s11, exec_lo, s0
	s_cbranch_execz .LBB11_855
; %bb.842:                              ;   in Loop: Header=BB11_714 Depth=1
	s_mov_b32 s12, exec_lo
	v_mov_b32_e32 v16, 0
	v_mov_b32_e32 v17, 0
	v_cmpx_ne_u32_e32 0, v4
	s_cbranch_execz .LBB11_854
; %bb.843:                              ;   in Loop: Header=BB11_714 Depth=1
	v_bfe_u32 v4, v4, 23, 8
	v_or_b32_e32 v18, 0x800000, v9
	s_delay_alu instid0(VALU_DEP_2) | instskip(SKIP_1) | instid1(VALU_DEP_2)
	v_sub_nc_u32_e32 v16, 0x79, v4
	v_cmp_gt_u32_e32 vcc_lo, 0x7a, v4
	v_cndmask_b32_e32 v16, 0, v16, vcc_lo
	v_cmp_eq_u32_e32 vcc_lo, 0, v4
	v_cndmask_b32_e32 v9, v18, v9, vcc_lo
	s_delay_alu instid0(VALU_DEP_3) | instskip(NEXT) | instid1(VALU_DEP_1)
	v_cndmask_b32_e64 v21, v16, 0x78, vcc_lo
	v_add_nc_u32_e32 v16, 20, v21
	v_add_nc_u32_e32 v18, 19, v21
	s_delay_alu instid0(VALU_DEP_2) | instskip(NEXT) | instid1(VALU_DEP_2)
	v_lshlrev_b64 v[16:17], v16, -1
	v_lshlrev_b64 v[18:19], v18, 1
	s_delay_alu instid0(VALU_DEP_2) | instskip(NEXT) | instid1(VALU_DEP_3)
	v_not_b32_e32 v17, v17
	v_not_b32_e32 v16, v16
	s_delay_alu instid0(VALU_DEP_2) | instskip(NEXT) | instid1(VALU_DEP_2)
	v_and_b32_e32 v23, 0, v17
	v_and_b32_e32 v22, v9, v16
	v_lshrrev_b64 v[16:17], v21, v[9:10]
	s_delay_alu instid0(VALU_DEP_2) | instskip(NEXT) | instid1(VALU_DEP_2)
	v_cmp_eq_u64_e64 s0, v[22:23], v[18:19]
	v_dual_mov_b32 v19, v17 :: v_dual_mov_b32 v18, v16
	s_delay_alu instid0(VALU_DEP_2)
	s_and_saveexec_b32 s42, s0
; %bb.844:                              ;   in Loop: Header=BB11_714 Depth=1
	v_bfe_u32 v9, v16, 20, 1
	s_delay_alu instid0(VALU_DEP_1) | instskip(NEXT) | instid1(VALU_DEP_1)
	v_add_co_u32 v9, s0, v16, v9
	v_add_co_u32 v18, s0, v9, -1
; %bb.845:                              ;   in Loop: Header=BB11_714 Depth=1
	s_or_b32 exec_lo, exec_lo, s42
	v_add_nc_u32_e32 v4, 0xffffff81, v4
	v_lshrrev_b32_e32 v9, 23, v16
	s_mov_b32 s0, exec_lo
	s_delay_alu instid0(VALU_DEP_2) | instskip(NEXT) | instid1(VALU_DEP_1)
	v_cndmask_b32_e64 v4, v4, 0xffffff82, vcc_lo
	v_add3_u32 v9, v21, v4, v9
	v_and_b32_e32 v4, 0xfffff, v18
	s_delay_alu instid0(VALU_DEP_2) | instskip(NEXT) | instid1(VALU_DEP_2)
	v_add_nc_u32_e32 v18, 6, v9
	v_add_co_u32 v16, vcc_lo, v4, v16
	v_add_co_ci_u32_e32 v17, vcc_lo, 0, v17, vcc_lo
                                        ; implicit-def: $vgpr4
	s_delay_alu instid0(VALU_DEP_3)
	v_cmpx_ne_u32_e32 0, v18
	s_xor_b32 s0, exec_lo, s0
; %bb.846:                              ;   in Loop: Header=BB11_714 Depth=1
	s_delay_alu instid0(VALU_DEP_2) | instskip(SKIP_2) | instid1(VALU_DEP_2)
	v_cmp_lt_u64_e32 vcc_lo, 0xffffff, v[16:17]
	v_add_nc_u32_e32 v4, 7, v9
	v_cndmask_b32_e64 v9, 0, 1, vcc_lo
	v_cndmask_b32_e32 v4, v18, v4, vcc_lo
	s_delay_alu instid0(VALU_DEP_2)
	v_lshrrev_b64 v[16:17], v9, v[16:17]
; %bb.847:                              ;   in Loop: Header=BB11_714 Depth=1
	s_and_not1_saveexec_b32 s0, s0
; %bb.848:                              ;   in Loop: Header=BB11_714 Depth=1
	s_delay_alu instid0(VALU_DEP_1)
	v_bfe_u32 v4, v16, 23, 1
; %bb.849:                              ;   in Loop: Header=BB11_714 Depth=1
	s_or_b32 exec_lo, exec_lo, s0
	s_delay_alu instid0(VALU_DEP_2) | instskip(NEXT) | instid1(VALU_DEP_2)
	v_lshrrev_b64 v[16:17], 20, v[16:17]
	v_cmp_gt_i32_e32 vcc_lo, 16, v4
	v_cmp_ne_u32_e64 s0, 0, v4
	s_delay_alu instid0(VALU_DEP_3) | instskip(NEXT) | instid1(VALU_DEP_1)
	v_dual_cndmask_b32 v19, 0, v17 :: v_dual_cndmask_b32 v18, 7, v16
                                        ; implicit-def: $vgpr16_vgpr17
	v_cmp_ne_u64_e32 vcc_lo, 0, v[18:19]
	s_delay_alu instid0(VALU_DEP_3) | instskip(NEXT) | instid1(SALU_CYCLE_1)
	s_or_b32 s0, s0, vcc_lo
	s_and_saveexec_b32 s42, s0
	s_delay_alu instid0(SALU_CYCLE_1)
	s_xor_b32 s0, exec_lo, s42
; %bb.850:                              ;   in Loop: Header=BB11_714 Depth=1
	v_min_i32_e32 v4, 15, v4
	s_delay_alu instid0(VALU_DEP_1) | instskip(NEXT) | instid1(VALU_DEP_1)
	v_lshl_or_b32 v3, v4, 3, v3
	v_and_or_b32 v16, v18, 7, v3
                                        ; implicit-def: $vgpr3
; %bb.851:                              ;   in Loop: Header=BB11_714 Depth=1
	s_and_not1_saveexec_b32 s0, s0
; %bb.852:                              ;   in Loop: Header=BB11_714 Depth=1
	v_dual_mov_b32 v17, v4 :: v_dual_mov_b32 v16, v3
; %bb.853:                              ;   in Loop: Header=BB11_714 Depth=1
	s_or_b32 exec_lo, exec_lo, s0
.LBB11_854:                             ;   in Loop: Header=BB11_714 Depth=1
	s_delay_alu instid0(SALU_CYCLE_1)
	s_or_b32 exec_lo, exec_lo, s12
.LBB11_855:                             ;   in Loop: Header=BB11_714 Depth=1
	s_and_not1_saveexec_b32 s0, s11
	s_delay_alu instid0(SALU_CYCLE_1)
	s_or_b32 exec_lo, exec_lo, s0
                                        ; implicit-def: $vgpr17
.LBB11_856:                             ;   in Loop: Header=BB11_714 Depth=1
	s_and_not1_saveexec_b32 s0, s9
	s_cbranch_execz .LBB11_713
; %bb.857:                              ;   in Loop: Header=BB11_714 Depth=1
	v_cmp_eq_u64_e32 vcc_lo, 0, v[9:10]
	v_or_b32_e32 v3, 0x7f, v17
	s_delay_alu instid0(VALU_DEP_1)
	v_cndmask_b32_e32 v16, v3, v16, vcc_lo
	s_branch .LBB11_713
.LBB11_858:
	s_or_b32 exec_lo, exec_lo, s2
	v_lshl_add_u32 v1, s1, 3, v0
	s_mov_b32 s42, exec_lo
	s_delay_alu instid0(VALU_DEP_1)
	v_cmpx_gt_i32_e64 s41, v1
	s_cbranch_execz .LBB11_884
; %bb.859:
	v_cvt_f32_u32_e32 v2, s27
	s_sub_i32 s0, 0, s27
	v_add_nc_u32_e32 v4, s27, v1
	s_cmp_eq_u32 s27, 1
	s_mov_b32 s44, 0
	v_rcp_iflag_f32_e32 v2, v2
	s_delay_alu instid0(VALU_DEP_1) | instskip(SKIP_3) | instid1(VALU_DEP_1)
	v_cmp_gt_i32_e32 vcc_lo, s41, v4
	v_max_i32_e32 v5, s41, v4
	s_waitcnt_depctr 0xfff
	v_mul_f32_e32 v2, 0x4f7ffffe, v2
	v_cvt_u32_f32_e32 v2, v2
	s_delay_alu instid0(VALU_DEP_1) | instskip(SKIP_1) | instid1(VALU_DEP_1)
	v_mul_lo_u32 v3, s0, v2
	v_add_co_ci_u32_e64 v4, s0, s27, v1, vcc_lo
	v_sub_nc_u32_e32 v4, v5, v4
	s_delay_alu instid0(VALU_DEP_3) | instskip(NEXT) | instid1(VALU_DEP_1)
	v_mul_hi_u32 v3, v2, v3
	v_add_nc_u32_e32 v2, v2, v3
	s_delay_alu instid0(VALU_DEP_1) | instskip(NEXT) | instid1(VALU_DEP_1)
	v_mul_hi_u32 v2, v4, v2
	v_mul_lo_u32 v3, v2, s27
	s_delay_alu instid0(VALU_DEP_1) | instskip(SKIP_1) | instid1(VALU_DEP_2)
	v_sub_nc_u32_e32 v3, v4, v3
	v_add_nc_u32_e32 v4, 1, v2
	v_subrev_nc_u32_e32 v5, s27, v3
	v_cmp_le_u32_e64 s0, s27, v3
	s_delay_alu instid0(VALU_DEP_1) | instskip(NEXT) | instid1(VALU_DEP_3)
	v_cndmask_b32_e64 v2, v2, v4, s0
	v_cndmask_b32_e64 v3, v3, v5, s0
	s_delay_alu instid0(VALU_DEP_2) | instskip(NEXT) | instid1(VALU_DEP_2)
	v_add_nc_u32_e32 v4, 1, v2
	v_cmp_le_u32_e64 s0, s27, v3
	s_delay_alu instid0(VALU_DEP_1) | instskip(SKIP_1) | instid1(VALU_DEP_1)
	v_cndmask_b32_e64 v2, v2, v4, s0
	s_cselect_b32 s0, -1, 0
	v_add_co_ci_u32_e32 v6, vcc_lo, 1, v2, vcc_lo
	s_delay_alu instid0(VALU_DEP_1)
	v_cmp_lt_u32_e32 vcc_lo, 1, v6
	s_and_b32 s1, vcc_lo, s0
	s_mov_b32 s0, -1
	s_and_saveexec_b32 s43, s1
	s_cbranch_execz .LBB11_863
; %bb.860:
	v_dual_mov_b32 v4, v1 :: v_dual_and_b32 v7, -2, v6
	s_lshl_b64 s[0:1], s[24:25], 1
	v_mov_b32_e32 v3, 0
	s_add_u32 s45, s5, s0
	s_delay_alu instid0(VALU_DEP_2)
	v_mov_b32_e32 v8, v7
	s_addc_u32 s46, s10, s1
	s_add_u32 s47, s4, s24
	s_addc_u32 s48, s6, s25
	s_mov_b32 s49, s39
.LBB11_861:                             ; =>This Inner Loop Header: Depth=1
	v_ashrrev_i32_e32 v5, 31, v4
	v_add_nc_u32_e32 v8, -2, v8
	s_delay_alu instid0(VALU_DEP_2) | instskip(NEXT) | instid1(VALU_DEP_1)
	v_lshlrev_b64 v[9:10], 1, v[4:5]
	v_add_co_u32 v9, vcc_lo, s45, v9
	s_delay_alu instid0(VALU_DEP_2) | instskip(SKIP_4) | instid1(VALU_DEP_2)
	v_add_co_ci_u32_e32 v10, vcc_lo, s46, v10, vcc_lo
	global_load_b32 v2, v[9:10], off
	s_waitcnt vmcnt(0)
	v_lshrrev_b32_e32 v9, 16, v2
	v_cvt_f32_f16_e32 v2, v2
	v_cvt_f32_f16_e32 v9, v9
	s_delay_alu instid0(VALU_DEP_2) | instskip(SKIP_1) | instid1(VALU_DEP_3)
	v_div_scale_f32 v10, null, s39, s39, v2
	v_div_scale_f32 v16, vcc_lo, v2, s39, v2
	v_div_scale_f32 v11, null, s49, s49, v9
	s_delay_alu instid0(VALU_DEP_3) | instskip(NEXT) | instid1(VALU_DEP_1)
	v_rcp_f32_e32 v12, v10
	v_rcp_f32_e32 v13, v11
	s_waitcnt_depctr 0xfff
	v_fma_f32 v14, -v10, v12, 1.0
	v_fma_f32 v15, -v11, v13, 1.0
	s_delay_alu instid0(VALU_DEP_2) | instskip(SKIP_1) | instid1(VALU_DEP_3)
	v_fmac_f32_e32 v12, v14, v12
	v_div_scale_f32 v14, s0, v9, s49, v9
	v_fmac_f32_e32 v13, v15, v13
	s_delay_alu instid0(VALU_DEP_3) | instskip(NEXT) | instid1(VALU_DEP_2)
	v_mul_f32_e32 v15, v16, v12
	v_mul_f32_e32 v17, v14, v13
	s_delay_alu instid0(VALU_DEP_2) | instskip(NEXT) | instid1(VALU_DEP_1)
	v_fma_f32 v18, -v10, v15, v16
	v_fmac_f32_e32 v15, v18, v12
	s_delay_alu instid0(VALU_DEP_1) | instskip(NEXT) | instid1(VALU_DEP_1)
	v_fma_f32 v10, -v10, v15, v16
	v_div_fmas_f32 v10, v10, v12, v15
	v_mov_b32_e32 v12, v3
	v_fma_f32 v19, -v11, v17, v14
	s_mov_b32 vcc_lo, s0
	s_delay_alu instid0(VALU_DEP_3) | instskip(SKIP_1) | instid1(VALU_DEP_3)
	v_div_fixup_f32 v2, v10, s39, v2
	v_mov_b32_e32 v10, v3
	v_fmac_f32_e32 v17, v19, v13
	s_delay_alu instid0(VALU_DEP_3) | instskip(NEXT) | instid1(VALU_DEP_2)
	v_cvt_f16_f32_e32 v2, v2
	v_fma_f32 v11, -v11, v17, v14
	v_mov_b32_e32 v14, v3
	s_delay_alu instid0(VALU_DEP_3) | instskip(SKIP_1) | instid1(VALU_DEP_4)
	v_cvt_f32_f16_e32 v2, v2
	v_mov_b32_e32 v18, v3
	v_div_fmas_f32 v11, v11, v13, v17
	v_mov_b32_e32 v22, v3
	s_delay_alu instid0(VALU_DEP_4) | instskip(SKIP_1) | instid1(VALU_DEP_4)
	v_dual_mov_b32 v16, v3 :: v_dual_and_b32 v17, 0x7fffffff, v2
	v_bfe_u32 v23, v2, 23, 8
	v_div_fixup_f32 v9, v11, s49, v9
	v_and_b32_e32 v11, 0x7f800000, v2
	v_cmp_ne_u32_e64 s0, 0, v2
	v_cmp_gt_u64_e64 s3, 0x43e00001, v[17:18]
	v_cmp_gt_u32_e64 s12, 0x7a, v23
	v_cvt_f16_f32_e32 v9, v9
	v_cmp_ne_u64_e64 s1, 0x7f800000, v[11:12]
	v_sub_nc_u32_e32 v12, 0x79, v23
	v_lshrrev_b32_e32 v25, 24, v2
	v_cmp_eq_u32_e32 vcc_lo, 0, v2
	v_cvt_f32_f16_e32 v20, v9
	v_dual_mov_b32 v24, v3 :: v_dual_and_b32 v9, 0x7fffff, v2
	s_and_b32 s50, s1, s3
	v_cmp_lt_u64_e64 s2, 0x43e00000, v[17:18]
	s_delay_alu instid0(VALU_DEP_3)
	v_and_b32_e32 v13, 0x7f800000, v20
	v_bfe_u32 v26, v20, 23, 8
	v_and_b32_e32 v2, 0x7fffff, v20
	v_and_b32_e32 v15, 0x7fffffff, v20
	v_cmp_eq_u32_e64 s6, 0, v23
	v_or_b32_e32 v17, 0x800000, v9
	v_cmp_ne_u64_e64 s8, 0x7f800000, v[13:14]
	v_sub_nc_u32_e32 v14, 0x79, v26
	s_and_b32 s51, s50, s0
	v_cmp_gt_u32_e64 s0, 0x7a, v26
	v_cndmask_b32_e64 v12, 0, v12, s12
	v_lshrrev_b32_e32 v27, 24, v20
	v_cmp_eq_u32_e64 s4, 0, v20
	v_cmp_ne_u32_e64 s5, 0, v20
	v_cmp_eq_u64_e64 s7, 0, v[9:10]
	v_cmp_lt_u64_e64 s9, 0x43e00000, v[15:16]
	v_cmp_gt_u64_e64 s10, 0x43e00001, v[15:16]
	v_cmp_eq_u32_e64 s11, 0, v26
	v_or_b32_e32 v15, 0x800000, v2
	v_cndmask_b32_e64 v20, v17, v9, s6
	v_cndmask_b32_e64 v9, 0, v14, s0
	v_dual_mov_b32 v19, v3 :: v_dual_and_b32 v28, 0x80, v25
	v_cndmask_b32_e64 v30, v12, 0x78, s6
	v_cmp_eq_u64_e64 s12, 0, v[2:3]
	v_cndmask_b32_e64 v18, v15, v2, s11
	v_cndmask_b32_e64 v2, v9, 0x78, s11
	v_or_b32_e32 v25, 0x7f, v25
	v_or_b32_e32 v10, 0x7e, v28
	v_add_nc_u32_e32 v9, 20, v30
	s_and_b32 s1, s1, s2
	v_dual_mov_b32 v21, v3 :: v_dual_add_nc_u32 v12, 20, v2
	s_or_b32 s0, s1, s7
	v_add_nc_u32_e32 v11, 0xffffff81, v23
	v_add_nc_u32_e32 v13, 0xffffff81, v26
	v_cndmask_b32_e64 v32, v25, v10, s0
	v_lshlrev_b64 v[9:10], v9, -1
	v_add_nc_u32_e32 v14, 19, v30
	v_cndmask_b32_e64 v23, v11, 0xffffff82, s6
	v_cndmask_b32_e64 v31, v13, 0xffffff82, s11
	v_lshrrev_b64 v[10:11], v30, v[20:21]
	v_lshlrev_b64 v[12:13], v12, -1
	v_add_nc_u32_e32 v21, 19, v2
	v_not_b32_e32 v9, v9
	v_lshlrev_b64 v[13:14], v14, 1
	v_lshrrev_b64 v[15:16], v2, v[18:19]
	v_lshrrev_b32_e32 v19, 23, v10
	v_not_b32_e32 v12, v12
	v_lshlrev_b64 v[25:26], v21, 1
	v_and_b32_e32 v21, v20, v9
	v_bfe_u32 v33, v10, 20, 1
	v_add3_u32 v19, v30, v23, v19
	v_and_b32_e32 v23, v18, v12
	v_lshrrev_b32_e32 v9, 23, v15
	v_cmp_ne_u64_e64 s0, v[21:22], v[13:14]
	v_bfe_u32 v12, v15, 20, 1
	v_add3_u32 v13, v10, v33, -1
	v_cmp_ne_u64_e64 s1, v[23:24], v[25:26]
	s_and_b32 s6, s8, s10
	v_add3_u32 v2, v2, v31, v9
	s_and_b32 s0, s51, s0
	v_add3_u32 v9, v15, v12, -1
	s_and_b32 s5, s6, s5
	v_cndmask_b32_e64 v12, v13, v10, s0
	s_and_b32 s0, s5, s1
	v_add_nc_u32_e32 v14, 6, v19
	v_cndmask_b32_e64 v9, v9, v15, s0
	v_add_nc_u32_e32 v13, 7, v19
	v_and_b32_e32 v12, 0xfffff, v12
	v_and_b32_e32 v29, 0x80, v27
	v_add_nc_u32_e32 v18, 6, v2
	v_and_b32_e32 v19, 0xfffff, v9
	v_cmp_ne_u32_e64 s0, 0, v14
	v_add_co_u32 v9, s1, v12, v10
	s_delay_alu instid0(VALU_DEP_1) | instskip(NEXT) | instid1(VALU_DEP_4)
	v_add_co_ci_u32_e64 v10, s1, 0, v11, s1
	v_add_co_u32 v11, s1, v19, v15
	s_delay_alu instid0(VALU_DEP_1) | instskip(NEXT) | instid1(VALU_DEP_3)
	v_add_co_ci_u32_e64 v12, s1, 0, v16, s1
	v_cmp_lt_u64_e64 s2, 0xffffff, v[9:10]
	v_add_nc_u32_e32 v2, 7, v2
	v_cmp_ne_u32_e64 s1, 0, v18
	s_delay_alu instid0(VALU_DEP_4)
	v_cmp_lt_u64_e64 s3, 0xffffff, v[11:12]
	s_and_b32 s0, s51, s0
	v_bfe_u32 v15, v11, 23, 1
	v_cndmask_b32_e64 v13, v14, v13, s2
	v_bfe_u32 v14, v9, 23, 1
	v_or_b32_e32 v17, 0x7f, v27
	v_cndmask_b32_e64 v2, v18, v2, s3
	v_or_b32_e32 v27, 0x7e, v29
	s_delay_alu instid0(VALU_DEP_4) | instskip(SKIP_1) | instid1(SALU_CYCLE_1)
	v_cndmask_b32_e64 v13, v14, v13, s0
	s_and_b32 s0, s0, s2
	v_cndmask_b32_e64 v14, 0, 1, s0
	s_and_b32 s0, s5, s1
	s_delay_alu instid0(VALU_DEP_2)
	v_min_i32_e32 v16, 15, v13
	v_cndmask_b32_e64 v2, v15, v2, s0
	s_and_b32 s0, s0, s3
	v_lshrrev_b64 v[9:10], v14, v[9:10]
	v_cndmask_b32_e64 v15, 0, 1, s0
	s_and_b32 s0, s8, s9
	v_cmp_eq_u32_e64 s2, 0, v2
	s_or_b32 s0, s0, s12
	v_lshl_or_b32 v16, v16, 3, v28
	v_lshrrev_b64 v[11:12], v15, v[11:12]
	v_cndmask_b32_e64 v14, v17, v27, s0
	s_and_b32 s0, s50, vcc_lo
	v_lshrrev_b64 v[9:10], 20, v[9:10]
	v_cndmask_b32_e64 v15, v32, 0, s0
	s_and_b32 s0, s6, s4
	v_cmp_gt_i32_e32 vcc_lo, 16, v13
	v_lshrrev_b64 v[11:12], 20, v[11:12]
	v_cndmask_b32_e64 v14, v14, 0, s0
	v_cmp_gt_i32_e64 s0, 16, v2
	v_min_i32_e32 v17, 15, v2
	v_dual_cndmask_b32 v10, 0, v10 :: v_dual_cndmask_b32 v9, 7, v9
	s_delay_alu instid0(VALU_DEP_3) | instskip(SKIP_2) | instid1(VALU_DEP_4)
	v_cndmask_b32_e64 v12, 0, v12, s0
	v_cndmask_b32_e64 v11, 7, v11, s0
	v_cmp_eq_u32_e64 s0, 0, v13
	v_cmp_eq_u64_e32 vcc_lo, 0, v[9:10]
	v_lshl_or_b32 v10, v17, 3, v29
	v_and_or_b32 v2, v9, 7, v16
	v_cmp_eq_u64_e64 s1, 0, v[11:12]
	s_and_b32 s0, s0, vcc_lo
	s_delay_alu instid0(VALU_DEP_3) | instskip(SKIP_1) | instid1(VALU_DEP_2)
	v_and_or_b32 v9, v11, 7, v10
	s_and_b32 vcc_lo, s51, s0
	s_and_b32 s1, s2, s1
	v_cndmask_b32_e32 v10, v15, v28, vcc_lo
	s_and_b32 vcc_lo, s5, s1
	s_xor_b32 s3, s0, -1
	v_cndmask_b32_e32 v11, v14, v29, vcc_lo
	s_xor_b32 s0, s1, -1
	s_and_b32 vcc_lo, s51, s3
	v_cndmask_b32_e32 v2, v10, v2, vcc_lo
	s_and_b32 vcc_lo, s5, s0
	v_cndmask_b32_e32 v9, v11, v9, vcc_lo
	v_cmp_eq_u32_e32 vcc_lo, 0, v8
	s_delay_alu instid0(VALU_DEP_3) | instskip(NEXT) | instid1(VALU_DEP_3)
	v_and_b32_e32 v2, 0xff, v2
	v_lshlrev_b16 v11, 8, v9
	v_add_co_u32 v9, s0, s47, v4
	s_delay_alu instid0(VALU_DEP_1) | instskip(NEXT) | instid1(VALU_DEP_3)
	v_add_co_ci_u32_e64 v10, s0, s48, v5, s0
	v_or_b32_e32 v2, v2, v11
	v_add_nc_u32_e32 v4, 2, v4
	s_or_b32 s44, vcc_lo, s44
	global_store_b16 v[9:10], v2, off
	s_and_not1_b32 exec_lo, exec_lo, s44
	s_cbranch_execnz .LBB11_861
; %bb.862:
	s_or_b32 exec_lo, exec_lo, s44
	v_cmp_ne_u32_e32 vcc_lo, v6, v7
	v_add_nc_u32_e32 v1, v1, v7
	s_or_not1_b32 s0, vcc_lo, exec_lo
.LBB11_863:
	s_or_b32 exec_lo, exec_lo, s43
	s_delay_alu instid0(SALU_CYCLE_1)
	s_and_b32 exec_lo, exec_lo, s0
	s_cbranch_execz .LBB11_884
; %bb.864:
	v_ashrrev_i32_e32 v2, 31, v1
	s_lshl_b64 s[0:1], s[24:25], 1
	v_mov_b32_e32 v3, 0
	s_add_u32 s0, s28, s0
	s_addc_u32 s1, s29, s1
	v_lshlrev_b64 v[4:5], 1, v[1:2]
	s_add_u32 s0, s16, s0
	s_addc_u32 s1, s17, s1
	s_mov_b32 s4, 0
	s_delay_alu instid0(VALU_DEP_1) | instskip(NEXT) | instid1(VALU_DEP_2)
	v_add_co_u32 v4, vcc_lo, s0, v4
	v_add_co_ci_u32_e32 v5, vcc_lo, s1, v5, vcc_lo
	s_lshl_b32 s1, s27, 1
	s_add_u32 s0, s24, s30
	s_addc_u32 s2, s25, s31
	s_add_u32 s0, s0, s34
	s_addc_u32 s2, s2, s33
	;; [unrolled: 2-line block ×3, first 2 shown]
	v_add_co_u32 v10, vcc_lo, s0, v1
	v_add_co_ci_u32_e32 v11, vcc_lo, s2, v2, vcc_lo
	s_mov_b64 s[2:3], 0
	s_branch .LBB11_866
.LBB11_865:                             ;   in Loop: Header=BB11_866 Depth=1
	s_or_b32 exec_lo, exec_lo, s0
	v_add_co_u32 v8, vcc_lo, v10, s2
	s_add_u32 s2, s2, s27
	v_add_co_ci_u32_e32 v9, vcc_lo, s3, v11, vcc_lo
	v_add_nc_u32_e32 v2, s2, v1
	v_add_co_u32 v4, s0, v4, s1
	s_delay_alu instid0(VALU_DEP_1) | instskip(NEXT) | instid1(VALU_DEP_3)
	v_add_co_ci_u32_e64 v5, s0, 0, v5, s0
	v_cmp_le_i32_e32 vcc_lo, s41, v2
	s_addc_u32 s3, s3, 0
	global_store_b8 v[8:9], v7, off
	s_or_b32 s4, vcc_lo, s4
	s_delay_alu instid0(SALU_CYCLE_1)
	s_and_not1_b32 exec_lo, exec_lo, s4
	s_cbranch_execz .LBB11_884
.LBB11_866:                             ; =>This Inner Loop Header: Depth=1
	global_load_u16 v2, v[4:5], off
	s_mov_b32 s0, exec_lo
	v_mov_b32_e32 v14, v3
	s_waitcnt vmcnt(0)
	v_cvt_f32_f16_e32 v2, v2
	s_delay_alu instid0(VALU_DEP_1) | instskip(NEXT) | instid1(VALU_DEP_1)
	v_div_scale_f32 v6, null, s39, s39, v2
	v_rcp_f32_e32 v7, v6
	s_waitcnt_depctr 0xfff
	v_fma_f32 v8, -v6, v7, 1.0
	s_delay_alu instid0(VALU_DEP_1) | instskip(SKIP_1) | instid1(VALU_DEP_1)
	v_fmac_f32_e32 v7, v8, v7
	v_div_scale_f32 v8, vcc_lo, v2, s39, v2
	v_mul_f32_e32 v9, v8, v7
	s_delay_alu instid0(VALU_DEP_1) | instskip(NEXT) | instid1(VALU_DEP_1)
	v_fma_f32 v12, -v6, v9, v8
	v_fmac_f32_e32 v9, v12, v7
	s_delay_alu instid0(VALU_DEP_1) | instskip(NEXT) | instid1(VALU_DEP_1)
	v_fma_f32 v6, -v6, v9, v8
	v_div_fmas_f32 v6, v6, v7, v9
	s_delay_alu instid0(VALU_DEP_1) | instskip(NEXT) | instid1(VALU_DEP_1)
	v_div_fixup_f32 v2, v6, s39, v2
	v_cvt_f16_f32_e32 v2, v2
	s_delay_alu instid0(VALU_DEP_1) | instskip(NEXT) | instid1(VALU_DEP_1)
	v_cvt_f32_f16_e32 v6, v2
	v_and_b32_e32 v2, 0x7fffff, v6
	v_lshrrev_b32_e32 v8, 24, v6
	v_and_b32_e32 v13, 0x7f800000, v6
	s_delay_alu instid0(VALU_DEP_2) | instskip(NEXT) | instid1(VALU_DEP_1)
	v_and_b32_e32 v12, 0x80, v8
	v_or_b32_e32 v7, 0x7e, v12
	s_delay_alu instid0(VALU_DEP_3)
	v_cmpx_ne_u64_e32 0x7f800000, v[13:14]
	s_xor_b32 s5, exec_lo, s0
	s_cbranch_execz .LBB11_882
; %bb.867:                              ;   in Loop: Header=BB11_866 Depth=1
	v_dual_mov_b32 v9, v3 :: v_dual_and_b32 v8, 0x7fffffff, v6
	s_mov_b32 s0, exec_lo
	s_delay_alu instid0(VALU_DEP_1)
	v_cmpx_gt_u64_e32 0x43e00001, v[8:9]
	s_xor_b32 s6, exec_lo, s0
	s_cbranch_execz .LBB11_881
; %bb.868:                              ;   in Loop: Header=BB11_866 Depth=1
	v_mov_b32_e32 v7, 0
	s_mov_b32 s7, exec_lo
	v_cmpx_ne_u32_e32 0, v6
	s_cbranch_execz .LBB11_880
; %bb.869:                              ;   in Loop: Header=BB11_866 Depth=1
	v_bfe_u32 v13, v6, 23, 8
	v_or_b32_e32 v8, 0x800000, v2
	s_delay_alu instid0(VALU_DEP_2) | instskip(SKIP_1) | instid1(VALU_DEP_2)
	v_sub_nc_u32_e32 v6, 0x79, v13
	v_cmp_gt_u32_e32 vcc_lo, 0x7a, v13
	v_cndmask_b32_e32 v6, 0, v6, vcc_lo
	v_cmp_eq_u32_e32 vcc_lo, 0, v13
	s_delay_alu instid0(VALU_DEP_2) | instskip(SKIP_1) | instid1(VALU_DEP_2)
	v_cndmask_b32_e64 v14, v6, 0x78, vcc_lo
	v_cndmask_b32_e32 v2, v8, v2, vcc_lo
	v_add_nc_u32_e32 v6, 20, v14
	v_add_nc_u32_e32 v8, 19, v14
	s_delay_alu instid0(VALU_DEP_2) | instskip(NEXT) | instid1(VALU_DEP_2)
	v_lshlrev_b64 v[6:7], v6, -1
	v_lshlrev_b64 v[8:9], v8, 1
	s_delay_alu instid0(VALU_DEP_2) | instskip(NEXT) | instid1(VALU_DEP_3)
	v_not_b32_e32 v7, v7
	v_not_b32_e32 v6, v6
	s_delay_alu instid0(VALU_DEP_2) | instskip(NEXT) | instid1(VALU_DEP_2)
	v_and_b32_e32 v16, 0, v7
	v_and_b32_e32 v15, v2, v6
	v_lshrrev_b64 v[6:7], v14, v[2:3]
	s_delay_alu instid0(VALU_DEP_2) | instskip(NEXT) | instid1(VALU_DEP_2)
	v_cmp_eq_u64_e64 s0, v[15:16], v[8:9]
	v_dual_mov_b32 v9, v7 :: v_dual_mov_b32 v8, v6
	s_delay_alu instid0(VALU_DEP_2)
	s_and_saveexec_b32 s8, s0
; %bb.870:                              ;   in Loop: Header=BB11_866 Depth=1
	v_bfe_u32 v2, v6, 20, 1
	s_delay_alu instid0(VALU_DEP_1) | instskip(NEXT) | instid1(VALU_DEP_1)
	v_add_co_u32 v2, s0, v6, v2
	v_add_co_u32 v8, s0, v2, -1
; %bb.871:                              ;   in Loop: Header=BB11_866 Depth=1
	s_or_b32 exec_lo, exec_lo, s8
	v_add_nc_u32_e32 v2, 0xffffff81, v13
	v_lshrrev_b32_e32 v9, 23, v6
	s_mov_b32 s0, exec_lo
	s_delay_alu instid0(VALU_DEP_2) | instskip(NEXT) | instid1(VALU_DEP_1)
	v_cndmask_b32_e64 v2, v2, 0xffffff82, vcc_lo
	v_add3_u32 v9, v14, v2, v9
	v_and_b32_e32 v2, 0xfffff, v8
	s_delay_alu instid0(VALU_DEP_2) | instskip(NEXT) | instid1(VALU_DEP_2)
	v_add_nc_u32_e32 v8, 6, v9
	v_add_co_u32 v6, vcc_lo, v2, v6
	v_add_co_ci_u32_e32 v7, vcc_lo, 0, v7, vcc_lo
                                        ; implicit-def: $vgpr2
	s_delay_alu instid0(VALU_DEP_3)
	v_cmpx_ne_u32_e32 0, v8
	s_xor_b32 s0, exec_lo, s0
; %bb.872:                              ;   in Loop: Header=BB11_866 Depth=1
	s_delay_alu instid0(VALU_DEP_2) | instskip(SKIP_1) | instid1(VALU_DEP_1)
	v_cmp_lt_u64_e32 vcc_lo, 0xffffff, v[6:7]
	v_add_nc_u32_e32 v2, 7, v9
	v_cndmask_b32_e32 v2, v8, v2, vcc_lo
	v_cndmask_b32_e64 v8, 0, 1, vcc_lo
	s_delay_alu instid0(VALU_DEP_1)
	v_lshrrev_b64 v[6:7], v8, v[6:7]
; %bb.873:                              ;   in Loop: Header=BB11_866 Depth=1
	s_and_not1_saveexec_b32 s0, s0
; %bb.874:                              ;   in Loop: Header=BB11_866 Depth=1
	s_delay_alu instid0(VALU_DEP_1)
	v_bfe_u32 v2, v6, 23, 1
; %bb.875:                              ;   in Loop: Header=BB11_866 Depth=1
	s_or_b32 exec_lo, exec_lo, s0
	s_delay_alu instid0(VALU_DEP_2) | instskip(NEXT) | instid1(VALU_DEP_2)
	v_lshrrev_b64 v[6:7], 20, v[6:7]
	v_cmp_gt_i32_e32 vcc_lo, 16, v2
	v_cmp_ne_u32_e64 s0, 0, v2
	s_delay_alu instid0(VALU_DEP_3) | instskip(NEXT) | instid1(VALU_DEP_1)
	v_dual_cndmask_b32 v7, 0, v7 :: v_dual_cndmask_b32 v6, 7, v6
	v_cmp_ne_u64_e32 vcc_lo, 0, v[6:7]
                                        ; implicit-def: $vgpr7
	s_delay_alu instid0(VALU_DEP_3) | instskip(NEXT) | instid1(SALU_CYCLE_1)
	s_or_b32 s0, s0, vcc_lo
	s_and_saveexec_b32 s8, s0
	s_delay_alu instid0(SALU_CYCLE_1)
	s_xor_b32 s0, exec_lo, s8
; %bb.876:                              ;   in Loop: Header=BB11_866 Depth=1
	v_min_i32_e32 v2, 15, v2
	s_delay_alu instid0(VALU_DEP_1) | instskip(NEXT) | instid1(VALU_DEP_1)
	v_lshl_or_b32 v2, v2, 3, v12
                                        ; implicit-def: $vgpr12
	v_and_or_b32 v7, v6, 7, v2
; %bb.877:                              ;   in Loop: Header=BB11_866 Depth=1
	s_and_not1_saveexec_b32 s0, s0
; %bb.878:                              ;   in Loop: Header=BB11_866 Depth=1
	v_mov_b32_e32 v7, v12
; %bb.879:                              ;   in Loop: Header=BB11_866 Depth=1
	s_or_b32 exec_lo, exec_lo, s0
.LBB11_880:                             ;   in Loop: Header=BB11_866 Depth=1
	s_delay_alu instid0(SALU_CYCLE_1)
	s_or_b32 exec_lo, exec_lo, s7
.LBB11_881:                             ;   in Loop: Header=BB11_866 Depth=1
	s_and_not1_saveexec_b32 s0, s6
	s_delay_alu instid0(SALU_CYCLE_1)
	s_or_b32 exec_lo, exec_lo, s0
                                        ; implicit-def: $vgpr8
.LBB11_882:                             ;   in Loop: Header=BB11_866 Depth=1
	s_and_not1_saveexec_b32 s0, s5
	s_cbranch_execz .LBB11_865
; %bb.883:                              ;   in Loop: Header=BB11_866 Depth=1
	v_cmp_eq_u64_e32 vcc_lo, 0, v[2:3]
	v_or_b32_e32 v6, 0x7f, v8
	s_delay_alu instid0(VALU_DEP_1)
	v_cndmask_b32_e32 v7, v6, v7, vcc_lo
	s_branch .LBB11_865
.LBB11_884:
	s_or_b32 exec_lo, exec_lo, s42
	s_mov_b32 s0, 0
.LBB11_885:
	s_delay_alu instid0(SALU_CYCLE_1)
	s_and_b32 vcc_lo, exec_lo, s0
	s_cbranch_vccz .LBB11_1034
; %bb.886:
	s_ashr_i32 s1, s13, 3
	s_mov_b32 s2, exec_lo
	v_cmpx_gt_i32_e64 s1, v0
	s_cbranch_execz .LBB11_1033
; %bb.887:
	v_dual_mov_b32 v10, 0 :: v_dual_lshlrev_b32 v1, 3, v0
	s_add_u32 s0, s30, s34
	s_addc_u32 s3, s31, s33
	s_add_u32 s0, s20, s0
	s_addc_u32 s3, s21, s3
	v_add_co_u32 v5, s0, s0, v1
	v_dual_mov_b32 v20, v0 :: v_dual_lshlrev_b32 v1, 4, v0
	v_add_co_ci_u32_e64 v6, null, s3, 0, s0
	s_lshl_b32 s3, s27, 3
	s_add_u32 s0, s16, s28
	s_addc_u32 s4, s17, s29
	v_add_co_u32 v7, s0, s0, v1
	s_delay_alu instid0(VALU_DEP_1)
	v_add_co_ci_u32_e64 v8, null, s4, 0, s0
	s_mov_b32 s4, 0
	s_lshl_b32 s5, s27, 4
	s_branch .LBB11_889
.LBB11_888:                             ;   in Loop: Header=BB11_889 Depth=1
	s_or_b32 exec_lo, exec_lo, s0
	v_lshlrev_b32_e32 v3, 16, v15
	v_lshlrev_b32_e32 v4, 16, v13
	;; [unrolled: 1-line block ×5, first 2 shown]
	v_and_b32_e32 v3, 0xff0000, v3
	v_perm_b32 v1, v1, v4, 0x4020c0c
	v_and_b32_e32 v4, 0xff, v14
	v_and_b32_e32 v11, 0xff, v11
	;; [unrolled: 1-line block ×3, first 2 shown]
	v_or_b32_e32 v3, v9, v3
	v_and_or_b32 v1, 0xff00, v12, v1
	v_add_nc_u32_e32 v20, s27, v20
	s_delay_alu instid0(VALU_DEP_3) | instskip(NEXT) | instid1(VALU_DEP_3)
	v_or3_b32 v2, v3, v2, v4
	v_or_b32_e32 v1, v1, v11
	s_delay_alu instid0(VALU_DEP_3) | instskip(SKIP_2) | instid1(VALU_DEP_1)
	v_cmp_le_i32_e32 vcc_lo, s1, v20
	global_store_b64 v[5:6], v[1:2], off
	v_add_co_u32 v5, s0, v5, s3
	v_add_co_ci_u32_e64 v6, s0, 0, v6, s0
	v_add_co_u32 v7, s0, v7, s5
	s_delay_alu instid0(VALU_DEP_1) | instskip(SKIP_1) | instid1(SALU_CYCLE_1)
	v_add_co_ci_u32_e64 v8, s0, 0, v8, s0
	s_or_b32 s4, vcc_lo, s4
	s_and_not1_b32 exec_lo, exec_lo, s4
	s_cbranch_execz .LBB11_1033
.LBB11_889:                             ; =>This Inner Loop Header: Depth=1
	global_load_b128 v[1:4], v[7:8], off
	s_mov_b32 s0, exec_lo
	s_waitcnt vmcnt(0)
	v_cvt_f32_f16_e32 v9, v1
	s_delay_alu instid0(VALU_DEP_1) | instskip(NEXT) | instid1(VALU_DEP_1)
	v_div_scale_f32 v11, null, s39, s39, v9
	v_rcp_f32_e32 v12, v11
	s_waitcnt_depctr 0xfff
	v_fma_f32 v13, -v11, v12, 1.0
	s_delay_alu instid0(VALU_DEP_1) | instskip(SKIP_1) | instid1(VALU_DEP_1)
	v_fmac_f32_e32 v12, v13, v12
	v_div_scale_f32 v13, vcc_lo, v9, s39, v9
	v_mul_f32_e32 v14, v13, v12
	s_delay_alu instid0(VALU_DEP_1) | instskip(NEXT) | instid1(VALU_DEP_1)
	v_fma_f32 v15, -v11, v14, v13
	v_fmac_f32_e32 v14, v15, v12
	s_delay_alu instid0(VALU_DEP_1) | instskip(NEXT) | instid1(VALU_DEP_1)
	v_fma_f32 v11, -v11, v14, v13
	v_div_fmas_f32 v11, v11, v12, v14
	s_delay_alu instid0(VALU_DEP_1) | instskip(NEXT) | instid1(VALU_DEP_1)
	v_div_fixup_f32 v9, v11, s39, v9
	v_cvt_f16_f32_e32 v9, v9
	s_delay_alu instid0(VALU_DEP_1) | instskip(NEXT) | instid1(VALU_DEP_1)
	v_cvt_f32_f16_e32 v14, v9
	v_and_b32_e32 v15, 0x7f800000, v14
	v_lshrrev_b32_e32 v12, 24, v14
	v_dual_mov_b32 v16, v10 :: v_dual_and_b32 v9, 0x7fffff, v14
	s_delay_alu instid0(VALU_DEP_2) | instskip(NEXT) | instid1(VALU_DEP_1)
	v_and_b32_e32 v13, 0x80, v12
	v_or_b32_e32 v11, 0x7e, v13
	s_delay_alu instid0(VALU_DEP_3)
	v_cmpx_ne_u64_e32 0x7f800000, v[15:16]
	s_xor_b32 s6, exec_lo, s0
	s_cbranch_execz .LBB11_905
; %bb.890:                              ;   in Loop: Header=BB11_889 Depth=1
	v_dual_mov_b32 v16, v10 :: v_dual_and_b32 v15, 0x7fffffff, v14
	s_mov_b32 s0, exec_lo
	s_delay_alu instid0(VALU_DEP_1)
	v_cmpx_gt_u64_e32 0x43e00001, v[15:16]
	s_xor_b32 s7, exec_lo, s0
	s_cbranch_execz .LBB11_904
; %bb.891:                              ;   in Loop: Header=BB11_889 Depth=1
	s_mov_b32 s8, exec_lo
	v_mov_b32_e32 v11, 0
	v_mov_b32_e32 v12, 0
	v_cmpx_ne_u32_e32 0, v14
	s_cbranch_execz .LBB11_903
; %bb.892:                              ;   in Loop: Header=BB11_889 Depth=1
	v_bfe_u32 v16, v14, 23, 8
	v_or_b32_e32 v14, 0x800000, v9
	s_delay_alu instid0(VALU_DEP_2) | instskip(SKIP_1) | instid1(VALU_DEP_2)
	v_sub_nc_u32_e32 v11, 0x79, v16
	v_cmp_gt_u32_e32 vcc_lo, 0x7a, v16
	v_cndmask_b32_e32 v11, 0, v11, vcc_lo
	v_cmp_eq_u32_e32 vcc_lo, 0, v16
	s_delay_alu instid0(VALU_DEP_2) | instskip(SKIP_1) | instid1(VALU_DEP_2)
	v_cndmask_b32_e64 v17, v11, 0x78, vcc_lo
	v_cndmask_b32_e32 v9, v14, v9, vcc_lo
	v_add_nc_u32_e32 v11, 20, v17
	v_add_nc_u32_e32 v14, 19, v17
	s_delay_alu instid0(VALU_DEP_2) | instskip(NEXT) | instid1(VALU_DEP_2)
	v_lshlrev_b64 v[11:12], v11, -1
	v_lshlrev_b64 v[14:15], v14, 1
	s_delay_alu instid0(VALU_DEP_2) | instskip(NEXT) | instid1(VALU_DEP_3)
	v_not_b32_e32 v12, v12
	v_not_b32_e32 v11, v11
	s_delay_alu instid0(VALU_DEP_2) | instskip(NEXT) | instid1(VALU_DEP_2)
	v_and_b32_e32 v19, 0, v12
	v_and_b32_e32 v18, v9, v11
	v_lshrrev_b64 v[11:12], v17, v[9:10]
	s_delay_alu instid0(VALU_DEP_2) | instskip(NEXT) | instid1(VALU_DEP_2)
	v_cmp_eq_u64_e64 s0, v[18:19], v[14:15]
	v_dual_mov_b32 v15, v12 :: v_dual_mov_b32 v14, v11
	s_delay_alu instid0(VALU_DEP_2)
	s_and_saveexec_b32 s9, s0
; %bb.893:                              ;   in Loop: Header=BB11_889 Depth=1
	v_bfe_u32 v9, v11, 20, 1
	s_delay_alu instid0(VALU_DEP_1) | instskip(NEXT) | instid1(VALU_DEP_1)
	v_add_co_u32 v9, s0, v11, v9
	v_add_co_u32 v14, s0, v9, -1
; %bb.894:                              ;   in Loop: Header=BB11_889 Depth=1
	s_or_b32 exec_lo, exec_lo, s9
	v_add_nc_u32_e32 v9, 0xffffff81, v16
	v_lshrrev_b32_e32 v15, 23, v11
	s_mov_b32 s0, exec_lo
	s_delay_alu instid0(VALU_DEP_2) | instskip(NEXT) | instid1(VALU_DEP_1)
	v_cndmask_b32_e64 v9, v9, 0xffffff82, vcc_lo
	v_add3_u32 v15, v17, v9, v15
	v_and_b32_e32 v9, 0xfffff, v14
	s_delay_alu instid0(VALU_DEP_2) | instskip(NEXT) | instid1(VALU_DEP_2)
	v_add_nc_u32_e32 v14, 6, v15
	v_add_co_u32 v11, vcc_lo, v9, v11
	v_add_co_ci_u32_e32 v12, vcc_lo, 0, v12, vcc_lo
                                        ; implicit-def: $vgpr9
	s_delay_alu instid0(VALU_DEP_3)
	v_cmpx_ne_u32_e32 0, v14
	s_xor_b32 s0, exec_lo, s0
; %bb.895:                              ;   in Loop: Header=BB11_889 Depth=1
	s_delay_alu instid0(VALU_DEP_2) | instskip(SKIP_1) | instid1(VALU_DEP_1)
	v_cmp_lt_u64_e32 vcc_lo, 0xffffff, v[11:12]
	v_add_nc_u32_e32 v9, 7, v15
	v_cndmask_b32_e32 v9, v14, v9, vcc_lo
	v_cndmask_b32_e64 v14, 0, 1, vcc_lo
	s_delay_alu instid0(VALU_DEP_1)
	v_lshrrev_b64 v[11:12], v14, v[11:12]
; %bb.896:                              ;   in Loop: Header=BB11_889 Depth=1
	s_and_not1_saveexec_b32 s0, s0
; %bb.897:                              ;   in Loop: Header=BB11_889 Depth=1
	s_delay_alu instid0(VALU_DEP_1)
	v_bfe_u32 v9, v11, 23, 1
; %bb.898:                              ;   in Loop: Header=BB11_889 Depth=1
	s_or_b32 exec_lo, exec_lo, s0
	s_delay_alu instid0(VALU_DEP_2) | instskip(NEXT) | instid1(VALU_DEP_2)
	v_lshrrev_b64 v[11:12], 20, v[11:12]
	v_cmp_gt_i32_e32 vcc_lo, 16, v9
	v_cmp_ne_u32_e64 s0, 0, v9
	s_delay_alu instid0(VALU_DEP_3) | instskip(NEXT) | instid1(VALU_DEP_1)
	v_dual_cndmask_b32 v15, 0, v12 :: v_dual_cndmask_b32 v14, 7, v11
                                        ; implicit-def: $vgpr11_vgpr12
	v_cmp_ne_u64_e32 vcc_lo, 0, v[14:15]
	s_delay_alu instid0(VALU_DEP_3) | instskip(NEXT) | instid1(SALU_CYCLE_1)
	s_or_b32 s0, s0, vcc_lo
	s_and_saveexec_b32 s9, s0
	s_delay_alu instid0(SALU_CYCLE_1)
	s_xor_b32 s0, exec_lo, s9
; %bb.899:                              ;   in Loop: Header=BB11_889 Depth=1
	v_min_i32_e32 v9, 15, v9
	s_delay_alu instid0(VALU_DEP_1) | instskip(NEXT) | instid1(VALU_DEP_1)
	v_lshl_or_b32 v9, v9, 3, v13
                                        ; implicit-def: $vgpr13
	v_and_or_b32 v11, v14, 7, v9
; %bb.900:                              ;   in Loop: Header=BB11_889 Depth=1
	s_and_not1_saveexec_b32 s0, s0
; %bb.901:                              ;   in Loop: Header=BB11_889 Depth=1
	v_dual_mov_b32 v11, v13 :: v_dual_mov_b32 v12, v14
; %bb.902:                              ;   in Loop: Header=BB11_889 Depth=1
	s_or_b32 exec_lo, exec_lo, s0
.LBB11_903:                             ;   in Loop: Header=BB11_889 Depth=1
	s_delay_alu instid0(SALU_CYCLE_1)
	s_or_b32 exec_lo, exec_lo, s8
.LBB11_904:                             ;   in Loop: Header=BB11_889 Depth=1
	s_and_not1_saveexec_b32 s0, s7
	s_delay_alu instid0(SALU_CYCLE_1)
	s_or_b32 exec_lo, exec_lo, s0
                                        ; implicit-def: $vgpr12
.LBB11_905:                             ;   in Loop: Header=BB11_889 Depth=1
	s_and_not1_saveexec_b32 s0, s6
; %bb.906:                              ;   in Loop: Header=BB11_889 Depth=1
	v_cmp_eq_u64_e32 vcc_lo, 0, v[9:10]
	v_or_b32_e32 v12, 0x7f, v12
	s_delay_alu instid0(VALU_DEP_1)
	v_cndmask_b32_e32 v11, v12, v11, vcc_lo
; %bb.907:                              ;   in Loop: Header=BB11_889 Depth=1
	s_or_b32 exec_lo, exec_lo, s0
	v_lshrrev_b32_e32 v1, 16, v1
	s_mov_b32 s0, exec_lo
	s_delay_alu instid0(VALU_DEP_1) | instskip(NEXT) | instid1(VALU_DEP_1)
	v_cvt_f32_f16_e32 v1, v1
	v_div_scale_f32 v9, null, s39, s39, v1
	s_delay_alu instid0(VALU_DEP_1) | instskip(SKIP_2) | instid1(VALU_DEP_1)
	v_rcp_f32_e32 v12, v9
	s_waitcnt_depctr 0xfff
	v_fma_f32 v13, -v9, v12, 1.0
	v_fmac_f32_e32 v12, v13, v12
	v_div_scale_f32 v13, vcc_lo, v1, s39, v1
	s_delay_alu instid0(VALU_DEP_1) | instskip(NEXT) | instid1(VALU_DEP_1)
	v_mul_f32_e32 v14, v13, v12
	v_fma_f32 v15, -v9, v14, v13
	s_delay_alu instid0(VALU_DEP_1) | instskip(NEXT) | instid1(VALU_DEP_1)
	v_fmac_f32_e32 v14, v15, v12
	v_fma_f32 v9, -v9, v14, v13
	s_delay_alu instid0(VALU_DEP_1) | instskip(NEXT) | instid1(VALU_DEP_1)
	v_div_fmas_f32 v9, v9, v12, v14
	v_div_fixup_f32 v1, v9, s39, v1
	s_delay_alu instid0(VALU_DEP_1) | instskip(NEXT) | instid1(VALU_DEP_1)
	v_cvt_f16_f32_e32 v1, v1
	v_cvt_f32_f16_e32 v14, v1
	s_delay_alu instid0(VALU_DEP_1) | instskip(SKIP_2) | instid1(VALU_DEP_2)
	v_dual_mov_b32 v16, v10 :: v_dual_and_b32 v9, 0x7fffff, v14
	v_lshrrev_b32_e32 v13, 24, v14
	v_and_b32_e32 v15, 0x7f800000, v14
	v_and_b32_e32 v1, 0x80, v13
	s_delay_alu instid0(VALU_DEP_1) | instskip(NEXT) | instid1(VALU_DEP_3)
	v_or_b32_e32 v12, 0x7e, v1
	v_cmpx_ne_u64_e32 0x7f800000, v[15:16]
	s_xor_b32 s6, exec_lo, s0
	s_cbranch_execz .LBB11_923
; %bb.908:                              ;   in Loop: Header=BB11_889 Depth=1
	v_dual_mov_b32 v16, v10 :: v_dual_and_b32 v15, 0x7fffffff, v14
	s_mov_b32 s0, exec_lo
	s_delay_alu instid0(VALU_DEP_1)
	v_cmpx_gt_u64_e32 0x43e00001, v[15:16]
	s_xor_b32 s7, exec_lo, s0
	s_cbranch_execz .LBB11_922
; %bb.909:                              ;   in Loop: Header=BB11_889 Depth=1
	s_mov_b32 s8, exec_lo
	v_mov_b32_e32 v12, 0
	v_mov_b32_e32 v13, 0
	v_cmpx_ne_u32_e32 0, v14
	s_cbranch_execz .LBB11_921
; %bb.910:                              ;   in Loop: Header=BB11_889 Depth=1
	v_bfe_u32 v16, v14, 23, 8
	v_or_b32_e32 v14, 0x800000, v9
	s_delay_alu instid0(VALU_DEP_2) | instskip(SKIP_1) | instid1(VALU_DEP_2)
	v_sub_nc_u32_e32 v12, 0x79, v16
	v_cmp_gt_u32_e32 vcc_lo, 0x7a, v16
	v_cndmask_b32_e32 v12, 0, v12, vcc_lo
	v_cmp_eq_u32_e32 vcc_lo, 0, v16
	v_cndmask_b32_e32 v9, v14, v9, vcc_lo
	s_delay_alu instid0(VALU_DEP_3) | instskip(NEXT) | instid1(VALU_DEP_1)
	v_cndmask_b32_e64 v17, v12, 0x78, vcc_lo
	v_add_nc_u32_e32 v12, 20, v17
	v_add_nc_u32_e32 v14, 19, v17
	s_delay_alu instid0(VALU_DEP_2) | instskip(NEXT) | instid1(VALU_DEP_2)
	v_lshlrev_b64 v[12:13], v12, -1
	v_lshlrev_b64 v[14:15], v14, 1
	s_delay_alu instid0(VALU_DEP_2) | instskip(NEXT) | instid1(VALU_DEP_3)
	v_not_b32_e32 v13, v13
	v_not_b32_e32 v12, v12
	s_delay_alu instid0(VALU_DEP_2) | instskip(NEXT) | instid1(VALU_DEP_2)
	v_and_b32_e32 v19, 0, v13
	v_and_b32_e32 v18, v9, v12
	v_lshrrev_b64 v[12:13], v17, v[9:10]
	s_delay_alu instid0(VALU_DEP_2) | instskip(NEXT) | instid1(VALU_DEP_2)
	v_cmp_eq_u64_e64 s0, v[18:19], v[14:15]
	v_dual_mov_b32 v15, v13 :: v_dual_mov_b32 v14, v12
	s_delay_alu instid0(VALU_DEP_2)
	s_and_saveexec_b32 s9, s0
; %bb.911:                              ;   in Loop: Header=BB11_889 Depth=1
	v_bfe_u32 v9, v12, 20, 1
	s_delay_alu instid0(VALU_DEP_1) | instskip(NEXT) | instid1(VALU_DEP_1)
	v_add_co_u32 v9, s0, v12, v9
	v_add_co_u32 v14, s0, v9, -1
; %bb.912:                              ;   in Loop: Header=BB11_889 Depth=1
	s_or_b32 exec_lo, exec_lo, s9
	v_add_nc_u32_e32 v9, 0xffffff81, v16
	v_lshrrev_b32_e32 v15, 23, v12
	s_mov_b32 s0, exec_lo
	s_delay_alu instid0(VALU_DEP_2) | instskip(NEXT) | instid1(VALU_DEP_1)
	v_cndmask_b32_e64 v9, v9, 0xffffff82, vcc_lo
	v_add3_u32 v15, v17, v9, v15
	v_and_b32_e32 v9, 0xfffff, v14
	s_delay_alu instid0(VALU_DEP_2) | instskip(NEXT) | instid1(VALU_DEP_2)
	v_add_nc_u32_e32 v14, 6, v15
	v_add_co_u32 v12, vcc_lo, v9, v12
	v_add_co_ci_u32_e32 v13, vcc_lo, 0, v13, vcc_lo
                                        ; implicit-def: $vgpr9
	s_delay_alu instid0(VALU_DEP_3)
	v_cmpx_ne_u32_e32 0, v14
	s_xor_b32 s0, exec_lo, s0
; %bb.913:                              ;   in Loop: Header=BB11_889 Depth=1
	s_delay_alu instid0(VALU_DEP_2) | instskip(SKIP_1) | instid1(VALU_DEP_1)
	v_cmp_lt_u64_e32 vcc_lo, 0xffffff, v[12:13]
	v_add_nc_u32_e32 v9, 7, v15
	v_cndmask_b32_e32 v9, v14, v9, vcc_lo
	v_cndmask_b32_e64 v14, 0, 1, vcc_lo
	s_delay_alu instid0(VALU_DEP_1)
	v_lshrrev_b64 v[12:13], v14, v[12:13]
; %bb.914:                              ;   in Loop: Header=BB11_889 Depth=1
	s_and_not1_saveexec_b32 s0, s0
; %bb.915:                              ;   in Loop: Header=BB11_889 Depth=1
	s_delay_alu instid0(VALU_DEP_1)
	v_bfe_u32 v9, v12, 23, 1
; %bb.916:                              ;   in Loop: Header=BB11_889 Depth=1
	s_or_b32 exec_lo, exec_lo, s0
	s_delay_alu instid0(VALU_DEP_2) | instskip(NEXT) | instid1(VALU_DEP_2)
	v_lshrrev_b64 v[12:13], 20, v[12:13]
	v_cmp_gt_i32_e32 vcc_lo, 16, v9
	v_cmp_ne_u32_e64 s0, 0, v9
	s_delay_alu instid0(VALU_DEP_3) | instskip(NEXT) | instid1(VALU_DEP_1)
	v_dual_cndmask_b32 v15, 0, v13 :: v_dual_cndmask_b32 v14, 7, v12
                                        ; implicit-def: $vgpr12_vgpr13
	v_cmp_ne_u64_e32 vcc_lo, 0, v[14:15]
	s_delay_alu instid0(VALU_DEP_3) | instskip(NEXT) | instid1(SALU_CYCLE_1)
	s_or_b32 s0, s0, vcc_lo
	s_and_saveexec_b32 s9, s0
	s_delay_alu instid0(SALU_CYCLE_1)
	s_xor_b32 s0, exec_lo, s9
; %bb.917:                              ;   in Loop: Header=BB11_889 Depth=1
	v_min_i32_e32 v9, 15, v9
	s_delay_alu instid0(VALU_DEP_1) | instskip(NEXT) | instid1(VALU_DEP_1)
	v_lshl_or_b32 v1, v9, 3, v1
	v_and_or_b32 v12, v14, 7, v1
                                        ; implicit-def: $vgpr1
; %bb.918:                              ;   in Loop: Header=BB11_889 Depth=1
	s_and_not1_saveexec_b32 s0, s0
; %bb.919:                              ;   in Loop: Header=BB11_889 Depth=1
	v_dual_mov_b32 v13, v2 :: v_dual_mov_b32 v12, v1
; %bb.920:                              ;   in Loop: Header=BB11_889 Depth=1
	s_or_b32 exec_lo, exec_lo, s0
.LBB11_921:                             ;   in Loop: Header=BB11_889 Depth=1
	s_delay_alu instid0(SALU_CYCLE_1)
	s_or_b32 exec_lo, exec_lo, s8
.LBB11_922:                             ;   in Loop: Header=BB11_889 Depth=1
	s_and_not1_saveexec_b32 s0, s7
	s_delay_alu instid0(SALU_CYCLE_1)
	s_or_b32 exec_lo, exec_lo, s0
                                        ; implicit-def: $vgpr13
.LBB11_923:                             ;   in Loop: Header=BB11_889 Depth=1
	s_and_not1_saveexec_b32 s0, s6
; %bb.924:                              ;   in Loop: Header=BB11_889 Depth=1
	v_cmp_eq_u64_e32 vcc_lo, 0, v[9:10]
	v_or_b32_e32 v1, 0x7f, v13
	s_delay_alu instid0(VALU_DEP_1)
	v_cndmask_b32_e32 v12, v1, v12, vcc_lo
; %bb.925:                              ;   in Loop: Header=BB11_889 Depth=1
	s_or_b32 exec_lo, exec_lo, s0
	v_cvt_f32_f16_e32 v1, v2
	v_mov_b32_e32 v17, v10
	s_mov_b32 s0, exec_lo
	s_delay_alu instid0(VALU_DEP_2) | instskip(NEXT) | instid1(VALU_DEP_1)
	v_div_scale_f32 v9, null, s39, s39, v1
	v_rcp_f32_e32 v13, v9
	s_waitcnt_depctr 0xfff
	v_fma_f32 v14, -v9, v13, 1.0
	s_delay_alu instid0(VALU_DEP_1) | instskip(SKIP_1) | instid1(VALU_DEP_1)
	v_fmac_f32_e32 v13, v14, v13
	v_div_scale_f32 v14, vcc_lo, v1, s39, v1
	v_mul_f32_e32 v15, v14, v13
	s_delay_alu instid0(VALU_DEP_1) | instskip(NEXT) | instid1(VALU_DEP_1)
	v_fma_f32 v16, -v9, v15, v14
	v_fmac_f32_e32 v15, v16, v13
	s_delay_alu instid0(VALU_DEP_1) | instskip(NEXT) | instid1(VALU_DEP_1)
	v_fma_f32 v9, -v9, v15, v14
	v_div_fmas_f32 v9, v9, v13, v15
	s_delay_alu instid0(VALU_DEP_1) | instskip(NEXT) | instid1(VALU_DEP_1)
	v_div_fixup_f32 v1, v9, s39, v1
	v_cvt_f16_f32_e32 v1, v1
	s_delay_alu instid0(VALU_DEP_1) | instskip(NEXT) | instid1(VALU_DEP_1)
	v_cvt_f32_f16_e32 v15, v1
	v_and_b32_e32 v16, 0x7f800000, v15
	v_lshrrev_b32_e32 v14, 24, v15
	v_and_b32_e32 v9, 0x7fffff, v15
	s_delay_alu instid0(VALU_DEP_2) | instskip(NEXT) | instid1(VALU_DEP_1)
	v_and_b32_e32 v1, 0x80, v14
	v_or_b32_e32 v13, 0x7e, v1
	v_cmpx_ne_u64_e32 0x7f800000, v[16:17]
	s_xor_b32 s6, exec_lo, s0
	s_cbranch_execz .LBB11_941
; %bb.926:                              ;   in Loop: Header=BB11_889 Depth=1
	v_dual_mov_b32 v17, v10 :: v_dual_and_b32 v16, 0x7fffffff, v15
	s_mov_b32 s0, exec_lo
	s_delay_alu instid0(VALU_DEP_1)
	v_cmpx_gt_u64_e32 0x43e00001, v[16:17]
	s_xor_b32 s7, exec_lo, s0
	s_cbranch_execz .LBB11_940
; %bb.927:                              ;   in Loop: Header=BB11_889 Depth=1
	s_mov_b32 s8, exec_lo
	v_mov_b32_e32 v13, 0
	v_mov_b32_e32 v14, 0
	v_cmpx_ne_u32_e32 0, v15
	s_cbranch_execz .LBB11_939
; %bb.928:                              ;   in Loop: Header=BB11_889 Depth=1
	v_bfe_u32 v17, v15, 23, 8
	v_or_b32_e32 v15, 0x800000, v9
	s_delay_alu instid0(VALU_DEP_2) | instskip(SKIP_1) | instid1(VALU_DEP_2)
	v_sub_nc_u32_e32 v13, 0x79, v17
	v_cmp_gt_u32_e32 vcc_lo, 0x7a, v17
	v_cndmask_b32_e32 v13, 0, v13, vcc_lo
	v_cmp_eq_u32_e32 vcc_lo, 0, v17
	s_delay_alu instid0(VALU_DEP_2) | instskip(SKIP_1) | instid1(VALU_DEP_2)
	v_cndmask_b32_e64 v18, v13, 0x78, vcc_lo
	v_cndmask_b32_e32 v9, v15, v9, vcc_lo
	v_add_nc_u32_e32 v13, 20, v18
	v_add_nc_u32_e32 v15, 19, v18
	s_delay_alu instid0(VALU_DEP_2) | instskip(NEXT) | instid1(VALU_DEP_2)
	v_lshlrev_b64 v[13:14], v13, -1
	v_lshlrev_b64 v[15:16], v15, 1
	s_delay_alu instid0(VALU_DEP_2) | instskip(NEXT) | instid1(VALU_DEP_3)
	v_not_b32_e32 v14, v14
	v_not_b32_e32 v13, v13
	s_delay_alu instid0(VALU_DEP_2) | instskip(NEXT) | instid1(VALU_DEP_2)
	v_and_b32_e32 v22, 0, v14
	v_and_b32_e32 v21, v9, v13
	v_lshrrev_b64 v[13:14], v18, v[9:10]
	s_delay_alu instid0(VALU_DEP_2) | instskip(NEXT) | instid1(VALU_DEP_2)
	v_cmp_eq_u64_e64 s0, v[21:22], v[15:16]
	v_dual_mov_b32 v16, v14 :: v_dual_mov_b32 v15, v13
	s_delay_alu instid0(VALU_DEP_2)
	s_and_saveexec_b32 s9, s0
; %bb.929:                              ;   in Loop: Header=BB11_889 Depth=1
	v_bfe_u32 v9, v13, 20, 1
	s_delay_alu instid0(VALU_DEP_1) | instskip(NEXT) | instid1(VALU_DEP_1)
	v_add_co_u32 v9, s0, v13, v9
	v_add_co_u32 v15, s0, v9, -1
; %bb.930:                              ;   in Loop: Header=BB11_889 Depth=1
	s_or_b32 exec_lo, exec_lo, s9
	v_add_nc_u32_e32 v9, 0xffffff81, v17
	v_lshrrev_b32_e32 v16, 23, v13
	s_mov_b32 s0, exec_lo
	s_delay_alu instid0(VALU_DEP_2) | instskip(NEXT) | instid1(VALU_DEP_1)
	v_cndmask_b32_e64 v9, v9, 0xffffff82, vcc_lo
	v_add3_u32 v16, v18, v9, v16
	v_and_b32_e32 v9, 0xfffff, v15
	s_delay_alu instid0(VALU_DEP_2) | instskip(NEXT) | instid1(VALU_DEP_2)
	v_add_nc_u32_e32 v15, 6, v16
	v_add_co_u32 v13, vcc_lo, v9, v13
	v_add_co_ci_u32_e32 v14, vcc_lo, 0, v14, vcc_lo
                                        ; implicit-def: $vgpr9
	s_delay_alu instid0(VALU_DEP_3)
	v_cmpx_ne_u32_e32 0, v15
	s_xor_b32 s0, exec_lo, s0
; %bb.931:                              ;   in Loop: Header=BB11_889 Depth=1
	s_delay_alu instid0(VALU_DEP_2) | instskip(SKIP_1) | instid1(VALU_DEP_1)
	v_cmp_lt_u64_e32 vcc_lo, 0xffffff, v[13:14]
	v_add_nc_u32_e32 v9, 7, v16
	v_cndmask_b32_e32 v9, v15, v9, vcc_lo
	v_cndmask_b32_e64 v15, 0, 1, vcc_lo
	s_delay_alu instid0(VALU_DEP_1)
	v_lshrrev_b64 v[13:14], v15, v[13:14]
; %bb.932:                              ;   in Loop: Header=BB11_889 Depth=1
	s_and_not1_saveexec_b32 s0, s0
; %bb.933:                              ;   in Loop: Header=BB11_889 Depth=1
	s_delay_alu instid0(VALU_DEP_1)
	v_bfe_u32 v9, v13, 23, 1
; %bb.934:                              ;   in Loop: Header=BB11_889 Depth=1
	s_or_b32 exec_lo, exec_lo, s0
	s_delay_alu instid0(VALU_DEP_2) | instskip(NEXT) | instid1(VALU_DEP_2)
	v_lshrrev_b64 v[13:14], 20, v[13:14]
	v_cmp_gt_i32_e32 vcc_lo, 16, v9
	v_cmp_ne_u32_e64 s0, 0, v9
	s_delay_alu instid0(VALU_DEP_3) | instskip(NEXT) | instid1(VALU_DEP_1)
	v_dual_cndmask_b32 v16, 0, v14 :: v_dual_cndmask_b32 v15, 7, v13
                                        ; implicit-def: $vgpr13_vgpr14
	v_cmp_ne_u64_e32 vcc_lo, 0, v[15:16]
	s_delay_alu instid0(VALU_DEP_3) | instskip(NEXT) | instid1(SALU_CYCLE_1)
	s_or_b32 s0, s0, vcc_lo
	s_and_saveexec_b32 s9, s0
	s_delay_alu instid0(SALU_CYCLE_1)
	s_xor_b32 s0, exec_lo, s9
; %bb.935:                              ;   in Loop: Header=BB11_889 Depth=1
	v_min_i32_e32 v9, 15, v9
	s_delay_alu instid0(VALU_DEP_1) | instskip(NEXT) | instid1(VALU_DEP_1)
	v_lshl_or_b32 v1, v9, 3, v1
	v_and_or_b32 v13, v15, 7, v1
                                        ; implicit-def: $vgpr1
; %bb.936:                              ;   in Loop: Header=BB11_889 Depth=1
	s_and_not1_saveexec_b32 s0, s0
; %bb.937:                              ;   in Loop: Header=BB11_889 Depth=1
	v_dual_mov_b32 v14, v2 :: v_dual_mov_b32 v13, v1
; %bb.938:                              ;   in Loop: Header=BB11_889 Depth=1
	s_or_b32 exec_lo, exec_lo, s0
.LBB11_939:                             ;   in Loop: Header=BB11_889 Depth=1
	s_delay_alu instid0(SALU_CYCLE_1)
	s_or_b32 exec_lo, exec_lo, s8
.LBB11_940:                             ;   in Loop: Header=BB11_889 Depth=1
	s_and_not1_saveexec_b32 s0, s7
	s_delay_alu instid0(SALU_CYCLE_1)
	s_or_b32 exec_lo, exec_lo, s0
                                        ; implicit-def: $vgpr14
.LBB11_941:                             ;   in Loop: Header=BB11_889 Depth=1
	s_and_not1_saveexec_b32 s0, s6
; %bb.942:                              ;   in Loop: Header=BB11_889 Depth=1
	v_cmp_eq_u64_e32 vcc_lo, 0, v[9:10]
	v_or_b32_e32 v1, 0x7f, v14
	s_delay_alu instid0(VALU_DEP_1)
	v_cndmask_b32_e32 v13, v1, v13, vcc_lo
; %bb.943:                              ;   in Loop: Header=BB11_889 Depth=1
	s_or_b32 exec_lo, exec_lo, s0
	v_lshrrev_b32_e32 v1, 16, v2
	v_mov_b32_e32 v17, v10
	s_mov_b32 s0, exec_lo
	s_delay_alu instid0(VALU_DEP_2) | instskip(NEXT) | instid1(VALU_DEP_1)
	v_cvt_f32_f16_e32 v1, v1
	v_div_scale_f32 v2, null, s39, s39, v1
	s_delay_alu instid0(VALU_DEP_1) | instskip(SKIP_2) | instid1(VALU_DEP_1)
	v_rcp_f32_e32 v9, v2
	s_waitcnt_depctr 0xfff
	v_fma_f32 v14, -v2, v9, 1.0
	v_fmac_f32_e32 v9, v14, v9
	v_div_scale_f32 v14, vcc_lo, v1, s39, v1
	s_delay_alu instid0(VALU_DEP_1) | instskip(NEXT) | instid1(VALU_DEP_1)
	v_mul_f32_e32 v15, v14, v9
	v_fma_f32 v16, -v2, v15, v14
	s_delay_alu instid0(VALU_DEP_1) | instskip(NEXT) | instid1(VALU_DEP_1)
	v_fmac_f32_e32 v15, v16, v9
	v_fma_f32 v2, -v2, v15, v14
	s_delay_alu instid0(VALU_DEP_1) | instskip(NEXT) | instid1(VALU_DEP_1)
	v_div_fmas_f32 v2, v2, v9, v15
	v_div_fixup_f32 v1, v2, s39, v1
	s_delay_alu instid0(VALU_DEP_1) | instskip(NEXT) | instid1(VALU_DEP_1)
	v_cvt_f16_f32_e32 v1, v1
	v_cvt_f32_f16_e32 v15, v1
	s_delay_alu instid0(VALU_DEP_1) | instskip(SKIP_2) | instid1(VALU_DEP_3)
	v_lshrrev_b32_e32 v2, 24, v15
	v_and_b32_e32 v16, 0x7f800000, v15
	v_and_b32_e32 v9, 0x7fffff, v15
	;; [unrolled: 1-line block ×3, first 2 shown]
	s_delay_alu instid0(VALU_DEP_1) | instskip(NEXT) | instid1(VALU_DEP_4)
	v_or_b32_e32 v1, 0x7e, v14
	v_cmpx_ne_u64_e32 0x7f800000, v[16:17]
	s_xor_b32 s6, exec_lo, s0
	s_cbranch_execz .LBB11_959
; %bb.944:                              ;   in Loop: Header=BB11_889 Depth=1
	v_dual_mov_b32 v17, v10 :: v_dual_and_b32 v16, 0x7fffffff, v15
	s_mov_b32 s0, exec_lo
	s_delay_alu instid0(VALU_DEP_1)
	v_cmpx_gt_u64_e32 0x43e00001, v[16:17]
	s_xor_b32 s7, exec_lo, s0
	s_cbranch_execz .LBB11_958
; %bb.945:                              ;   in Loop: Header=BB11_889 Depth=1
	s_mov_b32 s8, exec_lo
	v_mov_b32_e32 v1, 0
	v_mov_b32_e32 v2, 0
	v_cmpx_ne_u32_e32 0, v15
	s_cbranch_execz .LBB11_957
; %bb.946:                              ;   in Loop: Header=BB11_889 Depth=1
	v_bfe_u32 v17, v15, 23, 8
	v_or_b32_e32 v15, 0x800000, v9
	s_delay_alu instid0(VALU_DEP_2) | instskip(SKIP_1) | instid1(VALU_DEP_2)
	v_sub_nc_u32_e32 v1, 0x79, v17
	v_cmp_gt_u32_e32 vcc_lo, 0x7a, v17
	v_cndmask_b32_e32 v1, 0, v1, vcc_lo
	v_cmp_eq_u32_e32 vcc_lo, 0, v17
	s_delay_alu instid0(VALU_DEP_2) | instskip(SKIP_1) | instid1(VALU_DEP_2)
	v_cndmask_b32_e64 v18, v1, 0x78, vcc_lo
	v_cndmask_b32_e32 v9, v15, v9, vcc_lo
	v_add_nc_u32_e32 v1, 20, v18
	v_add_nc_u32_e32 v15, 19, v18
	s_delay_alu instid0(VALU_DEP_2) | instskip(NEXT) | instid1(VALU_DEP_2)
	v_lshlrev_b64 v[1:2], v1, -1
	v_lshlrev_b64 v[15:16], v15, 1
	s_delay_alu instid0(VALU_DEP_2) | instskip(NEXT) | instid1(VALU_DEP_3)
	v_not_b32_e32 v2, v2
	v_not_b32_e32 v1, v1
	s_delay_alu instid0(VALU_DEP_2) | instskip(NEXT) | instid1(VALU_DEP_2)
	v_and_b32_e32 v22, 0, v2
	v_and_b32_e32 v21, v9, v1
	v_lshrrev_b64 v[1:2], v18, v[9:10]
	s_delay_alu instid0(VALU_DEP_2) | instskip(NEXT) | instid1(VALU_DEP_2)
	v_cmp_eq_u64_e64 s0, v[21:22], v[15:16]
	v_dual_mov_b32 v16, v2 :: v_dual_mov_b32 v15, v1
	s_delay_alu instid0(VALU_DEP_2)
	s_and_saveexec_b32 s9, s0
; %bb.947:                              ;   in Loop: Header=BB11_889 Depth=1
	v_bfe_u32 v9, v1, 20, 1
	s_delay_alu instid0(VALU_DEP_1) | instskip(NEXT) | instid1(VALU_DEP_1)
	v_add_co_u32 v9, s0, v1, v9
	v_add_co_u32 v15, s0, v9, -1
; %bb.948:                              ;   in Loop: Header=BB11_889 Depth=1
	s_or_b32 exec_lo, exec_lo, s9
	v_add_nc_u32_e32 v9, 0xffffff81, v17
	v_lshrrev_b32_e32 v16, 23, v1
	s_mov_b32 s0, exec_lo
	s_delay_alu instid0(VALU_DEP_2) | instskip(NEXT) | instid1(VALU_DEP_1)
	v_cndmask_b32_e64 v9, v9, 0xffffff82, vcc_lo
	v_add3_u32 v16, v18, v9, v16
	v_and_b32_e32 v9, 0xfffff, v15
	s_delay_alu instid0(VALU_DEP_2) | instskip(NEXT) | instid1(VALU_DEP_2)
	v_add_nc_u32_e32 v15, 6, v16
	v_add_co_u32 v1, vcc_lo, v9, v1
	v_add_co_ci_u32_e32 v2, vcc_lo, 0, v2, vcc_lo
                                        ; implicit-def: $vgpr9
	s_delay_alu instid0(VALU_DEP_3)
	v_cmpx_ne_u32_e32 0, v15
	s_xor_b32 s0, exec_lo, s0
; %bb.949:                              ;   in Loop: Header=BB11_889 Depth=1
	s_delay_alu instid0(VALU_DEP_2) | instskip(SKIP_1) | instid1(VALU_DEP_1)
	v_cmp_lt_u64_e32 vcc_lo, 0xffffff, v[1:2]
	v_add_nc_u32_e32 v9, 7, v16
	v_cndmask_b32_e32 v9, v15, v9, vcc_lo
	v_cndmask_b32_e64 v15, 0, 1, vcc_lo
	s_delay_alu instid0(VALU_DEP_1)
	v_lshrrev_b64 v[1:2], v15, v[1:2]
; %bb.950:                              ;   in Loop: Header=BB11_889 Depth=1
	s_and_not1_saveexec_b32 s0, s0
; %bb.951:                              ;   in Loop: Header=BB11_889 Depth=1
	s_delay_alu instid0(VALU_DEP_1)
	v_bfe_u32 v9, v1, 23, 1
; %bb.952:                              ;   in Loop: Header=BB11_889 Depth=1
	s_or_b32 exec_lo, exec_lo, s0
	s_delay_alu instid0(VALU_DEP_2) | instskip(NEXT) | instid1(VALU_DEP_2)
	v_lshrrev_b64 v[1:2], 20, v[1:2]
	v_cmp_gt_i32_e32 vcc_lo, 16, v9
	v_cmp_ne_u32_e64 s0, 0, v9
	s_delay_alu instid0(VALU_DEP_3) | instskip(NEXT) | instid1(VALU_DEP_1)
	v_dual_cndmask_b32 v16, 0, v2 :: v_dual_cndmask_b32 v15, 7, v1
                                        ; implicit-def: $vgpr1_vgpr2
	v_cmp_ne_u64_e32 vcc_lo, 0, v[15:16]
	s_delay_alu instid0(VALU_DEP_3) | instskip(NEXT) | instid1(SALU_CYCLE_1)
	s_or_b32 s0, s0, vcc_lo
	s_and_saveexec_b32 s9, s0
	s_delay_alu instid0(SALU_CYCLE_1)
	s_xor_b32 s0, exec_lo, s9
; %bb.953:                              ;   in Loop: Header=BB11_889 Depth=1
	v_min_i32_e32 v1, 15, v9
	s_delay_alu instid0(VALU_DEP_1) | instskip(NEXT) | instid1(VALU_DEP_1)
	v_lshl_or_b32 v1, v1, 3, v14
                                        ; implicit-def: $vgpr14
	v_and_or_b32 v1, v15, 7, v1
; %bb.954:                              ;   in Loop: Header=BB11_889 Depth=1
	s_and_not1_saveexec_b32 s0, s0
; %bb.955:                              ;   in Loop: Header=BB11_889 Depth=1
	v_dual_mov_b32 v1, v14 :: v_dual_mov_b32 v2, v15
; %bb.956:                              ;   in Loop: Header=BB11_889 Depth=1
	s_or_b32 exec_lo, exec_lo, s0
.LBB11_957:                             ;   in Loop: Header=BB11_889 Depth=1
	s_delay_alu instid0(SALU_CYCLE_1)
	s_or_b32 exec_lo, exec_lo, s8
.LBB11_958:                             ;   in Loop: Header=BB11_889 Depth=1
	s_and_not1_saveexec_b32 s0, s7
	s_delay_alu instid0(SALU_CYCLE_1)
	s_or_b32 exec_lo, exec_lo, s0
                                        ; implicit-def: $vgpr2
.LBB11_959:                             ;   in Loop: Header=BB11_889 Depth=1
	s_and_not1_saveexec_b32 s0, s6
; %bb.960:                              ;   in Loop: Header=BB11_889 Depth=1
	v_cmp_eq_u64_e32 vcc_lo, 0, v[9:10]
	v_or_b32_e32 v2, 0x7f, v2
	s_delay_alu instid0(VALU_DEP_1)
	v_cndmask_b32_e32 v1, v2, v1, vcc_lo
; %bb.961:                              ;   in Loop: Header=BB11_889 Depth=1
	s_or_b32 exec_lo, exec_lo, s0
	v_cvt_f32_f16_e32 v2, v3
	s_mov_b32 s0, exec_lo
	s_delay_alu instid0(VALU_DEP_1) | instskip(NEXT) | instid1(VALU_DEP_1)
	v_div_scale_f32 v9, null, s39, s39, v2
	v_rcp_f32_e32 v14, v9
	s_waitcnt_depctr 0xfff
	v_fma_f32 v15, -v9, v14, 1.0
	s_delay_alu instid0(VALU_DEP_1) | instskip(SKIP_1) | instid1(VALU_DEP_1)
	v_fmac_f32_e32 v14, v15, v14
	v_div_scale_f32 v15, vcc_lo, v2, s39, v2
	v_mul_f32_e32 v16, v15, v14
	s_delay_alu instid0(VALU_DEP_1) | instskip(NEXT) | instid1(VALU_DEP_1)
	v_fma_f32 v17, -v9, v16, v15
	v_fmac_f32_e32 v16, v17, v14
	s_delay_alu instid0(VALU_DEP_1) | instskip(NEXT) | instid1(VALU_DEP_1)
	v_fma_f32 v9, -v9, v16, v15
	v_div_fmas_f32 v9, v9, v14, v16
	s_delay_alu instid0(VALU_DEP_1) | instskip(NEXT) | instid1(VALU_DEP_1)
	v_div_fixup_f32 v2, v9, s39, v2
	v_cvt_f16_f32_e32 v2, v2
	s_delay_alu instid0(VALU_DEP_1) | instskip(NEXT) | instid1(VALU_DEP_1)
	v_cvt_f32_f16_e32 v16, v2
	v_dual_mov_b32 v18, v10 :: v_dual_and_b32 v9, 0x7fffff, v16
	v_lshrrev_b32_e32 v15, 24, v16
	v_and_b32_e32 v17, 0x7f800000, v16
	s_delay_alu instid0(VALU_DEP_2) | instskip(NEXT) | instid1(VALU_DEP_1)
	v_and_b32_e32 v2, 0x80, v15
	v_or_b32_e32 v14, 0x7e, v2
	s_delay_alu instid0(VALU_DEP_3)
	v_cmpx_ne_u64_e32 0x7f800000, v[17:18]
	s_xor_b32 s6, exec_lo, s0
	s_cbranch_execz .LBB11_977
; %bb.962:                              ;   in Loop: Header=BB11_889 Depth=1
	v_dual_mov_b32 v18, v10 :: v_dual_and_b32 v17, 0x7fffffff, v16
	s_mov_b32 s0, exec_lo
	s_delay_alu instid0(VALU_DEP_1)
	v_cmpx_gt_u64_e32 0x43e00001, v[17:18]
	s_xor_b32 s7, exec_lo, s0
	s_cbranch_execz .LBB11_976
; %bb.963:                              ;   in Loop: Header=BB11_889 Depth=1
	s_mov_b32 s8, exec_lo
	v_mov_b32_e32 v14, 0
	v_mov_b32_e32 v15, 0
	v_cmpx_ne_u32_e32 0, v16
	s_cbranch_execz .LBB11_975
; %bb.964:                              ;   in Loop: Header=BB11_889 Depth=1
	v_bfe_u32 v18, v16, 23, 8
	v_or_b32_e32 v16, 0x800000, v9
	s_delay_alu instid0(VALU_DEP_2) | instskip(SKIP_1) | instid1(VALU_DEP_2)
	v_sub_nc_u32_e32 v14, 0x79, v18
	v_cmp_gt_u32_e32 vcc_lo, 0x7a, v18
	v_cndmask_b32_e32 v14, 0, v14, vcc_lo
	v_cmp_eq_u32_e32 vcc_lo, 0, v18
	v_cndmask_b32_e32 v9, v16, v9, vcc_lo
	s_delay_alu instid0(VALU_DEP_3) | instskip(NEXT) | instid1(VALU_DEP_1)
	v_cndmask_b32_e64 v19, v14, 0x78, vcc_lo
	v_add_nc_u32_e32 v14, 20, v19
	v_add_nc_u32_e32 v16, 19, v19
	s_delay_alu instid0(VALU_DEP_2) | instskip(NEXT) | instid1(VALU_DEP_2)
	v_lshlrev_b64 v[14:15], v14, -1
	v_lshlrev_b64 v[16:17], v16, 1
	s_delay_alu instid0(VALU_DEP_2) | instskip(NEXT) | instid1(VALU_DEP_3)
	v_not_b32_e32 v15, v15
	v_not_b32_e32 v14, v14
	s_delay_alu instid0(VALU_DEP_2) | instskip(NEXT) | instid1(VALU_DEP_2)
	v_and_b32_e32 v22, 0, v15
	v_and_b32_e32 v21, v9, v14
	v_lshrrev_b64 v[14:15], v19, v[9:10]
	s_delay_alu instid0(VALU_DEP_2) | instskip(NEXT) | instid1(VALU_DEP_2)
	v_cmp_eq_u64_e64 s0, v[21:22], v[16:17]
	v_dual_mov_b32 v17, v15 :: v_dual_mov_b32 v16, v14
	s_delay_alu instid0(VALU_DEP_2)
	s_and_saveexec_b32 s9, s0
; %bb.965:                              ;   in Loop: Header=BB11_889 Depth=1
	v_bfe_u32 v9, v14, 20, 1
	s_delay_alu instid0(VALU_DEP_1) | instskip(NEXT) | instid1(VALU_DEP_1)
	v_add_co_u32 v9, s0, v14, v9
	v_add_co_u32 v16, s0, v9, -1
; %bb.966:                              ;   in Loop: Header=BB11_889 Depth=1
	s_or_b32 exec_lo, exec_lo, s9
	v_add_nc_u32_e32 v9, 0xffffff81, v18
	v_lshrrev_b32_e32 v17, 23, v14
	s_mov_b32 s0, exec_lo
	s_delay_alu instid0(VALU_DEP_2) | instskip(NEXT) | instid1(VALU_DEP_1)
	v_cndmask_b32_e64 v9, v9, 0xffffff82, vcc_lo
	v_add3_u32 v17, v19, v9, v17
	v_and_b32_e32 v9, 0xfffff, v16
	s_delay_alu instid0(VALU_DEP_2) | instskip(NEXT) | instid1(VALU_DEP_2)
	v_add_nc_u32_e32 v16, 6, v17
	v_add_co_u32 v14, vcc_lo, v9, v14
	v_add_co_ci_u32_e32 v15, vcc_lo, 0, v15, vcc_lo
                                        ; implicit-def: $vgpr9
	s_delay_alu instid0(VALU_DEP_3)
	v_cmpx_ne_u32_e32 0, v16
	s_xor_b32 s0, exec_lo, s0
; %bb.967:                              ;   in Loop: Header=BB11_889 Depth=1
	s_delay_alu instid0(VALU_DEP_2) | instskip(SKIP_1) | instid1(VALU_DEP_1)
	v_cmp_lt_u64_e32 vcc_lo, 0xffffff, v[14:15]
	v_add_nc_u32_e32 v9, 7, v17
	v_cndmask_b32_e32 v9, v16, v9, vcc_lo
	v_cndmask_b32_e64 v16, 0, 1, vcc_lo
	s_delay_alu instid0(VALU_DEP_1)
	v_lshrrev_b64 v[14:15], v16, v[14:15]
; %bb.968:                              ;   in Loop: Header=BB11_889 Depth=1
	s_and_not1_saveexec_b32 s0, s0
; %bb.969:                              ;   in Loop: Header=BB11_889 Depth=1
	s_delay_alu instid0(VALU_DEP_1)
	v_bfe_u32 v9, v14, 23, 1
; %bb.970:                              ;   in Loop: Header=BB11_889 Depth=1
	s_or_b32 exec_lo, exec_lo, s0
	s_delay_alu instid0(VALU_DEP_2) | instskip(NEXT) | instid1(VALU_DEP_2)
	v_lshrrev_b64 v[14:15], 20, v[14:15]
	v_cmp_gt_i32_e32 vcc_lo, 16, v9
	v_cmp_ne_u32_e64 s0, 0, v9
	s_delay_alu instid0(VALU_DEP_3) | instskip(NEXT) | instid1(VALU_DEP_1)
	v_dual_cndmask_b32 v17, 0, v15 :: v_dual_cndmask_b32 v16, 7, v14
                                        ; implicit-def: $vgpr14_vgpr15
	v_cmp_ne_u64_e32 vcc_lo, 0, v[16:17]
	s_delay_alu instid0(VALU_DEP_3) | instskip(NEXT) | instid1(SALU_CYCLE_1)
	s_or_b32 s0, s0, vcc_lo
	s_and_saveexec_b32 s9, s0
	s_delay_alu instid0(SALU_CYCLE_1)
	s_xor_b32 s0, exec_lo, s9
; %bb.971:                              ;   in Loop: Header=BB11_889 Depth=1
	v_min_i32_e32 v9, 15, v9
	s_delay_alu instid0(VALU_DEP_1) | instskip(NEXT) | instid1(VALU_DEP_1)
	v_lshl_or_b32 v2, v9, 3, v2
	v_and_or_b32 v14, v16, 7, v2
                                        ; implicit-def: $vgpr2
; %bb.972:                              ;   in Loop: Header=BB11_889 Depth=1
	s_and_not1_saveexec_b32 s0, s0
; %bb.973:                              ;   in Loop: Header=BB11_889 Depth=1
	v_dual_mov_b32 v15, v3 :: v_dual_mov_b32 v14, v2
; %bb.974:                              ;   in Loop: Header=BB11_889 Depth=1
	s_or_b32 exec_lo, exec_lo, s0
.LBB11_975:                             ;   in Loop: Header=BB11_889 Depth=1
	s_delay_alu instid0(SALU_CYCLE_1)
	s_or_b32 exec_lo, exec_lo, s8
.LBB11_976:                             ;   in Loop: Header=BB11_889 Depth=1
	s_and_not1_saveexec_b32 s0, s7
	s_delay_alu instid0(SALU_CYCLE_1)
	s_or_b32 exec_lo, exec_lo, s0
                                        ; implicit-def: $vgpr15
.LBB11_977:                             ;   in Loop: Header=BB11_889 Depth=1
	s_and_not1_saveexec_b32 s0, s6
; %bb.978:                              ;   in Loop: Header=BB11_889 Depth=1
	v_cmp_eq_u64_e32 vcc_lo, 0, v[9:10]
	v_or_b32_e32 v2, 0x7f, v15
	s_delay_alu instid0(VALU_DEP_1)
	v_cndmask_b32_e32 v14, v2, v14, vcc_lo
; %bb.979:                              ;   in Loop: Header=BB11_889 Depth=1
	s_or_b32 exec_lo, exec_lo, s0
	v_lshrrev_b32_e32 v2, 16, v3
	s_mov_b32 s0, exec_lo
	v_mov_b32_e32 v18, v10
	s_delay_alu instid0(VALU_DEP_2) | instskip(NEXT) | instid1(VALU_DEP_1)
	v_cvt_f32_f16_e32 v2, v2
	v_div_scale_f32 v3, null, s39, s39, v2
	s_delay_alu instid0(VALU_DEP_1) | instskip(SKIP_2) | instid1(VALU_DEP_1)
	v_rcp_f32_e32 v9, v3
	s_waitcnt_depctr 0xfff
	v_fma_f32 v15, -v3, v9, 1.0
	v_fmac_f32_e32 v9, v15, v9
	v_div_scale_f32 v15, vcc_lo, v2, s39, v2
	s_delay_alu instid0(VALU_DEP_1) | instskip(NEXT) | instid1(VALU_DEP_1)
	v_mul_f32_e32 v16, v15, v9
	v_fma_f32 v17, -v3, v16, v15
	s_delay_alu instid0(VALU_DEP_1) | instskip(NEXT) | instid1(VALU_DEP_1)
	v_fmac_f32_e32 v16, v17, v9
	v_fma_f32 v3, -v3, v16, v15
	s_delay_alu instid0(VALU_DEP_1) | instskip(NEXT) | instid1(VALU_DEP_1)
	v_div_fmas_f32 v3, v3, v9, v16
	v_div_fixup_f32 v2, v3, s39, v2
	s_delay_alu instid0(VALU_DEP_1) | instskip(NEXT) | instid1(VALU_DEP_1)
	v_cvt_f16_f32_e32 v2, v2
	v_cvt_f32_f16_e32 v16, v2
	s_delay_alu instid0(VALU_DEP_1) | instskip(SKIP_2) | instid1(VALU_DEP_3)
	v_lshrrev_b32_e32 v3, 24, v16
	v_and_b32_e32 v17, 0x7f800000, v16
	v_and_b32_e32 v9, 0x7fffff, v16
	;; [unrolled: 1-line block ×3, first 2 shown]
	s_delay_alu instid0(VALU_DEP_1) | instskip(NEXT) | instid1(VALU_DEP_4)
	v_or_b32_e32 v2, 0x7e, v15
	v_cmpx_ne_u64_e32 0x7f800000, v[17:18]
	s_xor_b32 s6, exec_lo, s0
	s_cbranch_execz .LBB11_995
; %bb.980:                              ;   in Loop: Header=BB11_889 Depth=1
	v_dual_mov_b32 v18, v10 :: v_dual_and_b32 v17, 0x7fffffff, v16
	s_mov_b32 s0, exec_lo
	s_delay_alu instid0(VALU_DEP_1)
	v_cmpx_gt_u64_e32 0x43e00001, v[17:18]
	s_xor_b32 s7, exec_lo, s0
	s_cbranch_execz .LBB11_994
; %bb.981:                              ;   in Loop: Header=BB11_889 Depth=1
	s_mov_b32 s8, exec_lo
	v_mov_b32_e32 v2, 0
	v_mov_b32_e32 v3, 0
	v_cmpx_ne_u32_e32 0, v16
	s_cbranch_execz .LBB11_993
; %bb.982:                              ;   in Loop: Header=BB11_889 Depth=1
	v_bfe_u32 v18, v16, 23, 8
	v_or_b32_e32 v16, 0x800000, v9
	s_delay_alu instid0(VALU_DEP_2) | instskip(SKIP_1) | instid1(VALU_DEP_2)
	v_sub_nc_u32_e32 v2, 0x79, v18
	v_cmp_gt_u32_e32 vcc_lo, 0x7a, v18
	v_cndmask_b32_e32 v2, 0, v2, vcc_lo
	v_cmp_eq_u32_e32 vcc_lo, 0, v18
	v_cndmask_b32_e32 v9, v16, v9, vcc_lo
	s_delay_alu instid0(VALU_DEP_3) | instskip(NEXT) | instid1(VALU_DEP_1)
	v_cndmask_b32_e64 v19, v2, 0x78, vcc_lo
	v_add_nc_u32_e32 v2, 20, v19
	v_add_nc_u32_e32 v16, 19, v19
	s_delay_alu instid0(VALU_DEP_2) | instskip(NEXT) | instid1(VALU_DEP_2)
	v_lshlrev_b64 v[2:3], v2, -1
	v_lshlrev_b64 v[16:17], v16, 1
	s_delay_alu instid0(VALU_DEP_2) | instskip(NEXT) | instid1(VALU_DEP_3)
	v_not_b32_e32 v3, v3
	v_not_b32_e32 v2, v2
	s_delay_alu instid0(VALU_DEP_2) | instskip(NEXT) | instid1(VALU_DEP_2)
	v_and_b32_e32 v22, 0, v3
	v_and_b32_e32 v21, v9, v2
	v_lshrrev_b64 v[2:3], v19, v[9:10]
	s_delay_alu instid0(VALU_DEP_2) | instskip(NEXT) | instid1(VALU_DEP_2)
	v_cmp_eq_u64_e64 s0, v[21:22], v[16:17]
	v_dual_mov_b32 v17, v3 :: v_dual_mov_b32 v16, v2
	s_delay_alu instid0(VALU_DEP_2)
	s_and_saveexec_b32 s9, s0
; %bb.983:                              ;   in Loop: Header=BB11_889 Depth=1
	v_bfe_u32 v9, v2, 20, 1
	s_delay_alu instid0(VALU_DEP_1) | instskip(NEXT) | instid1(VALU_DEP_1)
	v_add_co_u32 v9, s0, v2, v9
	v_add_co_u32 v16, s0, v9, -1
; %bb.984:                              ;   in Loop: Header=BB11_889 Depth=1
	s_or_b32 exec_lo, exec_lo, s9
	v_add_nc_u32_e32 v9, 0xffffff81, v18
	v_lshrrev_b32_e32 v17, 23, v2
	s_mov_b32 s0, exec_lo
	s_delay_alu instid0(VALU_DEP_2) | instskip(NEXT) | instid1(VALU_DEP_1)
	v_cndmask_b32_e64 v9, v9, 0xffffff82, vcc_lo
	v_add3_u32 v17, v19, v9, v17
	v_and_b32_e32 v9, 0xfffff, v16
	s_delay_alu instid0(VALU_DEP_2) | instskip(NEXT) | instid1(VALU_DEP_2)
	v_add_nc_u32_e32 v16, 6, v17
	v_add_co_u32 v2, vcc_lo, v9, v2
	v_add_co_ci_u32_e32 v3, vcc_lo, 0, v3, vcc_lo
                                        ; implicit-def: $vgpr9
	s_delay_alu instid0(VALU_DEP_3)
	v_cmpx_ne_u32_e32 0, v16
	s_xor_b32 s0, exec_lo, s0
; %bb.985:                              ;   in Loop: Header=BB11_889 Depth=1
	s_delay_alu instid0(VALU_DEP_2) | instskip(SKIP_1) | instid1(VALU_DEP_1)
	v_cmp_lt_u64_e32 vcc_lo, 0xffffff, v[2:3]
	v_add_nc_u32_e32 v9, 7, v17
	v_cndmask_b32_e32 v9, v16, v9, vcc_lo
	v_cndmask_b32_e64 v16, 0, 1, vcc_lo
	s_delay_alu instid0(VALU_DEP_1)
	v_lshrrev_b64 v[2:3], v16, v[2:3]
; %bb.986:                              ;   in Loop: Header=BB11_889 Depth=1
	s_and_not1_saveexec_b32 s0, s0
; %bb.987:                              ;   in Loop: Header=BB11_889 Depth=1
	s_delay_alu instid0(VALU_DEP_1)
	v_bfe_u32 v9, v2, 23, 1
; %bb.988:                              ;   in Loop: Header=BB11_889 Depth=1
	s_or_b32 exec_lo, exec_lo, s0
	s_delay_alu instid0(VALU_DEP_2) | instskip(NEXT) | instid1(VALU_DEP_2)
	v_lshrrev_b64 v[2:3], 20, v[2:3]
	v_cmp_gt_i32_e32 vcc_lo, 16, v9
	v_cmp_ne_u32_e64 s0, 0, v9
	s_delay_alu instid0(VALU_DEP_3) | instskip(NEXT) | instid1(VALU_DEP_1)
	v_dual_cndmask_b32 v17, 0, v3 :: v_dual_cndmask_b32 v16, 7, v2
                                        ; implicit-def: $vgpr2_vgpr3
	v_cmp_ne_u64_e32 vcc_lo, 0, v[16:17]
	s_delay_alu instid0(VALU_DEP_3) | instskip(NEXT) | instid1(SALU_CYCLE_1)
	s_or_b32 s0, s0, vcc_lo
	s_and_saveexec_b32 s9, s0
	s_delay_alu instid0(SALU_CYCLE_1)
	s_xor_b32 s0, exec_lo, s9
; %bb.989:                              ;   in Loop: Header=BB11_889 Depth=1
	v_min_i32_e32 v2, 15, v9
	s_delay_alu instid0(VALU_DEP_1) | instskip(NEXT) | instid1(VALU_DEP_1)
	v_lshl_or_b32 v2, v2, 3, v15
                                        ; implicit-def: $vgpr15
	v_and_or_b32 v2, v16, 7, v2
; %bb.990:                              ;   in Loop: Header=BB11_889 Depth=1
	s_and_not1_saveexec_b32 s0, s0
; %bb.991:                              ;   in Loop: Header=BB11_889 Depth=1
	v_dual_mov_b32 v2, v15 :: v_dual_mov_b32 v3, v16
; %bb.992:                              ;   in Loop: Header=BB11_889 Depth=1
	s_or_b32 exec_lo, exec_lo, s0
.LBB11_993:                             ;   in Loop: Header=BB11_889 Depth=1
	s_delay_alu instid0(SALU_CYCLE_1)
	s_or_b32 exec_lo, exec_lo, s8
.LBB11_994:                             ;   in Loop: Header=BB11_889 Depth=1
	s_and_not1_saveexec_b32 s0, s7
	s_delay_alu instid0(SALU_CYCLE_1)
	s_or_b32 exec_lo, exec_lo, s0
                                        ; implicit-def: $vgpr3
.LBB11_995:                             ;   in Loop: Header=BB11_889 Depth=1
	s_and_not1_saveexec_b32 s0, s6
; %bb.996:                              ;   in Loop: Header=BB11_889 Depth=1
	v_cmp_eq_u64_e32 vcc_lo, 0, v[9:10]
	v_or_b32_e32 v3, 0x7f, v3
	s_delay_alu instid0(VALU_DEP_1)
	v_cndmask_b32_e32 v2, v3, v2, vcc_lo
; %bb.997:                              ;   in Loop: Header=BB11_889 Depth=1
	s_or_b32 exec_lo, exec_lo, s0
	v_cvt_f32_f16_e32 v3, v4
	v_mov_b32_e32 v19, v10
	s_mov_b32 s0, exec_lo
	s_delay_alu instid0(VALU_DEP_2) | instskip(NEXT) | instid1(VALU_DEP_1)
	v_div_scale_f32 v9, null, s39, s39, v3
	v_rcp_f32_e32 v15, v9
	s_waitcnt_depctr 0xfff
	v_fma_f32 v16, -v9, v15, 1.0
	s_delay_alu instid0(VALU_DEP_1) | instskip(SKIP_1) | instid1(VALU_DEP_1)
	v_fmac_f32_e32 v15, v16, v15
	v_div_scale_f32 v16, vcc_lo, v3, s39, v3
	v_mul_f32_e32 v17, v16, v15
	s_delay_alu instid0(VALU_DEP_1) | instskip(NEXT) | instid1(VALU_DEP_1)
	v_fma_f32 v18, -v9, v17, v16
	v_fmac_f32_e32 v17, v18, v15
	s_delay_alu instid0(VALU_DEP_1) | instskip(NEXT) | instid1(VALU_DEP_1)
	v_fma_f32 v9, -v9, v17, v16
	v_div_fmas_f32 v9, v9, v15, v17
	s_delay_alu instid0(VALU_DEP_1) | instskip(NEXT) | instid1(VALU_DEP_1)
	v_div_fixup_f32 v3, v9, s39, v3
	v_cvt_f16_f32_e32 v3, v3
	s_delay_alu instid0(VALU_DEP_1) | instskip(NEXT) | instid1(VALU_DEP_1)
	v_cvt_f32_f16_e32 v17, v3
	v_and_b32_e32 v18, 0x7f800000, v17
	v_lshrrev_b32_e32 v16, 24, v17
	v_and_b32_e32 v9, 0x7fffff, v17
	s_delay_alu instid0(VALU_DEP_2) | instskip(NEXT) | instid1(VALU_DEP_1)
	v_and_b32_e32 v3, 0x80, v16
	v_or_b32_e32 v15, 0x7e, v3
	v_cmpx_ne_u64_e32 0x7f800000, v[18:19]
	s_xor_b32 s6, exec_lo, s0
	s_cbranch_execz .LBB11_1013
; %bb.998:                              ;   in Loop: Header=BB11_889 Depth=1
	v_dual_mov_b32 v19, v10 :: v_dual_and_b32 v18, 0x7fffffff, v17
	s_mov_b32 s0, exec_lo
	s_delay_alu instid0(VALU_DEP_1)
	v_cmpx_gt_u64_e32 0x43e00001, v[18:19]
	s_xor_b32 s7, exec_lo, s0
	s_cbranch_execz .LBB11_1012
; %bb.999:                              ;   in Loop: Header=BB11_889 Depth=1
	s_mov_b32 s8, exec_lo
	v_mov_b32_e32 v15, 0
	v_mov_b32_e32 v16, 0
	v_cmpx_ne_u32_e32 0, v17
	s_cbranch_execz .LBB11_1011
; %bb.1000:                             ;   in Loop: Header=BB11_889 Depth=1
	v_bfe_u32 v19, v17, 23, 8
	v_or_b32_e32 v17, 0x800000, v9
	s_delay_alu instid0(VALU_DEP_2) | instskip(SKIP_1) | instid1(VALU_DEP_2)
	v_sub_nc_u32_e32 v15, 0x79, v19
	v_cmp_gt_u32_e32 vcc_lo, 0x7a, v19
	v_cndmask_b32_e32 v15, 0, v15, vcc_lo
	v_cmp_eq_u32_e32 vcc_lo, 0, v19
	s_delay_alu instid0(VALU_DEP_2) | instskip(SKIP_1) | instid1(VALU_DEP_2)
	v_cndmask_b32_e64 v21, v15, 0x78, vcc_lo
	v_cndmask_b32_e32 v9, v17, v9, vcc_lo
	v_add_nc_u32_e32 v15, 20, v21
	v_add_nc_u32_e32 v17, 19, v21
	s_delay_alu instid0(VALU_DEP_2) | instskip(NEXT) | instid1(VALU_DEP_2)
	v_lshlrev_b64 v[15:16], v15, -1
	v_lshlrev_b64 v[17:18], v17, 1
	s_delay_alu instid0(VALU_DEP_2) | instskip(NEXT) | instid1(VALU_DEP_3)
	v_not_b32_e32 v16, v16
	v_not_b32_e32 v15, v15
	s_delay_alu instid0(VALU_DEP_2) | instskip(NEXT) | instid1(VALU_DEP_2)
	v_and_b32_e32 v23, 0, v16
	v_and_b32_e32 v22, v9, v15
	v_lshrrev_b64 v[15:16], v21, v[9:10]
	s_delay_alu instid0(VALU_DEP_2) | instskip(NEXT) | instid1(VALU_DEP_2)
	v_cmp_eq_u64_e64 s0, v[22:23], v[17:18]
	v_dual_mov_b32 v18, v16 :: v_dual_mov_b32 v17, v15
	s_delay_alu instid0(VALU_DEP_2)
	s_and_saveexec_b32 s9, s0
; %bb.1001:                             ;   in Loop: Header=BB11_889 Depth=1
	v_bfe_u32 v9, v15, 20, 1
	s_delay_alu instid0(VALU_DEP_1) | instskip(NEXT) | instid1(VALU_DEP_1)
	v_add_co_u32 v9, s0, v15, v9
	v_add_co_u32 v17, s0, v9, -1
; %bb.1002:                             ;   in Loop: Header=BB11_889 Depth=1
	s_or_b32 exec_lo, exec_lo, s9
	v_add_nc_u32_e32 v9, 0xffffff81, v19
	v_lshrrev_b32_e32 v18, 23, v15
	s_mov_b32 s0, exec_lo
	s_delay_alu instid0(VALU_DEP_2) | instskip(NEXT) | instid1(VALU_DEP_1)
	v_cndmask_b32_e64 v9, v9, 0xffffff82, vcc_lo
	v_add3_u32 v18, v21, v9, v18
	v_and_b32_e32 v9, 0xfffff, v17
	s_delay_alu instid0(VALU_DEP_2) | instskip(NEXT) | instid1(VALU_DEP_2)
	v_add_nc_u32_e32 v17, 6, v18
	v_add_co_u32 v15, vcc_lo, v9, v15
	v_add_co_ci_u32_e32 v16, vcc_lo, 0, v16, vcc_lo
                                        ; implicit-def: $vgpr9
	s_delay_alu instid0(VALU_DEP_3)
	v_cmpx_ne_u32_e32 0, v17
	s_xor_b32 s0, exec_lo, s0
; %bb.1003:                             ;   in Loop: Header=BB11_889 Depth=1
	s_delay_alu instid0(VALU_DEP_2) | instskip(SKIP_1) | instid1(VALU_DEP_1)
	v_cmp_lt_u64_e32 vcc_lo, 0xffffff, v[15:16]
	v_add_nc_u32_e32 v9, 7, v18
	v_cndmask_b32_e32 v9, v17, v9, vcc_lo
	v_cndmask_b32_e64 v17, 0, 1, vcc_lo
	s_delay_alu instid0(VALU_DEP_1)
	v_lshrrev_b64 v[15:16], v17, v[15:16]
; %bb.1004:                             ;   in Loop: Header=BB11_889 Depth=1
	s_and_not1_saveexec_b32 s0, s0
; %bb.1005:                             ;   in Loop: Header=BB11_889 Depth=1
	s_delay_alu instid0(VALU_DEP_1)
	v_bfe_u32 v9, v15, 23, 1
; %bb.1006:                             ;   in Loop: Header=BB11_889 Depth=1
	s_or_b32 exec_lo, exec_lo, s0
	s_delay_alu instid0(VALU_DEP_2) | instskip(NEXT) | instid1(VALU_DEP_2)
	v_lshrrev_b64 v[15:16], 20, v[15:16]
	v_cmp_gt_i32_e32 vcc_lo, 16, v9
	v_cmp_ne_u32_e64 s0, 0, v9
	s_delay_alu instid0(VALU_DEP_3) | instskip(NEXT) | instid1(VALU_DEP_1)
	v_dual_cndmask_b32 v18, 0, v16 :: v_dual_cndmask_b32 v17, 7, v15
                                        ; implicit-def: $vgpr15_vgpr16
	v_cmp_ne_u64_e32 vcc_lo, 0, v[17:18]
	s_delay_alu instid0(VALU_DEP_3) | instskip(NEXT) | instid1(SALU_CYCLE_1)
	s_or_b32 s0, s0, vcc_lo
	s_and_saveexec_b32 s9, s0
	s_delay_alu instid0(SALU_CYCLE_1)
	s_xor_b32 s0, exec_lo, s9
; %bb.1007:                             ;   in Loop: Header=BB11_889 Depth=1
	v_min_i32_e32 v9, 15, v9
	s_delay_alu instid0(VALU_DEP_1) | instskip(NEXT) | instid1(VALU_DEP_1)
	v_lshl_or_b32 v3, v9, 3, v3
	v_and_or_b32 v15, v17, 7, v3
                                        ; implicit-def: $vgpr3
; %bb.1008:                             ;   in Loop: Header=BB11_889 Depth=1
	s_and_not1_saveexec_b32 s0, s0
; %bb.1009:                             ;   in Loop: Header=BB11_889 Depth=1
	v_dual_mov_b32 v16, v4 :: v_dual_mov_b32 v15, v3
; %bb.1010:                             ;   in Loop: Header=BB11_889 Depth=1
	s_or_b32 exec_lo, exec_lo, s0
.LBB11_1011:                            ;   in Loop: Header=BB11_889 Depth=1
	s_delay_alu instid0(SALU_CYCLE_1)
	s_or_b32 exec_lo, exec_lo, s8
.LBB11_1012:                            ;   in Loop: Header=BB11_889 Depth=1
	s_and_not1_saveexec_b32 s0, s7
	s_delay_alu instid0(SALU_CYCLE_1)
	s_or_b32 exec_lo, exec_lo, s0
                                        ; implicit-def: $vgpr16
.LBB11_1013:                            ;   in Loop: Header=BB11_889 Depth=1
	s_and_not1_saveexec_b32 s0, s6
; %bb.1014:                             ;   in Loop: Header=BB11_889 Depth=1
	v_cmp_eq_u64_e32 vcc_lo, 0, v[9:10]
	v_or_b32_e32 v3, 0x7f, v16
	s_delay_alu instid0(VALU_DEP_1)
	v_cndmask_b32_e32 v15, v3, v15, vcc_lo
; %bb.1015:                             ;   in Loop: Header=BB11_889 Depth=1
	s_or_b32 exec_lo, exec_lo, s0
	v_lshrrev_b32_e32 v3, 16, v4
	v_mov_b32_e32 v19, v10
	s_mov_b32 s0, exec_lo
	s_delay_alu instid0(VALU_DEP_2) | instskip(NEXT) | instid1(VALU_DEP_1)
	v_cvt_f32_f16_e32 v3, v3
	v_div_scale_f32 v4, null, s39, s39, v3
	s_delay_alu instid0(VALU_DEP_1) | instskip(SKIP_2) | instid1(VALU_DEP_1)
	v_rcp_f32_e32 v9, v4
	s_waitcnt_depctr 0xfff
	v_fma_f32 v16, -v4, v9, 1.0
	v_fmac_f32_e32 v9, v16, v9
	v_div_scale_f32 v16, vcc_lo, v3, s39, v3
	s_delay_alu instid0(VALU_DEP_1) | instskip(NEXT) | instid1(VALU_DEP_1)
	v_mul_f32_e32 v17, v16, v9
	v_fma_f32 v18, -v4, v17, v16
	s_delay_alu instid0(VALU_DEP_1) | instskip(NEXT) | instid1(VALU_DEP_1)
	v_fmac_f32_e32 v17, v18, v9
	v_fma_f32 v4, -v4, v17, v16
	s_delay_alu instid0(VALU_DEP_1) | instskip(NEXT) | instid1(VALU_DEP_1)
	v_div_fmas_f32 v4, v4, v9, v17
	v_div_fixup_f32 v3, v4, s39, v3
	s_delay_alu instid0(VALU_DEP_1) | instskip(NEXT) | instid1(VALU_DEP_1)
	v_cvt_f16_f32_e32 v3, v3
	v_cvt_f32_f16_e32 v4, v3
	s_delay_alu instid0(VALU_DEP_1) | instskip(SKIP_2) | instid1(VALU_DEP_2)
	v_and_b32_e32 v18, 0x7f800000, v4
	v_lshrrev_b32_e32 v17, 24, v4
	v_and_b32_e32 v9, 0x7fffff, v4
	v_and_b32_e32 v3, 0x80, v17
	s_delay_alu instid0(VALU_DEP_1)
	v_or_b32_e32 v16, 0x7e, v3
	v_cmpx_ne_u64_e32 0x7f800000, v[18:19]
	s_xor_b32 s6, exec_lo, s0
	s_cbranch_execz .LBB11_1031
; %bb.1016:                             ;   in Loop: Header=BB11_889 Depth=1
	v_dual_mov_b32 v18, v10 :: v_dual_and_b32 v17, 0x7fffffff, v4
	s_mov_b32 s0, exec_lo
	s_delay_alu instid0(VALU_DEP_1)
	v_cmpx_gt_u64_e32 0x43e00001, v[17:18]
	s_xor_b32 s7, exec_lo, s0
	s_cbranch_execz .LBB11_1030
; %bb.1017:                             ;   in Loop: Header=BB11_889 Depth=1
	s_mov_b32 s8, exec_lo
	v_mov_b32_e32 v16, 0
	v_mov_b32_e32 v17, 0
	v_cmpx_ne_u32_e32 0, v4
	s_cbranch_execz .LBB11_1029
; %bb.1018:                             ;   in Loop: Header=BB11_889 Depth=1
	v_bfe_u32 v4, v4, 23, 8
	v_or_b32_e32 v18, 0x800000, v9
	s_delay_alu instid0(VALU_DEP_2) | instskip(SKIP_1) | instid1(VALU_DEP_2)
	v_sub_nc_u32_e32 v16, 0x79, v4
	v_cmp_gt_u32_e32 vcc_lo, 0x7a, v4
	v_cndmask_b32_e32 v16, 0, v16, vcc_lo
	v_cmp_eq_u32_e32 vcc_lo, 0, v4
	v_cndmask_b32_e32 v9, v18, v9, vcc_lo
	s_delay_alu instid0(VALU_DEP_3) | instskip(NEXT) | instid1(VALU_DEP_1)
	v_cndmask_b32_e64 v21, v16, 0x78, vcc_lo
	v_add_nc_u32_e32 v16, 20, v21
	v_add_nc_u32_e32 v18, 19, v21
	s_delay_alu instid0(VALU_DEP_2) | instskip(NEXT) | instid1(VALU_DEP_2)
	v_lshlrev_b64 v[16:17], v16, -1
	v_lshlrev_b64 v[18:19], v18, 1
	s_delay_alu instid0(VALU_DEP_2) | instskip(NEXT) | instid1(VALU_DEP_3)
	v_not_b32_e32 v17, v17
	v_not_b32_e32 v16, v16
	s_delay_alu instid0(VALU_DEP_2) | instskip(NEXT) | instid1(VALU_DEP_2)
	v_and_b32_e32 v23, 0, v17
	v_and_b32_e32 v22, v9, v16
	v_lshrrev_b64 v[16:17], v21, v[9:10]
	s_delay_alu instid0(VALU_DEP_2) | instskip(NEXT) | instid1(VALU_DEP_2)
	v_cmp_eq_u64_e64 s0, v[22:23], v[18:19]
	v_dual_mov_b32 v19, v17 :: v_dual_mov_b32 v18, v16
	s_delay_alu instid0(VALU_DEP_2)
	s_and_saveexec_b32 s9, s0
; %bb.1019:                             ;   in Loop: Header=BB11_889 Depth=1
	v_bfe_u32 v9, v16, 20, 1
	s_delay_alu instid0(VALU_DEP_1) | instskip(NEXT) | instid1(VALU_DEP_1)
	v_add_co_u32 v9, s0, v16, v9
	v_add_co_u32 v18, s0, v9, -1
; %bb.1020:                             ;   in Loop: Header=BB11_889 Depth=1
	s_or_b32 exec_lo, exec_lo, s9
	v_add_nc_u32_e32 v4, 0xffffff81, v4
	v_lshrrev_b32_e32 v9, 23, v16
	s_mov_b32 s0, exec_lo
	s_delay_alu instid0(VALU_DEP_2) | instskip(NEXT) | instid1(VALU_DEP_1)
	v_cndmask_b32_e64 v4, v4, 0xffffff82, vcc_lo
	v_add3_u32 v9, v21, v4, v9
	v_and_b32_e32 v4, 0xfffff, v18
	s_delay_alu instid0(VALU_DEP_2) | instskip(NEXT) | instid1(VALU_DEP_2)
	v_add_nc_u32_e32 v18, 6, v9
	v_add_co_u32 v16, vcc_lo, v4, v16
	v_add_co_ci_u32_e32 v17, vcc_lo, 0, v17, vcc_lo
                                        ; implicit-def: $vgpr4
	s_delay_alu instid0(VALU_DEP_3)
	v_cmpx_ne_u32_e32 0, v18
	s_xor_b32 s0, exec_lo, s0
; %bb.1021:                             ;   in Loop: Header=BB11_889 Depth=1
	s_delay_alu instid0(VALU_DEP_2) | instskip(SKIP_2) | instid1(VALU_DEP_2)
	v_cmp_lt_u64_e32 vcc_lo, 0xffffff, v[16:17]
	v_add_nc_u32_e32 v4, 7, v9
	v_cndmask_b32_e64 v9, 0, 1, vcc_lo
	v_cndmask_b32_e32 v4, v18, v4, vcc_lo
	s_delay_alu instid0(VALU_DEP_2)
	v_lshrrev_b64 v[16:17], v9, v[16:17]
; %bb.1022:                             ;   in Loop: Header=BB11_889 Depth=1
	s_and_not1_saveexec_b32 s0, s0
; %bb.1023:                             ;   in Loop: Header=BB11_889 Depth=1
	s_delay_alu instid0(VALU_DEP_1)
	v_bfe_u32 v4, v16, 23, 1
; %bb.1024:                             ;   in Loop: Header=BB11_889 Depth=1
	s_or_b32 exec_lo, exec_lo, s0
	s_delay_alu instid0(VALU_DEP_2) | instskip(NEXT) | instid1(VALU_DEP_2)
	v_lshrrev_b64 v[16:17], 20, v[16:17]
	v_cmp_gt_i32_e32 vcc_lo, 16, v4
	v_cmp_ne_u32_e64 s0, 0, v4
	s_delay_alu instid0(VALU_DEP_3) | instskip(NEXT) | instid1(VALU_DEP_1)
	v_dual_cndmask_b32 v19, 0, v17 :: v_dual_cndmask_b32 v18, 7, v16
                                        ; implicit-def: $vgpr16_vgpr17
	v_cmp_ne_u64_e32 vcc_lo, 0, v[18:19]
	s_delay_alu instid0(VALU_DEP_3) | instskip(NEXT) | instid1(SALU_CYCLE_1)
	s_or_b32 s0, s0, vcc_lo
	s_and_saveexec_b32 s9, s0
	s_delay_alu instid0(SALU_CYCLE_1)
	s_xor_b32 s0, exec_lo, s9
; %bb.1025:                             ;   in Loop: Header=BB11_889 Depth=1
	v_min_i32_e32 v4, 15, v4
	s_delay_alu instid0(VALU_DEP_1) | instskip(NEXT) | instid1(VALU_DEP_1)
	v_lshl_or_b32 v3, v4, 3, v3
	v_and_or_b32 v16, v18, 7, v3
                                        ; implicit-def: $vgpr3
; %bb.1026:                             ;   in Loop: Header=BB11_889 Depth=1
	s_and_not1_saveexec_b32 s0, s0
; %bb.1027:                             ;   in Loop: Header=BB11_889 Depth=1
	v_dual_mov_b32 v17, v4 :: v_dual_mov_b32 v16, v3
; %bb.1028:                             ;   in Loop: Header=BB11_889 Depth=1
	s_or_b32 exec_lo, exec_lo, s0
.LBB11_1029:                            ;   in Loop: Header=BB11_889 Depth=1
	s_delay_alu instid0(SALU_CYCLE_1)
	s_or_b32 exec_lo, exec_lo, s8
.LBB11_1030:                            ;   in Loop: Header=BB11_889 Depth=1
	s_and_not1_saveexec_b32 s0, s7
	s_delay_alu instid0(SALU_CYCLE_1)
	s_or_b32 exec_lo, exec_lo, s0
                                        ; implicit-def: $vgpr17
.LBB11_1031:                            ;   in Loop: Header=BB11_889 Depth=1
	s_and_not1_saveexec_b32 s0, s6
	s_cbranch_execz .LBB11_888
; %bb.1032:                             ;   in Loop: Header=BB11_889 Depth=1
	v_cmp_eq_u64_e32 vcc_lo, 0, v[9:10]
	v_or_b32_e32 v3, 0x7f, v17
	s_delay_alu instid0(VALU_DEP_1)
	v_cndmask_b32_e32 v16, v3, v16, vcc_lo
	s_branch .LBB11_888
.LBB11_1033:
	s_or_b32 exec_lo, exec_lo, s2
.LBB11_1034:
	s_and_b32 s0, s35, 15
	s_mov_b32 s1, 0
	s_delay_alu instid0(SALU_CYCLE_1) | instskip(SKIP_2) | instid1(SALU_CYCLE_1)
	s_cmp_lg_u64 s[0:1], 0
	s_cselect_b32 s0, -1, 0
	s_xor_b32 s1, s40, -1
	s_or_b32 s0, s1, s0
	s_delay_alu instid0(SALU_CYCLE_1)
	s_and_b32 vcc_lo, exec_lo, s0
	s_mov_b32 s0, -1
	s_cbranch_vccz .LBB11_1230
; %bb.1035:
	s_sub_i32 s0, 0, s35
	s_mov_b32 s1, exec_lo
	s_bfe_u32 s0, s0, 0x30001
	s_delay_alu instid0(SALU_CYCLE_1) | instskip(NEXT) | instid1(SALU_CYCLE_1)
	s_min_i32 s16, s0, s13
	v_cmpx_gt_i32_e64 s16, v0
	s_cbranch_execz .LBB11_1056
; %bb.1036:
	v_dual_mov_b32 v2, 0 :: v_dual_lshlrev_b32 v3, 1, v0
	s_add_u32 s0, s18, s14
	s_addc_u32 s2, s19, s15
	s_lshl_b32 s3, s27, 1
	s_delay_alu instid0(VALU_DEP_1) | instskip(SKIP_1) | instid1(VALU_DEP_1)
	v_mov_b32_e32 v1, v2
	v_add_co_u32 v3, s0, s0, v3
	v_add_co_ci_u32_e64 v4, null, s2, 0, s0
	s_delay_alu instid0(VALU_DEP_3)
	v_dual_mov_b32 v6, v1 :: v_dual_mov_b32 v5, v0
	s_mov_b32 s2, 0
	s_branch .LBB11_1038
.LBB11_1037:                            ;   in Loop: Header=BB11_1038 Depth=1
	s_or_b32 exec_lo, exec_lo, s0
	v_add_co_u32 v9, vcc_lo, s37, v5
	v_add_co_ci_u32_e32 v10, vcc_lo, s38, v6, vcc_lo
	v_add_co_u32 v5, vcc_lo, v5, s27
	v_add_co_ci_u32_e32 v6, vcc_lo, 0, v6, vcc_lo
	v_add_co_u32 v3, s0, v3, s3
	s_delay_alu instid0(VALU_DEP_3) | instskip(SKIP_3) | instid1(SALU_CYCLE_1)
	v_cmp_le_i32_e32 vcc_lo, s16, v5
	v_add_co_ci_u32_e64 v4, s0, 0, v4, s0
	global_store_b8 v[9:10], v8, off
	s_or_b32 s2, vcc_lo, s2
	s_and_not1_b32 exec_lo, exec_lo, s2
	s_cbranch_execz .LBB11_1056
.LBB11_1038:                            ; =>This Inner Loop Header: Depth=1
	global_load_u16 v1, v[3:4], off
	s_mov_b32 s0, exec_lo
	v_mov_b32_e32 v13, v2
	s_waitcnt vmcnt(0)
	v_cvt_f32_f16_e32 v1, v1
	s_delay_alu instid0(VALU_DEP_1) | instskip(NEXT) | instid1(VALU_DEP_1)
	v_div_scale_f32 v7, null, s26, s26, v1
	v_rcp_f32_e32 v8, v7
	s_waitcnt_depctr 0xfff
	v_fma_f32 v9, -v7, v8, 1.0
	s_delay_alu instid0(VALU_DEP_1) | instskip(SKIP_1) | instid1(VALU_DEP_1)
	v_fmac_f32_e32 v8, v9, v8
	v_div_scale_f32 v9, vcc_lo, v1, s26, v1
	v_mul_f32_e32 v10, v9, v8
	s_delay_alu instid0(VALU_DEP_1) | instskip(NEXT) | instid1(VALU_DEP_1)
	v_fma_f32 v11, -v7, v10, v9
	v_fmac_f32_e32 v10, v11, v8
	s_delay_alu instid0(VALU_DEP_1) | instskip(NEXT) | instid1(VALU_DEP_1)
	v_fma_f32 v7, -v7, v10, v9
	v_div_fmas_f32 v7, v7, v8, v10
	s_delay_alu instid0(VALU_DEP_1) | instskip(NEXT) | instid1(VALU_DEP_1)
	v_div_fixup_f32 v1, v7, s26, v1
	v_cvt_f16_f32_e32 v1, v1
	s_delay_alu instid0(VALU_DEP_1) | instskip(NEXT) | instid1(VALU_DEP_1)
	v_cvt_f32_f16_e32 v7, v1
	v_and_b32_e32 v1, 0x7fffff, v7
	v_lshrrev_b32_e32 v9, 24, v7
	v_and_b32_e32 v12, 0x7f800000, v7
	s_delay_alu instid0(VALU_DEP_2) | instskip(NEXT) | instid1(VALU_DEP_1)
	v_and_b32_e32 v11, 0x80, v9
	v_or_b32_e32 v8, 0x7e, v11
	s_delay_alu instid0(VALU_DEP_3)
	v_cmpx_ne_u64_e32 0x7f800000, v[12:13]
	s_xor_b32 s4, exec_lo, s0
	s_cbranch_execz .LBB11_1054
; %bb.1039:                             ;   in Loop: Header=BB11_1038 Depth=1
	v_dual_mov_b32 v10, v2 :: v_dual_and_b32 v9, 0x7fffffff, v7
	s_mov_b32 s0, exec_lo
	s_delay_alu instid0(VALU_DEP_1)
	v_cmpx_gt_u64_e32 0x43e00001, v[9:10]
	s_xor_b32 s5, exec_lo, s0
	s_cbranch_execz .LBB11_1053
; %bb.1040:                             ;   in Loop: Header=BB11_1038 Depth=1
	v_mov_b32_e32 v8, 0
	s_mov_b32 s6, exec_lo
	v_cmpx_ne_u32_e32 0, v7
	s_cbranch_execz .LBB11_1052
; %bb.1041:                             ;   in Loop: Header=BB11_1038 Depth=1
	v_bfe_u32 v12, v7, 23, 8
	v_or_b32_e32 v9, 0x800000, v1
	s_delay_alu instid0(VALU_DEP_2) | instskip(SKIP_1) | instid1(VALU_DEP_2)
	v_sub_nc_u32_e32 v7, 0x79, v12
	v_cmp_gt_u32_e32 vcc_lo, 0x7a, v12
	v_cndmask_b32_e32 v7, 0, v7, vcc_lo
	v_cmp_eq_u32_e32 vcc_lo, 0, v12
	s_delay_alu instid0(VALU_DEP_2) | instskip(SKIP_1) | instid1(VALU_DEP_2)
	v_cndmask_b32_e64 v13, v7, 0x78, vcc_lo
	v_cndmask_b32_e32 v1, v9, v1, vcc_lo
	v_add_nc_u32_e32 v7, 20, v13
	v_add_nc_u32_e32 v9, 19, v13
	s_delay_alu instid0(VALU_DEP_2) | instskip(NEXT) | instid1(VALU_DEP_2)
	v_lshlrev_b64 v[7:8], v7, -1
	v_lshlrev_b64 v[9:10], v9, 1
	s_delay_alu instid0(VALU_DEP_2) | instskip(NEXT) | instid1(VALU_DEP_3)
	v_not_b32_e32 v8, v8
	v_not_b32_e32 v7, v7
	s_delay_alu instid0(VALU_DEP_2) | instskip(NEXT) | instid1(VALU_DEP_2)
	v_and_b32_e32 v15, 0, v8
	v_and_b32_e32 v14, v1, v7
	v_lshrrev_b64 v[7:8], v13, v[1:2]
	s_delay_alu instid0(VALU_DEP_2) | instskip(NEXT) | instid1(VALU_DEP_2)
	v_cmp_eq_u64_e64 s0, v[14:15], v[9:10]
	v_dual_mov_b32 v10, v8 :: v_dual_mov_b32 v9, v7
	s_delay_alu instid0(VALU_DEP_2)
	s_and_saveexec_b32 s7, s0
; %bb.1042:                             ;   in Loop: Header=BB11_1038 Depth=1
	v_bfe_u32 v1, v7, 20, 1
	s_delay_alu instid0(VALU_DEP_1) | instskip(NEXT) | instid1(VALU_DEP_1)
	v_add_co_u32 v1, s0, v7, v1
	v_add_co_u32 v9, s0, v1, -1
; %bb.1043:                             ;   in Loop: Header=BB11_1038 Depth=1
	s_or_b32 exec_lo, exec_lo, s7
	v_add_nc_u32_e32 v1, 0xffffff81, v12
	v_lshrrev_b32_e32 v10, 23, v7
	s_mov_b32 s0, exec_lo
	s_delay_alu instid0(VALU_DEP_2) | instskip(NEXT) | instid1(VALU_DEP_1)
	v_cndmask_b32_e64 v1, v1, 0xffffff82, vcc_lo
	v_add3_u32 v10, v13, v1, v10
	v_and_b32_e32 v1, 0xfffff, v9
	s_delay_alu instid0(VALU_DEP_2) | instskip(NEXT) | instid1(VALU_DEP_2)
	v_add_nc_u32_e32 v9, 6, v10
	v_add_co_u32 v7, vcc_lo, v1, v7
	v_add_co_ci_u32_e32 v8, vcc_lo, 0, v8, vcc_lo
                                        ; implicit-def: $vgpr1
	s_delay_alu instid0(VALU_DEP_3)
	v_cmpx_ne_u32_e32 0, v9
	s_xor_b32 s0, exec_lo, s0
; %bb.1044:                             ;   in Loop: Header=BB11_1038 Depth=1
	s_delay_alu instid0(VALU_DEP_2) | instskip(SKIP_1) | instid1(VALU_DEP_1)
	v_cmp_lt_u64_e32 vcc_lo, 0xffffff, v[7:8]
	v_add_nc_u32_e32 v1, 7, v10
	v_cndmask_b32_e32 v1, v9, v1, vcc_lo
	v_cndmask_b32_e64 v9, 0, 1, vcc_lo
	s_delay_alu instid0(VALU_DEP_1)
	v_lshrrev_b64 v[7:8], v9, v[7:8]
; %bb.1045:                             ;   in Loop: Header=BB11_1038 Depth=1
	s_and_not1_saveexec_b32 s0, s0
; %bb.1046:                             ;   in Loop: Header=BB11_1038 Depth=1
	s_delay_alu instid0(VALU_DEP_1)
	v_bfe_u32 v1, v7, 23, 1
; %bb.1047:                             ;   in Loop: Header=BB11_1038 Depth=1
	s_or_b32 exec_lo, exec_lo, s0
	s_delay_alu instid0(VALU_DEP_2) | instskip(NEXT) | instid1(VALU_DEP_2)
	v_lshrrev_b64 v[7:8], 20, v[7:8]
	v_cmp_gt_i32_e32 vcc_lo, 16, v1
	v_cmp_ne_u32_e64 s0, 0, v1
	s_delay_alu instid0(VALU_DEP_3) | instskip(NEXT) | instid1(VALU_DEP_1)
	v_dual_cndmask_b32 v8, 0, v8 :: v_dual_cndmask_b32 v7, 7, v7
	v_cmp_ne_u64_e32 vcc_lo, 0, v[7:8]
                                        ; implicit-def: $vgpr8
	s_delay_alu instid0(VALU_DEP_3) | instskip(NEXT) | instid1(SALU_CYCLE_1)
	s_or_b32 s0, s0, vcc_lo
	s_and_saveexec_b32 s7, s0
	s_delay_alu instid0(SALU_CYCLE_1)
	s_xor_b32 s0, exec_lo, s7
; %bb.1048:                             ;   in Loop: Header=BB11_1038 Depth=1
	v_min_i32_e32 v1, 15, v1
	s_delay_alu instid0(VALU_DEP_1) | instskip(NEXT) | instid1(VALU_DEP_1)
	v_lshl_or_b32 v1, v1, 3, v11
                                        ; implicit-def: $vgpr11
	v_and_or_b32 v8, v7, 7, v1
; %bb.1049:                             ;   in Loop: Header=BB11_1038 Depth=1
	s_and_not1_saveexec_b32 s0, s0
; %bb.1050:                             ;   in Loop: Header=BB11_1038 Depth=1
	v_mov_b32_e32 v8, v11
; %bb.1051:                             ;   in Loop: Header=BB11_1038 Depth=1
	s_or_b32 exec_lo, exec_lo, s0
.LBB11_1052:                            ;   in Loop: Header=BB11_1038 Depth=1
	s_delay_alu instid0(SALU_CYCLE_1)
	s_or_b32 exec_lo, exec_lo, s6
.LBB11_1053:                            ;   in Loop: Header=BB11_1038 Depth=1
	s_and_not1_saveexec_b32 s0, s5
	s_delay_alu instid0(SALU_CYCLE_1)
	s_or_b32 exec_lo, exec_lo, s0
                                        ; implicit-def: $vgpr9
.LBB11_1054:                            ;   in Loop: Header=BB11_1038 Depth=1
	s_and_not1_saveexec_b32 s0, s4
	s_cbranch_execz .LBB11_1037
; %bb.1055:                             ;   in Loop: Header=BB11_1038 Depth=1
	v_cmp_eq_u64_e32 vcc_lo, 0, v[1:2]
	v_or_b32_e32 v7, 0x7f, v9
	s_delay_alu instid0(VALU_DEP_1)
	v_cndmask_b32_e32 v8, v7, v8, vcc_lo
	s_branch .LBB11_1037
.LBB11_1056:
	s_or_b32 exec_lo, exec_lo, s1
	s_sub_i32 s20, s13, s16
	s_ashr_i32 s17, s16, 31
	s_ashr_i32 s0, s20, 31
	s_mov_b32 s2, exec_lo
	s_lshr_b32 s0, s0, 29
	s_delay_alu instid0(SALU_CYCLE_1) | instskip(NEXT) | instid1(SALU_CYCLE_1)
	s_add_i32 s0, s20, s0
	s_ashr_i32 s1, s0, 3
	s_delay_alu instid0(SALU_CYCLE_1)
	v_cmpx_gt_i32_e64 s1, v0
	s_cbranch_execz .LBB11_1203
; %bb.1057:
	s_add_u32 s0, s16, s30
	s_addc_u32 s3, s17, s31
	v_dual_mov_b32 v10, 0 :: v_dual_lshlrev_b32 v1, 3, v0
	s_add_u32 s0, s0, s34
	s_addc_u32 s3, s3, s33
	s_add_u32 s0, s22, s0
	s_addc_u32 s3, s23, s3
	v_add_co_u32 v5, s0, s0, v1
	s_lshl_b64 s[4:5], s[16:17], 1
	v_add_co_ci_u32_e64 v6, null, s3, 0, s0
	s_lshl_b32 s3, s27, 3
	v_dual_mov_b32 v20, v0 :: v_dual_lshlrev_b32 v1, 4, v0
	s_add_u32 s0, s18, s4
	s_addc_u32 s4, s19, s5
	s_add_u32 s0, s0, s14
	s_addc_u32 s4, s4, s15
	v_add_co_u32 v7, s0, s0, v1
	s_delay_alu instid0(VALU_DEP_1)
	v_add_co_ci_u32_e64 v8, null, s4, 0, s0
	s_mov_b32 s4, 0
	s_lshl_b32 s5, s27, 4
	s_branch .LBB11_1059
.LBB11_1058:                            ;   in Loop: Header=BB11_1059 Depth=1
	s_or_b32 exec_lo, exec_lo, s0
	v_lshlrev_b32_e32 v3, 16, v15
	v_lshlrev_b32_e32 v4, 16, v13
	;; [unrolled: 1-line block ×5, first 2 shown]
	v_and_b32_e32 v3, 0xff0000, v3
	v_perm_b32 v1, v1, v4, 0x4020c0c
	v_and_b32_e32 v4, 0xff, v14
	v_and_b32_e32 v11, 0xff, v11
	;; [unrolled: 1-line block ×3, first 2 shown]
	v_or_b32_e32 v3, v9, v3
	v_and_or_b32 v1, 0xff00, v12, v1
	v_add_nc_u32_e32 v20, s27, v20
	s_delay_alu instid0(VALU_DEP_3) | instskip(NEXT) | instid1(VALU_DEP_3)
	v_or3_b32 v2, v3, v2, v4
	v_or_b32_e32 v1, v1, v11
	s_delay_alu instid0(VALU_DEP_3) | instskip(SKIP_2) | instid1(VALU_DEP_1)
	v_cmp_le_i32_e32 vcc_lo, s1, v20
	global_store_b64 v[5:6], v[1:2], off
	v_add_co_u32 v5, s0, v5, s3
	v_add_co_ci_u32_e64 v6, s0, 0, v6, s0
	v_add_co_u32 v7, s0, v7, s5
	s_delay_alu instid0(VALU_DEP_1) | instskip(SKIP_1) | instid1(SALU_CYCLE_1)
	v_add_co_ci_u32_e64 v8, s0, 0, v8, s0
	s_or_b32 s4, vcc_lo, s4
	s_and_not1_b32 exec_lo, exec_lo, s4
	s_cbranch_execz .LBB11_1203
.LBB11_1059:                            ; =>This Inner Loop Header: Depth=1
	global_load_b128 v[1:4], v[7:8], off
	s_mov_b32 s0, exec_lo
	s_waitcnt vmcnt(0)
	v_cvt_f32_f16_e32 v9, v1
	s_delay_alu instid0(VALU_DEP_1) | instskip(NEXT) | instid1(VALU_DEP_1)
	v_div_scale_f32 v11, null, s26, s26, v9
	v_rcp_f32_e32 v12, v11
	s_waitcnt_depctr 0xfff
	v_fma_f32 v13, -v11, v12, 1.0
	s_delay_alu instid0(VALU_DEP_1) | instskip(SKIP_1) | instid1(VALU_DEP_1)
	v_fmac_f32_e32 v12, v13, v12
	v_div_scale_f32 v13, vcc_lo, v9, s26, v9
	v_mul_f32_e32 v14, v13, v12
	s_delay_alu instid0(VALU_DEP_1) | instskip(NEXT) | instid1(VALU_DEP_1)
	v_fma_f32 v15, -v11, v14, v13
	v_fmac_f32_e32 v14, v15, v12
	s_delay_alu instid0(VALU_DEP_1) | instskip(NEXT) | instid1(VALU_DEP_1)
	v_fma_f32 v11, -v11, v14, v13
	v_div_fmas_f32 v11, v11, v12, v14
	s_delay_alu instid0(VALU_DEP_1) | instskip(NEXT) | instid1(VALU_DEP_1)
	v_div_fixup_f32 v9, v11, s26, v9
	v_cvt_f16_f32_e32 v9, v9
	s_delay_alu instid0(VALU_DEP_1) | instskip(NEXT) | instid1(VALU_DEP_1)
	v_cvt_f32_f16_e32 v14, v9
	v_and_b32_e32 v15, 0x7f800000, v14
	v_lshrrev_b32_e32 v12, 24, v14
	v_dual_mov_b32 v16, v10 :: v_dual_and_b32 v9, 0x7fffff, v14
	s_delay_alu instid0(VALU_DEP_2) | instskip(NEXT) | instid1(VALU_DEP_1)
	v_and_b32_e32 v13, 0x80, v12
	v_or_b32_e32 v11, 0x7e, v13
	s_delay_alu instid0(VALU_DEP_3)
	v_cmpx_ne_u64_e32 0x7f800000, v[15:16]
	s_xor_b32 s6, exec_lo, s0
	s_cbranch_execz .LBB11_1075
; %bb.1060:                             ;   in Loop: Header=BB11_1059 Depth=1
	v_dual_mov_b32 v16, v10 :: v_dual_and_b32 v15, 0x7fffffff, v14
	s_mov_b32 s0, exec_lo
	s_delay_alu instid0(VALU_DEP_1)
	v_cmpx_gt_u64_e32 0x43e00001, v[15:16]
	s_xor_b32 s7, exec_lo, s0
	s_cbranch_execz .LBB11_1074
; %bb.1061:                             ;   in Loop: Header=BB11_1059 Depth=1
	s_mov_b32 s8, exec_lo
	v_mov_b32_e32 v11, 0
	v_mov_b32_e32 v12, 0
	v_cmpx_ne_u32_e32 0, v14
	s_cbranch_execz .LBB11_1073
; %bb.1062:                             ;   in Loop: Header=BB11_1059 Depth=1
	v_bfe_u32 v16, v14, 23, 8
	v_or_b32_e32 v14, 0x800000, v9
	s_delay_alu instid0(VALU_DEP_2) | instskip(SKIP_1) | instid1(VALU_DEP_2)
	v_sub_nc_u32_e32 v11, 0x79, v16
	v_cmp_gt_u32_e32 vcc_lo, 0x7a, v16
	v_cndmask_b32_e32 v11, 0, v11, vcc_lo
	v_cmp_eq_u32_e32 vcc_lo, 0, v16
	s_delay_alu instid0(VALU_DEP_2) | instskip(SKIP_1) | instid1(VALU_DEP_2)
	v_cndmask_b32_e64 v17, v11, 0x78, vcc_lo
	v_cndmask_b32_e32 v9, v14, v9, vcc_lo
	v_add_nc_u32_e32 v11, 20, v17
	v_add_nc_u32_e32 v14, 19, v17
	s_delay_alu instid0(VALU_DEP_2) | instskip(NEXT) | instid1(VALU_DEP_2)
	v_lshlrev_b64 v[11:12], v11, -1
	v_lshlrev_b64 v[14:15], v14, 1
	s_delay_alu instid0(VALU_DEP_2) | instskip(NEXT) | instid1(VALU_DEP_3)
	v_not_b32_e32 v12, v12
	v_not_b32_e32 v11, v11
	s_delay_alu instid0(VALU_DEP_2) | instskip(NEXT) | instid1(VALU_DEP_2)
	v_and_b32_e32 v19, 0, v12
	v_and_b32_e32 v18, v9, v11
	v_lshrrev_b64 v[11:12], v17, v[9:10]
	s_delay_alu instid0(VALU_DEP_2) | instskip(NEXT) | instid1(VALU_DEP_2)
	v_cmp_eq_u64_e64 s0, v[18:19], v[14:15]
	v_dual_mov_b32 v15, v12 :: v_dual_mov_b32 v14, v11
	s_delay_alu instid0(VALU_DEP_2)
	s_and_saveexec_b32 s9, s0
; %bb.1063:                             ;   in Loop: Header=BB11_1059 Depth=1
	v_bfe_u32 v9, v11, 20, 1
	s_delay_alu instid0(VALU_DEP_1) | instskip(NEXT) | instid1(VALU_DEP_1)
	v_add_co_u32 v9, s0, v11, v9
	v_add_co_u32 v14, s0, v9, -1
; %bb.1064:                             ;   in Loop: Header=BB11_1059 Depth=1
	s_or_b32 exec_lo, exec_lo, s9
	v_add_nc_u32_e32 v9, 0xffffff81, v16
	v_lshrrev_b32_e32 v15, 23, v11
	s_mov_b32 s0, exec_lo
	s_delay_alu instid0(VALU_DEP_2) | instskip(NEXT) | instid1(VALU_DEP_1)
	v_cndmask_b32_e64 v9, v9, 0xffffff82, vcc_lo
	v_add3_u32 v15, v17, v9, v15
	v_and_b32_e32 v9, 0xfffff, v14
	s_delay_alu instid0(VALU_DEP_2) | instskip(NEXT) | instid1(VALU_DEP_2)
	v_add_nc_u32_e32 v14, 6, v15
	v_add_co_u32 v11, vcc_lo, v9, v11
	v_add_co_ci_u32_e32 v12, vcc_lo, 0, v12, vcc_lo
                                        ; implicit-def: $vgpr9
	s_delay_alu instid0(VALU_DEP_3)
	v_cmpx_ne_u32_e32 0, v14
	s_xor_b32 s0, exec_lo, s0
; %bb.1065:                             ;   in Loop: Header=BB11_1059 Depth=1
	s_delay_alu instid0(VALU_DEP_2) | instskip(SKIP_1) | instid1(VALU_DEP_1)
	v_cmp_lt_u64_e32 vcc_lo, 0xffffff, v[11:12]
	v_add_nc_u32_e32 v9, 7, v15
	v_cndmask_b32_e32 v9, v14, v9, vcc_lo
	v_cndmask_b32_e64 v14, 0, 1, vcc_lo
	s_delay_alu instid0(VALU_DEP_1)
	v_lshrrev_b64 v[11:12], v14, v[11:12]
; %bb.1066:                             ;   in Loop: Header=BB11_1059 Depth=1
	s_and_not1_saveexec_b32 s0, s0
; %bb.1067:                             ;   in Loop: Header=BB11_1059 Depth=1
	s_delay_alu instid0(VALU_DEP_1)
	v_bfe_u32 v9, v11, 23, 1
; %bb.1068:                             ;   in Loop: Header=BB11_1059 Depth=1
	s_or_b32 exec_lo, exec_lo, s0
	s_delay_alu instid0(VALU_DEP_2) | instskip(NEXT) | instid1(VALU_DEP_2)
	v_lshrrev_b64 v[11:12], 20, v[11:12]
	v_cmp_gt_i32_e32 vcc_lo, 16, v9
	v_cmp_ne_u32_e64 s0, 0, v9
	s_delay_alu instid0(VALU_DEP_3) | instskip(NEXT) | instid1(VALU_DEP_1)
	v_dual_cndmask_b32 v15, 0, v12 :: v_dual_cndmask_b32 v14, 7, v11
                                        ; implicit-def: $vgpr11_vgpr12
	v_cmp_ne_u64_e32 vcc_lo, 0, v[14:15]
	s_delay_alu instid0(VALU_DEP_3) | instskip(NEXT) | instid1(SALU_CYCLE_1)
	s_or_b32 s0, s0, vcc_lo
	s_and_saveexec_b32 s9, s0
	s_delay_alu instid0(SALU_CYCLE_1)
	s_xor_b32 s0, exec_lo, s9
; %bb.1069:                             ;   in Loop: Header=BB11_1059 Depth=1
	v_min_i32_e32 v9, 15, v9
	s_delay_alu instid0(VALU_DEP_1) | instskip(NEXT) | instid1(VALU_DEP_1)
	v_lshl_or_b32 v9, v9, 3, v13
                                        ; implicit-def: $vgpr13
	v_and_or_b32 v11, v14, 7, v9
; %bb.1070:                             ;   in Loop: Header=BB11_1059 Depth=1
	s_and_not1_saveexec_b32 s0, s0
; %bb.1071:                             ;   in Loop: Header=BB11_1059 Depth=1
	v_dual_mov_b32 v11, v13 :: v_dual_mov_b32 v12, v14
; %bb.1072:                             ;   in Loop: Header=BB11_1059 Depth=1
	s_or_b32 exec_lo, exec_lo, s0
.LBB11_1073:                            ;   in Loop: Header=BB11_1059 Depth=1
	s_delay_alu instid0(SALU_CYCLE_1)
	s_or_b32 exec_lo, exec_lo, s8
.LBB11_1074:                            ;   in Loop: Header=BB11_1059 Depth=1
	s_and_not1_saveexec_b32 s0, s7
	s_delay_alu instid0(SALU_CYCLE_1)
	s_or_b32 exec_lo, exec_lo, s0
                                        ; implicit-def: $vgpr12
.LBB11_1075:                            ;   in Loop: Header=BB11_1059 Depth=1
	s_and_not1_saveexec_b32 s0, s6
; %bb.1076:                             ;   in Loop: Header=BB11_1059 Depth=1
	v_cmp_eq_u64_e32 vcc_lo, 0, v[9:10]
	v_or_b32_e32 v12, 0x7f, v12
	s_delay_alu instid0(VALU_DEP_1)
	v_cndmask_b32_e32 v11, v12, v11, vcc_lo
; %bb.1077:                             ;   in Loop: Header=BB11_1059 Depth=1
	s_or_b32 exec_lo, exec_lo, s0
	v_lshrrev_b32_e32 v1, 16, v1
	s_mov_b32 s0, exec_lo
	s_delay_alu instid0(VALU_DEP_1) | instskip(NEXT) | instid1(VALU_DEP_1)
	v_cvt_f32_f16_e32 v1, v1
	v_div_scale_f32 v9, null, s26, s26, v1
	s_delay_alu instid0(VALU_DEP_1) | instskip(SKIP_2) | instid1(VALU_DEP_1)
	v_rcp_f32_e32 v12, v9
	s_waitcnt_depctr 0xfff
	v_fma_f32 v13, -v9, v12, 1.0
	v_fmac_f32_e32 v12, v13, v12
	v_div_scale_f32 v13, vcc_lo, v1, s26, v1
	s_delay_alu instid0(VALU_DEP_1) | instskip(NEXT) | instid1(VALU_DEP_1)
	v_mul_f32_e32 v14, v13, v12
	v_fma_f32 v15, -v9, v14, v13
	s_delay_alu instid0(VALU_DEP_1) | instskip(NEXT) | instid1(VALU_DEP_1)
	v_fmac_f32_e32 v14, v15, v12
	v_fma_f32 v9, -v9, v14, v13
	s_delay_alu instid0(VALU_DEP_1) | instskip(NEXT) | instid1(VALU_DEP_1)
	v_div_fmas_f32 v9, v9, v12, v14
	v_div_fixup_f32 v1, v9, s26, v1
	s_delay_alu instid0(VALU_DEP_1) | instskip(NEXT) | instid1(VALU_DEP_1)
	v_cvt_f16_f32_e32 v1, v1
	v_cvt_f32_f16_e32 v14, v1
	s_delay_alu instid0(VALU_DEP_1) | instskip(SKIP_2) | instid1(VALU_DEP_2)
	v_dual_mov_b32 v16, v10 :: v_dual_and_b32 v9, 0x7fffff, v14
	v_lshrrev_b32_e32 v13, 24, v14
	v_and_b32_e32 v15, 0x7f800000, v14
	v_and_b32_e32 v1, 0x80, v13
	s_delay_alu instid0(VALU_DEP_1) | instskip(NEXT) | instid1(VALU_DEP_3)
	v_or_b32_e32 v12, 0x7e, v1
	v_cmpx_ne_u64_e32 0x7f800000, v[15:16]
	s_xor_b32 s6, exec_lo, s0
	s_cbranch_execz .LBB11_1093
; %bb.1078:                             ;   in Loop: Header=BB11_1059 Depth=1
	v_dual_mov_b32 v16, v10 :: v_dual_and_b32 v15, 0x7fffffff, v14
	s_mov_b32 s0, exec_lo
	s_delay_alu instid0(VALU_DEP_1)
	v_cmpx_gt_u64_e32 0x43e00001, v[15:16]
	s_xor_b32 s7, exec_lo, s0
	s_cbranch_execz .LBB11_1092
; %bb.1079:                             ;   in Loop: Header=BB11_1059 Depth=1
	s_mov_b32 s8, exec_lo
	v_mov_b32_e32 v12, 0
	v_mov_b32_e32 v13, 0
	v_cmpx_ne_u32_e32 0, v14
	s_cbranch_execz .LBB11_1091
; %bb.1080:                             ;   in Loop: Header=BB11_1059 Depth=1
	v_bfe_u32 v16, v14, 23, 8
	v_or_b32_e32 v14, 0x800000, v9
	s_delay_alu instid0(VALU_DEP_2) | instskip(SKIP_1) | instid1(VALU_DEP_2)
	v_sub_nc_u32_e32 v12, 0x79, v16
	v_cmp_gt_u32_e32 vcc_lo, 0x7a, v16
	v_cndmask_b32_e32 v12, 0, v12, vcc_lo
	v_cmp_eq_u32_e32 vcc_lo, 0, v16
	v_cndmask_b32_e32 v9, v14, v9, vcc_lo
	s_delay_alu instid0(VALU_DEP_3) | instskip(NEXT) | instid1(VALU_DEP_1)
	v_cndmask_b32_e64 v17, v12, 0x78, vcc_lo
	v_add_nc_u32_e32 v12, 20, v17
	v_add_nc_u32_e32 v14, 19, v17
	s_delay_alu instid0(VALU_DEP_2) | instskip(NEXT) | instid1(VALU_DEP_2)
	v_lshlrev_b64 v[12:13], v12, -1
	v_lshlrev_b64 v[14:15], v14, 1
	s_delay_alu instid0(VALU_DEP_2) | instskip(NEXT) | instid1(VALU_DEP_3)
	v_not_b32_e32 v13, v13
	v_not_b32_e32 v12, v12
	s_delay_alu instid0(VALU_DEP_2) | instskip(NEXT) | instid1(VALU_DEP_2)
	v_and_b32_e32 v19, 0, v13
	v_and_b32_e32 v18, v9, v12
	v_lshrrev_b64 v[12:13], v17, v[9:10]
	s_delay_alu instid0(VALU_DEP_2) | instskip(NEXT) | instid1(VALU_DEP_2)
	v_cmp_eq_u64_e64 s0, v[18:19], v[14:15]
	v_dual_mov_b32 v15, v13 :: v_dual_mov_b32 v14, v12
	s_delay_alu instid0(VALU_DEP_2)
	s_and_saveexec_b32 s9, s0
; %bb.1081:                             ;   in Loop: Header=BB11_1059 Depth=1
	v_bfe_u32 v9, v12, 20, 1
	s_delay_alu instid0(VALU_DEP_1) | instskip(NEXT) | instid1(VALU_DEP_1)
	v_add_co_u32 v9, s0, v12, v9
	v_add_co_u32 v14, s0, v9, -1
; %bb.1082:                             ;   in Loop: Header=BB11_1059 Depth=1
	s_or_b32 exec_lo, exec_lo, s9
	v_add_nc_u32_e32 v9, 0xffffff81, v16
	v_lshrrev_b32_e32 v15, 23, v12
	s_mov_b32 s0, exec_lo
	s_delay_alu instid0(VALU_DEP_2) | instskip(NEXT) | instid1(VALU_DEP_1)
	v_cndmask_b32_e64 v9, v9, 0xffffff82, vcc_lo
	v_add3_u32 v15, v17, v9, v15
	v_and_b32_e32 v9, 0xfffff, v14
	s_delay_alu instid0(VALU_DEP_2) | instskip(NEXT) | instid1(VALU_DEP_2)
	v_add_nc_u32_e32 v14, 6, v15
	v_add_co_u32 v12, vcc_lo, v9, v12
	v_add_co_ci_u32_e32 v13, vcc_lo, 0, v13, vcc_lo
                                        ; implicit-def: $vgpr9
	s_delay_alu instid0(VALU_DEP_3)
	v_cmpx_ne_u32_e32 0, v14
	s_xor_b32 s0, exec_lo, s0
; %bb.1083:                             ;   in Loop: Header=BB11_1059 Depth=1
	s_delay_alu instid0(VALU_DEP_2) | instskip(SKIP_1) | instid1(VALU_DEP_1)
	v_cmp_lt_u64_e32 vcc_lo, 0xffffff, v[12:13]
	v_add_nc_u32_e32 v9, 7, v15
	v_cndmask_b32_e32 v9, v14, v9, vcc_lo
	v_cndmask_b32_e64 v14, 0, 1, vcc_lo
	s_delay_alu instid0(VALU_DEP_1)
	v_lshrrev_b64 v[12:13], v14, v[12:13]
; %bb.1084:                             ;   in Loop: Header=BB11_1059 Depth=1
	s_and_not1_saveexec_b32 s0, s0
; %bb.1085:                             ;   in Loop: Header=BB11_1059 Depth=1
	s_delay_alu instid0(VALU_DEP_1)
	v_bfe_u32 v9, v12, 23, 1
; %bb.1086:                             ;   in Loop: Header=BB11_1059 Depth=1
	s_or_b32 exec_lo, exec_lo, s0
	s_delay_alu instid0(VALU_DEP_2) | instskip(NEXT) | instid1(VALU_DEP_2)
	v_lshrrev_b64 v[12:13], 20, v[12:13]
	v_cmp_gt_i32_e32 vcc_lo, 16, v9
	v_cmp_ne_u32_e64 s0, 0, v9
	s_delay_alu instid0(VALU_DEP_3) | instskip(NEXT) | instid1(VALU_DEP_1)
	v_dual_cndmask_b32 v15, 0, v13 :: v_dual_cndmask_b32 v14, 7, v12
                                        ; implicit-def: $vgpr12_vgpr13
	v_cmp_ne_u64_e32 vcc_lo, 0, v[14:15]
	s_delay_alu instid0(VALU_DEP_3) | instskip(NEXT) | instid1(SALU_CYCLE_1)
	s_or_b32 s0, s0, vcc_lo
	s_and_saveexec_b32 s9, s0
	s_delay_alu instid0(SALU_CYCLE_1)
	s_xor_b32 s0, exec_lo, s9
; %bb.1087:                             ;   in Loop: Header=BB11_1059 Depth=1
	v_min_i32_e32 v9, 15, v9
	s_delay_alu instid0(VALU_DEP_1) | instskip(NEXT) | instid1(VALU_DEP_1)
	v_lshl_or_b32 v1, v9, 3, v1
	v_and_or_b32 v12, v14, 7, v1
                                        ; implicit-def: $vgpr1
; %bb.1088:                             ;   in Loop: Header=BB11_1059 Depth=1
	s_and_not1_saveexec_b32 s0, s0
; %bb.1089:                             ;   in Loop: Header=BB11_1059 Depth=1
	v_dual_mov_b32 v13, v2 :: v_dual_mov_b32 v12, v1
; %bb.1090:                             ;   in Loop: Header=BB11_1059 Depth=1
	s_or_b32 exec_lo, exec_lo, s0
.LBB11_1091:                            ;   in Loop: Header=BB11_1059 Depth=1
	s_delay_alu instid0(SALU_CYCLE_1)
	s_or_b32 exec_lo, exec_lo, s8
.LBB11_1092:                            ;   in Loop: Header=BB11_1059 Depth=1
	s_and_not1_saveexec_b32 s0, s7
	s_delay_alu instid0(SALU_CYCLE_1)
	s_or_b32 exec_lo, exec_lo, s0
                                        ; implicit-def: $vgpr13
.LBB11_1093:                            ;   in Loop: Header=BB11_1059 Depth=1
	s_and_not1_saveexec_b32 s0, s6
; %bb.1094:                             ;   in Loop: Header=BB11_1059 Depth=1
	v_cmp_eq_u64_e32 vcc_lo, 0, v[9:10]
	v_or_b32_e32 v1, 0x7f, v13
	s_delay_alu instid0(VALU_DEP_1)
	v_cndmask_b32_e32 v12, v1, v12, vcc_lo
; %bb.1095:                             ;   in Loop: Header=BB11_1059 Depth=1
	s_or_b32 exec_lo, exec_lo, s0
	v_cvt_f32_f16_e32 v1, v2
	v_mov_b32_e32 v17, v10
	s_mov_b32 s0, exec_lo
	s_delay_alu instid0(VALU_DEP_2) | instskip(NEXT) | instid1(VALU_DEP_1)
	v_div_scale_f32 v9, null, s26, s26, v1
	v_rcp_f32_e32 v13, v9
	s_waitcnt_depctr 0xfff
	v_fma_f32 v14, -v9, v13, 1.0
	s_delay_alu instid0(VALU_DEP_1) | instskip(SKIP_1) | instid1(VALU_DEP_1)
	v_fmac_f32_e32 v13, v14, v13
	v_div_scale_f32 v14, vcc_lo, v1, s26, v1
	v_mul_f32_e32 v15, v14, v13
	s_delay_alu instid0(VALU_DEP_1) | instskip(NEXT) | instid1(VALU_DEP_1)
	v_fma_f32 v16, -v9, v15, v14
	v_fmac_f32_e32 v15, v16, v13
	s_delay_alu instid0(VALU_DEP_1) | instskip(NEXT) | instid1(VALU_DEP_1)
	v_fma_f32 v9, -v9, v15, v14
	v_div_fmas_f32 v9, v9, v13, v15
	s_delay_alu instid0(VALU_DEP_1) | instskip(NEXT) | instid1(VALU_DEP_1)
	v_div_fixup_f32 v1, v9, s26, v1
	v_cvt_f16_f32_e32 v1, v1
	s_delay_alu instid0(VALU_DEP_1) | instskip(NEXT) | instid1(VALU_DEP_1)
	v_cvt_f32_f16_e32 v15, v1
	v_and_b32_e32 v16, 0x7f800000, v15
	v_lshrrev_b32_e32 v14, 24, v15
	v_and_b32_e32 v9, 0x7fffff, v15
	s_delay_alu instid0(VALU_DEP_2) | instskip(NEXT) | instid1(VALU_DEP_1)
	v_and_b32_e32 v1, 0x80, v14
	v_or_b32_e32 v13, 0x7e, v1
	v_cmpx_ne_u64_e32 0x7f800000, v[16:17]
	s_xor_b32 s6, exec_lo, s0
	s_cbranch_execz .LBB11_1111
; %bb.1096:                             ;   in Loop: Header=BB11_1059 Depth=1
	v_dual_mov_b32 v17, v10 :: v_dual_and_b32 v16, 0x7fffffff, v15
	s_mov_b32 s0, exec_lo
	s_delay_alu instid0(VALU_DEP_1)
	v_cmpx_gt_u64_e32 0x43e00001, v[16:17]
	s_xor_b32 s7, exec_lo, s0
	s_cbranch_execz .LBB11_1110
; %bb.1097:                             ;   in Loop: Header=BB11_1059 Depth=1
	s_mov_b32 s8, exec_lo
	v_mov_b32_e32 v13, 0
	v_mov_b32_e32 v14, 0
	v_cmpx_ne_u32_e32 0, v15
	s_cbranch_execz .LBB11_1109
; %bb.1098:                             ;   in Loop: Header=BB11_1059 Depth=1
	v_bfe_u32 v17, v15, 23, 8
	v_or_b32_e32 v15, 0x800000, v9
	s_delay_alu instid0(VALU_DEP_2) | instskip(SKIP_1) | instid1(VALU_DEP_2)
	v_sub_nc_u32_e32 v13, 0x79, v17
	v_cmp_gt_u32_e32 vcc_lo, 0x7a, v17
	v_cndmask_b32_e32 v13, 0, v13, vcc_lo
	v_cmp_eq_u32_e32 vcc_lo, 0, v17
	s_delay_alu instid0(VALU_DEP_2) | instskip(SKIP_1) | instid1(VALU_DEP_2)
	v_cndmask_b32_e64 v18, v13, 0x78, vcc_lo
	v_cndmask_b32_e32 v9, v15, v9, vcc_lo
	v_add_nc_u32_e32 v13, 20, v18
	v_add_nc_u32_e32 v15, 19, v18
	s_delay_alu instid0(VALU_DEP_2) | instskip(NEXT) | instid1(VALU_DEP_2)
	v_lshlrev_b64 v[13:14], v13, -1
	v_lshlrev_b64 v[15:16], v15, 1
	s_delay_alu instid0(VALU_DEP_2) | instskip(NEXT) | instid1(VALU_DEP_3)
	v_not_b32_e32 v14, v14
	v_not_b32_e32 v13, v13
	s_delay_alu instid0(VALU_DEP_2) | instskip(NEXT) | instid1(VALU_DEP_2)
	v_and_b32_e32 v22, 0, v14
	v_and_b32_e32 v21, v9, v13
	v_lshrrev_b64 v[13:14], v18, v[9:10]
	s_delay_alu instid0(VALU_DEP_2) | instskip(NEXT) | instid1(VALU_DEP_2)
	v_cmp_eq_u64_e64 s0, v[21:22], v[15:16]
	v_dual_mov_b32 v16, v14 :: v_dual_mov_b32 v15, v13
	s_delay_alu instid0(VALU_DEP_2)
	s_and_saveexec_b32 s9, s0
; %bb.1099:                             ;   in Loop: Header=BB11_1059 Depth=1
	v_bfe_u32 v9, v13, 20, 1
	s_delay_alu instid0(VALU_DEP_1) | instskip(NEXT) | instid1(VALU_DEP_1)
	v_add_co_u32 v9, s0, v13, v9
	v_add_co_u32 v15, s0, v9, -1
; %bb.1100:                             ;   in Loop: Header=BB11_1059 Depth=1
	s_or_b32 exec_lo, exec_lo, s9
	v_add_nc_u32_e32 v9, 0xffffff81, v17
	v_lshrrev_b32_e32 v16, 23, v13
	s_mov_b32 s0, exec_lo
	s_delay_alu instid0(VALU_DEP_2) | instskip(NEXT) | instid1(VALU_DEP_1)
	v_cndmask_b32_e64 v9, v9, 0xffffff82, vcc_lo
	v_add3_u32 v16, v18, v9, v16
	v_and_b32_e32 v9, 0xfffff, v15
	s_delay_alu instid0(VALU_DEP_2) | instskip(NEXT) | instid1(VALU_DEP_2)
	v_add_nc_u32_e32 v15, 6, v16
	v_add_co_u32 v13, vcc_lo, v9, v13
	v_add_co_ci_u32_e32 v14, vcc_lo, 0, v14, vcc_lo
                                        ; implicit-def: $vgpr9
	s_delay_alu instid0(VALU_DEP_3)
	v_cmpx_ne_u32_e32 0, v15
	s_xor_b32 s0, exec_lo, s0
; %bb.1101:                             ;   in Loop: Header=BB11_1059 Depth=1
	s_delay_alu instid0(VALU_DEP_2) | instskip(SKIP_1) | instid1(VALU_DEP_1)
	v_cmp_lt_u64_e32 vcc_lo, 0xffffff, v[13:14]
	v_add_nc_u32_e32 v9, 7, v16
	v_cndmask_b32_e32 v9, v15, v9, vcc_lo
	v_cndmask_b32_e64 v15, 0, 1, vcc_lo
	s_delay_alu instid0(VALU_DEP_1)
	v_lshrrev_b64 v[13:14], v15, v[13:14]
; %bb.1102:                             ;   in Loop: Header=BB11_1059 Depth=1
	s_and_not1_saveexec_b32 s0, s0
; %bb.1103:                             ;   in Loop: Header=BB11_1059 Depth=1
	s_delay_alu instid0(VALU_DEP_1)
	v_bfe_u32 v9, v13, 23, 1
; %bb.1104:                             ;   in Loop: Header=BB11_1059 Depth=1
	s_or_b32 exec_lo, exec_lo, s0
	s_delay_alu instid0(VALU_DEP_2) | instskip(NEXT) | instid1(VALU_DEP_2)
	v_lshrrev_b64 v[13:14], 20, v[13:14]
	v_cmp_gt_i32_e32 vcc_lo, 16, v9
	v_cmp_ne_u32_e64 s0, 0, v9
	s_delay_alu instid0(VALU_DEP_3) | instskip(NEXT) | instid1(VALU_DEP_1)
	v_dual_cndmask_b32 v16, 0, v14 :: v_dual_cndmask_b32 v15, 7, v13
                                        ; implicit-def: $vgpr13_vgpr14
	v_cmp_ne_u64_e32 vcc_lo, 0, v[15:16]
	s_delay_alu instid0(VALU_DEP_3) | instskip(NEXT) | instid1(SALU_CYCLE_1)
	s_or_b32 s0, s0, vcc_lo
	s_and_saveexec_b32 s9, s0
	s_delay_alu instid0(SALU_CYCLE_1)
	s_xor_b32 s0, exec_lo, s9
; %bb.1105:                             ;   in Loop: Header=BB11_1059 Depth=1
	v_min_i32_e32 v9, 15, v9
	s_delay_alu instid0(VALU_DEP_1) | instskip(NEXT) | instid1(VALU_DEP_1)
	v_lshl_or_b32 v1, v9, 3, v1
	v_and_or_b32 v13, v15, 7, v1
                                        ; implicit-def: $vgpr1
; %bb.1106:                             ;   in Loop: Header=BB11_1059 Depth=1
	s_and_not1_saveexec_b32 s0, s0
; %bb.1107:                             ;   in Loop: Header=BB11_1059 Depth=1
	v_dual_mov_b32 v14, v2 :: v_dual_mov_b32 v13, v1
; %bb.1108:                             ;   in Loop: Header=BB11_1059 Depth=1
	s_or_b32 exec_lo, exec_lo, s0
.LBB11_1109:                            ;   in Loop: Header=BB11_1059 Depth=1
	s_delay_alu instid0(SALU_CYCLE_1)
	s_or_b32 exec_lo, exec_lo, s8
.LBB11_1110:                            ;   in Loop: Header=BB11_1059 Depth=1
	s_and_not1_saveexec_b32 s0, s7
	s_delay_alu instid0(SALU_CYCLE_1)
	s_or_b32 exec_lo, exec_lo, s0
                                        ; implicit-def: $vgpr14
.LBB11_1111:                            ;   in Loop: Header=BB11_1059 Depth=1
	s_and_not1_saveexec_b32 s0, s6
; %bb.1112:                             ;   in Loop: Header=BB11_1059 Depth=1
	v_cmp_eq_u64_e32 vcc_lo, 0, v[9:10]
	v_or_b32_e32 v1, 0x7f, v14
	s_delay_alu instid0(VALU_DEP_1)
	v_cndmask_b32_e32 v13, v1, v13, vcc_lo
; %bb.1113:                             ;   in Loop: Header=BB11_1059 Depth=1
	s_or_b32 exec_lo, exec_lo, s0
	v_lshrrev_b32_e32 v1, 16, v2
	v_mov_b32_e32 v17, v10
	s_mov_b32 s0, exec_lo
	s_delay_alu instid0(VALU_DEP_2) | instskip(NEXT) | instid1(VALU_DEP_1)
	v_cvt_f32_f16_e32 v1, v1
	v_div_scale_f32 v2, null, s26, s26, v1
	s_delay_alu instid0(VALU_DEP_1) | instskip(SKIP_2) | instid1(VALU_DEP_1)
	v_rcp_f32_e32 v9, v2
	s_waitcnt_depctr 0xfff
	v_fma_f32 v14, -v2, v9, 1.0
	v_fmac_f32_e32 v9, v14, v9
	v_div_scale_f32 v14, vcc_lo, v1, s26, v1
	s_delay_alu instid0(VALU_DEP_1) | instskip(NEXT) | instid1(VALU_DEP_1)
	v_mul_f32_e32 v15, v14, v9
	v_fma_f32 v16, -v2, v15, v14
	s_delay_alu instid0(VALU_DEP_1) | instskip(NEXT) | instid1(VALU_DEP_1)
	v_fmac_f32_e32 v15, v16, v9
	v_fma_f32 v2, -v2, v15, v14
	s_delay_alu instid0(VALU_DEP_1) | instskip(NEXT) | instid1(VALU_DEP_1)
	v_div_fmas_f32 v2, v2, v9, v15
	v_div_fixup_f32 v1, v2, s26, v1
	s_delay_alu instid0(VALU_DEP_1) | instskip(NEXT) | instid1(VALU_DEP_1)
	v_cvt_f16_f32_e32 v1, v1
	v_cvt_f32_f16_e32 v15, v1
	s_delay_alu instid0(VALU_DEP_1) | instskip(SKIP_2) | instid1(VALU_DEP_3)
	v_lshrrev_b32_e32 v2, 24, v15
	v_and_b32_e32 v16, 0x7f800000, v15
	v_and_b32_e32 v9, 0x7fffff, v15
	;; [unrolled: 1-line block ×3, first 2 shown]
	s_delay_alu instid0(VALU_DEP_1) | instskip(NEXT) | instid1(VALU_DEP_4)
	v_or_b32_e32 v1, 0x7e, v14
	v_cmpx_ne_u64_e32 0x7f800000, v[16:17]
	s_xor_b32 s6, exec_lo, s0
	s_cbranch_execz .LBB11_1129
; %bb.1114:                             ;   in Loop: Header=BB11_1059 Depth=1
	v_dual_mov_b32 v17, v10 :: v_dual_and_b32 v16, 0x7fffffff, v15
	s_mov_b32 s0, exec_lo
	s_delay_alu instid0(VALU_DEP_1)
	v_cmpx_gt_u64_e32 0x43e00001, v[16:17]
	s_xor_b32 s7, exec_lo, s0
	s_cbranch_execz .LBB11_1128
; %bb.1115:                             ;   in Loop: Header=BB11_1059 Depth=1
	s_mov_b32 s8, exec_lo
	v_mov_b32_e32 v1, 0
	v_mov_b32_e32 v2, 0
	v_cmpx_ne_u32_e32 0, v15
	s_cbranch_execz .LBB11_1127
; %bb.1116:                             ;   in Loop: Header=BB11_1059 Depth=1
	v_bfe_u32 v17, v15, 23, 8
	v_or_b32_e32 v15, 0x800000, v9
	s_delay_alu instid0(VALU_DEP_2) | instskip(SKIP_1) | instid1(VALU_DEP_2)
	v_sub_nc_u32_e32 v1, 0x79, v17
	v_cmp_gt_u32_e32 vcc_lo, 0x7a, v17
	v_cndmask_b32_e32 v1, 0, v1, vcc_lo
	v_cmp_eq_u32_e32 vcc_lo, 0, v17
	s_delay_alu instid0(VALU_DEP_2) | instskip(SKIP_1) | instid1(VALU_DEP_2)
	v_cndmask_b32_e64 v18, v1, 0x78, vcc_lo
	v_cndmask_b32_e32 v9, v15, v9, vcc_lo
	v_add_nc_u32_e32 v1, 20, v18
	v_add_nc_u32_e32 v15, 19, v18
	s_delay_alu instid0(VALU_DEP_2) | instskip(NEXT) | instid1(VALU_DEP_2)
	v_lshlrev_b64 v[1:2], v1, -1
	v_lshlrev_b64 v[15:16], v15, 1
	s_delay_alu instid0(VALU_DEP_2) | instskip(NEXT) | instid1(VALU_DEP_3)
	v_not_b32_e32 v2, v2
	v_not_b32_e32 v1, v1
	s_delay_alu instid0(VALU_DEP_2) | instskip(NEXT) | instid1(VALU_DEP_2)
	v_and_b32_e32 v22, 0, v2
	v_and_b32_e32 v21, v9, v1
	v_lshrrev_b64 v[1:2], v18, v[9:10]
	s_delay_alu instid0(VALU_DEP_2) | instskip(NEXT) | instid1(VALU_DEP_2)
	v_cmp_eq_u64_e64 s0, v[21:22], v[15:16]
	v_dual_mov_b32 v16, v2 :: v_dual_mov_b32 v15, v1
	s_delay_alu instid0(VALU_DEP_2)
	s_and_saveexec_b32 s9, s0
; %bb.1117:                             ;   in Loop: Header=BB11_1059 Depth=1
	v_bfe_u32 v9, v1, 20, 1
	s_delay_alu instid0(VALU_DEP_1) | instskip(NEXT) | instid1(VALU_DEP_1)
	v_add_co_u32 v9, s0, v1, v9
	v_add_co_u32 v15, s0, v9, -1
; %bb.1118:                             ;   in Loop: Header=BB11_1059 Depth=1
	s_or_b32 exec_lo, exec_lo, s9
	v_add_nc_u32_e32 v9, 0xffffff81, v17
	v_lshrrev_b32_e32 v16, 23, v1
	s_mov_b32 s0, exec_lo
	s_delay_alu instid0(VALU_DEP_2) | instskip(NEXT) | instid1(VALU_DEP_1)
	v_cndmask_b32_e64 v9, v9, 0xffffff82, vcc_lo
	v_add3_u32 v16, v18, v9, v16
	v_and_b32_e32 v9, 0xfffff, v15
	s_delay_alu instid0(VALU_DEP_2) | instskip(NEXT) | instid1(VALU_DEP_2)
	v_add_nc_u32_e32 v15, 6, v16
	v_add_co_u32 v1, vcc_lo, v9, v1
	v_add_co_ci_u32_e32 v2, vcc_lo, 0, v2, vcc_lo
                                        ; implicit-def: $vgpr9
	s_delay_alu instid0(VALU_DEP_3)
	v_cmpx_ne_u32_e32 0, v15
	s_xor_b32 s0, exec_lo, s0
; %bb.1119:                             ;   in Loop: Header=BB11_1059 Depth=1
	s_delay_alu instid0(VALU_DEP_2) | instskip(SKIP_1) | instid1(VALU_DEP_1)
	v_cmp_lt_u64_e32 vcc_lo, 0xffffff, v[1:2]
	v_add_nc_u32_e32 v9, 7, v16
	v_cndmask_b32_e32 v9, v15, v9, vcc_lo
	v_cndmask_b32_e64 v15, 0, 1, vcc_lo
	s_delay_alu instid0(VALU_DEP_1)
	v_lshrrev_b64 v[1:2], v15, v[1:2]
; %bb.1120:                             ;   in Loop: Header=BB11_1059 Depth=1
	s_and_not1_saveexec_b32 s0, s0
; %bb.1121:                             ;   in Loop: Header=BB11_1059 Depth=1
	s_delay_alu instid0(VALU_DEP_1)
	v_bfe_u32 v9, v1, 23, 1
; %bb.1122:                             ;   in Loop: Header=BB11_1059 Depth=1
	s_or_b32 exec_lo, exec_lo, s0
	s_delay_alu instid0(VALU_DEP_2) | instskip(NEXT) | instid1(VALU_DEP_2)
	v_lshrrev_b64 v[1:2], 20, v[1:2]
	v_cmp_gt_i32_e32 vcc_lo, 16, v9
	v_cmp_ne_u32_e64 s0, 0, v9
	s_delay_alu instid0(VALU_DEP_3) | instskip(NEXT) | instid1(VALU_DEP_1)
	v_dual_cndmask_b32 v16, 0, v2 :: v_dual_cndmask_b32 v15, 7, v1
                                        ; implicit-def: $vgpr1_vgpr2
	v_cmp_ne_u64_e32 vcc_lo, 0, v[15:16]
	s_delay_alu instid0(VALU_DEP_3) | instskip(NEXT) | instid1(SALU_CYCLE_1)
	s_or_b32 s0, s0, vcc_lo
	s_and_saveexec_b32 s9, s0
	s_delay_alu instid0(SALU_CYCLE_1)
	s_xor_b32 s0, exec_lo, s9
; %bb.1123:                             ;   in Loop: Header=BB11_1059 Depth=1
	v_min_i32_e32 v1, 15, v9
	s_delay_alu instid0(VALU_DEP_1) | instskip(NEXT) | instid1(VALU_DEP_1)
	v_lshl_or_b32 v1, v1, 3, v14
                                        ; implicit-def: $vgpr14
	v_and_or_b32 v1, v15, 7, v1
; %bb.1124:                             ;   in Loop: Header=BB11_1059 Depth=1
	s_and_not1_saveexec_b32 s0, s0
; %bb.1125:                             ;   in Loop: Header=BB11_1059 Depth=1
	v_dual_mov_b32 v1, v14 :: v_dual_mov_b32 v2, v15
; %bb.1126:                             ;   in Loop: Header=BB11_1059 Depth=1
	s_or_b32 exec_lo, exec_lo, s0
.LBB11_1127:                            ;   in Loop: Header=BB11_1059 Depth=1
	s_delay_alu instid0(SALU_CYCLE_1)
	s_or_b32 exec_lo, exec_lo, s8
.LBB11_1128:                            ;   in Loop: Header=BB11_1059 Depth=1
	s_and_not1_saveexec_b32 s0, s7
	s_delay_alu instid0(SALU_CYCLE_1)
	s_or_b32 exec_lo, exec_lo, s0
                                        ; implicit-def: $vgpr2
.LBB11_1129:                            ;   in Loop: Header=BB11_1059 Depth=1
	s_and_not1_saveexec_b32 s0, s6
; %bb.1130:                             ;   in Loop: Header=BB11_1059 Depth=1
	v_cmp_eq_u64_e32 vcc_lo, 0, v[9:10]
	v_or_b32_e32 v2, 0x7f, v2
	s_delay_alu instid0(VALU_DEP_1)
	v_cndmask_b32_e32 v1, v2, v1, vcc_lo
; %bb.1131:                             ;   in Loop: Header=BB11_1059 Depth=1
	s_or_b32 exec_lo, exec_lo, s0
	v_cvt_f32_f16_e32 v2, v3
	s_mov_b32 s0, exec_lo
	s_delay_alu instid0(VALU_DEP_1) | instskip(NEXT) | instid1(VALU_DEP_1)
	v_div_scale_f32 v9, null, s26, s26, v2
	v_rcp_f32_e32 v14, v9
	s_waitcnt_depctr 0xfff
	v_fma_f32 v15, -v9, v14, 1.0
	s_delay_alu instid0(VALU_DEP_1) | instskip(SKIP_1) | instid1(VALU_DEP_1)
	v_fmac_f32_e32 v14, v15, v14
	v_div_scale_f32 v15, vcc_lo, v2, s26, v2
	v_mul_f32_e32 v16, v15, v14
	s_delay_alu instid0(VALU_DEP_1) | instskip(NEXT) | instid1(VALU_DEP_1)
	v_fma_f32 v17, -v9, v16, v15
	v_fmac_f32_e32 v16, v17, v14
	s_delay_alu instid0(VALU_DEP_1) | instskip(NEXT) | instid1(VALU_DEP_1)
	v_fma_f32 v9, -v9, v16, v15
	v_div_fmas_f32 v9, v9, v14, v16
	s_delay_alu instid0(VALU_DEP_1) | instskip(NEXT) | instid1(VALU_DEP_1)
	v_div_fixup_f32 v2, v9, s26, v2
	v_cvt_f16_f32_e32 v2, v2
	s_delay_alu instid0(VALU_DEP_1) | instskip(NEXT) | instid1(VALU_DEP_1)
	v_cvt_f32_f16_e32 v16, v2
	v_dual_mov_b32 v18, v10 :: v_dual_and_b32 v9, 0x7fffff, v16
	v_lshrrev_b32_e32 v15, 24, v16
	v_and_b32_e32 v17, 0x7f800000, v16
	s_delay_alu instid0(VALU_DEP_2) | instskip(NEXT) | instid1(VALU_DEP_1)
	v_and_b32_e32 v2, 0x80, v15
	v_or_b32_e32 v14, 0x7e, v2
	s_delay_alu instid0(VALU_DEP_3)
	v_cmpx_ne_u64_e32 0x7f800000, v[17:18]
	s_xor_b32 s6, exec_lo, s0
	s_cbranch_execz .LBB11_1147
; %bb.1132:                             ;   in Loop: Header=BB11_1059 Depth=1
	v_dual_mov_b32 v18, v10 :: v_dual_and_b32 v17, 0x7fffffff, v16
	s_mov_b32 s0, exec_lo
	s_delay_alu instid0(VALU_DEP_1)
	v_cmpx_gt_u64_e32 0x43e00001, v[17:18]
	s_xor_b32 s7, exec_lo, s0
	s_cbranch_execz .LBB11_1146
; %bb.1133:                             ;   in Loop: Header=BB11_1059 Depth=1
	s_mov_b32 s8, exec_lo
	v_mov_b32_e32 v14, 0
	v_mov_b32_e32 v15, 0
	v_cmpx_ne_u32_e32 0, v16
	s_cbranch_execz .LBB11_1145
; %bb.1134:                             ;   in Loop: Header=BB11_1059 Depth=1
	v_bfe_u32 v18, v16, 23, 8
	v_or_b32_e32 v16, 0x800000, v9
	s_delay_alu instid0(VALU_DEP_2) | instskip(SKIP_1) | instid1(VALU_DEP_2)
	v_sub_nc_u32_e32 v14, 0x79, v18
	v_cmp_gt_u32_e32 vcc_lo, 0x7a, v18
	v_cndmask_b32_e32 v14, 0, v14, vcc_lo
	v_cmp_eq_u32_e32 vcc_lo, 0, v18
	v_cndmask_b32_e32 v9, v16, v9, vcc_lo
	s_delay_alu instid0(VALU_DEP_3) | instskip(NEXT) | instid1(VALU_DEP_1)
	v_cndmask_b32_e64 v19, v14, 0x78, vcc_lo
	v_add_nc_u32_e32 v14, 20, v19
	v_add_nc_u32_e32 v16, 19, v19
	s_delay_alu instid0(VALU_DEP_2) | instskip(NEXT) | instid1(VALU_DEP_2)
	v_lshlrev_b64 v[14:15], v14, -1
	v_lshlrev_b64 v[16:17], v16, 1
	s_delay_alu instid0(VALU_DEP_2) | instskip(NEXT) | instid1(VALU_DEP_3)
	v_not_b32_e32 v15, v15
	v_not_b32_e32 v14, v14
	s_delay_alu instid0(VALU_DEP_2) | instskip(NEXT) | instid1(VALU_DEP_2)
	v_and_b32_e32 v22, 0, v15
	v_and_b32_e32 v21, v9, v14
	v_lshrrev_b64 v[14:15], v19, v[9:10]
	s_delay_alu instid0(VALU_DEP_2) | instskip(NEXT) | instid1(VALU_DEP_2)
	v_cmp_eq_u64_e64 s0, v[21:22], v[16:17]
	v_dual_mov_b32 v17, v15 :: v_dual_mov_b32 v16, v14
	s_delay_alu instid0(VALU_DEP_2)
	s_and_saveexec_b32 s9, s0
; %bb.1135:                             ;   in Loop: Header=BB11_1059 Depth=1
	v_bfe_u32 v9, v14, 20, 1
	s_delay_alu instid0(VALU_DEP_1) | instskip(NEXT) | instid1(VALU_DEP_1)
	v_add_co_u32 v9, s0, v14, v9
	v_add_co_u32 v16, s0, v9, -1
; %bb.1136:                             ;   in Loop: Header=BB11_1059 Depth=1
	s_or_b32 exec_lo, exec_lo, s9
	v_add_nc_u32_e32 v9, 0xffffff81, v18
	v_lshrrev_b32_e32 v17, 23, v14
	s_mov_b32 s0, exec_lo
	s_delay_alu instid0(VALU_DEP_2) | instskip(NEXT) | instid1(VALU_DEP_1)
	v_cndmask_b32_e64 v9, v9, 0xffffff82, vcc_lo
	v_add3_u32 v17, v19, v9, v17
	v_and_b32_e32 v9, 0xfffff, v16
	s_delay_alu instid0(VALU_DEP_2) | instskip(NEXT) | instid1(VALU_DEP_2)
	v_add_nc_u32_e32 v16, 6, v17
	v_add_co_u32 v14, vcc_lo, v9, v14
	v_add_co_ci_u32_e32 v15, vcc_lo, 0, v15, vcc_lo
                                        ; implicit-def: $vgpr9
	s_delay_alu instid0(VALU_DEP_3)
	v_cmpx_ne_u32_e32 0, v16
	s_xor_b32 s0, exec_lo, s0
; %bb.1137:                             ;   in Loop: Header=BB11_1059 Depth=1
	s_delay_alu instid0(VALU_DEP_2) | instskip(SKIP_1) | instid1(VALU_DEP_1)
	v_cmp_lt_u64_e32 vcc_lo, 0xffffff, v[14:15]
	v_add_nc_u32_e32 v9, 7, v17
	v_cndmask_b32_e32 v9, v16, v9, vcc_lo
	v_cndmask_b32_e64 v16, 0, 1, vcc_lo
	s_delay_alu instid0(VALU_DEP_1)
	v_lshrrev_b64 v[14:15], v16, v[14:15]
; %bb.1138:                             ;   in Loop: Header=BB11_1059 Depth=1
	s_and_not1_saveexec_b32 s0, s0
; %bb.1139:                             ;   in Loop: Header=BB11_1059 Depth=1
	s_delay_alu instid0(VALU_DEP_1)
	v_bfe_u32 v9, v14, 23, 1
; %bb.1140:                             ;   in Loop: Header=BB11_1059 Depth=1
	s_or_b32 exec_lo, exec_lo, s0
	s_delay_alu instid0(VALU_DEP_2) | instskip(NEXT) | instid1(VALU_DEP_2)
	v_lshrrev_b64 v[14:15], 20, v[14:15]
	v_cmp_gt_i32_e32 vcc_lo, 16, v9
	v_cmp_ne_u32_e64 s0, 0, v9
	s_delay_alu instid0(VALU_DEP_3) | instskip(NEXT) | instid1(VALU_DEP_1)
	v_dual_cndmask_b32 v17, 0, v15 :: v_dual_cndmask_b32 v16, 7, v14
                                        ; implicit-def: $vgpr14_vgpr15
	v_cmp_ne_u64_e32 vcc_lo, 0, v[16:17]
	s_delay_alu instid0(VALU_DEP_3) | instskip(NEXT) | instid1(SALU_CYCLE_1)
	s_or_b32 s0, s0, vcc_lo
	s_and_saveexec_b32 s9, s0
	s_delay_alu instid0(SALU_CYCLE_1)
	s_xor_b32 s0, exec_lo, s9
; %bb.1141:                             ;   in Loop: Header=BB11_1059 Depth=1
	v_min_i32_e32 v9, 15, v9
	s_delay_alu instid0(VALU_DEP_1) | instskip(NEXT) | instid1(VALU_DEP_1)
	v_lshl_or_b32 v2, v9, 3, v2
	v_and_or_b32 v14, v16, 7, v2
                                        ; implicit-def: $vgpr2
; %bb.1142:                             ;   in Loop: Header=BB11_1059 Depth=1
	s_and_not1_saveexec_b32 s0, s0
; %bb.1143:                             ;   in Loop: Header=BB11_1059 Depth=1
	v_dual_mov_b32 v15, v3 :: v_dual_mov_b32 v14, v2
; %bb.1144:                             ;   in Loop: Header=BB11_1059 Depth=1
	s_or_b32 exec_lo, exec_lo, s0
.LBB11_1145:                            ;   in Loop: Header=BB11_1059 Depth=1
	s_delay_alu instid0(SALU_CYCLE_1)
	s_or_b32 exec_lo, exec_lo, s8
.LBB11_1146:                            ;   in Loop: Header=BB11_1059 Depth=1
	s_and_not1_saveexec_b32 s0, s7
	s_delay_alu instid0(SALU_CYCLE_1)
	s_or_b32 exec_lo, exec_lo, s0
                                        ; implicit-def: $vgpr15
.LBB11_1147:                            ;   in Loop: Header=BB11_1059 Depth=1
	s_and_not1_saveexec_b32 s0, s6
; %bb.1148:                             ;   in Loop: Header=BB11_1059 Depth=1
	v_cmp_eq_u64_e32 vcc_lo, 0, v[9:10]
	v_or_b32_e32 v2, 0x7f, v15
	s_delay_alu instid0(VALU_DEP_1)
	v_cndmask_b32_e32 v14, v2, v14, vcc_lo
; %bb.1149:                             ;   in Loop: Header=BB11_1059 Depth=1
	s_or_b32 exec_lo, exec_lo, s0
	v_lshrrev_b32_e32 v2, 16, v3
	s_mov_b32 s0, exec_lo
	v_mov_b32_e32 v18, v10
	s_delay_alu instid0(VALU_DEP_2) | instskip(NEXT) | instid1(VALU_DEP_1)
	v_cvt_f32_f16_e32 v2, v2
	v_div_scale_f32 v3, null, s26, s26, v2
	s_delay_alu instid0(VALU_DEP_1) | instskip(SKIP_2) | instid1(VALU_DEP_1)
	v_rcp_f32_e32 v9, v3
	s_waitcnt_depctr 0xfff
	v_fma_f32 v15, -v3, v9, 1.0
	v_fmac_f32_e32 v9, v15, v9
	v_div_scale_f32 v15, vcc_lo, v2, s26, v2
	s_delay_alu instid0(VALU_DEP_1) | instskip(NEXT) | instid1(VALU_DEP_1)
	v_mul_f32_e32 v16, v15, v9
	v_fma_f32 v17, -v3, v16, v15
	s_delay_alu instid0(VALU_DEP_1) | instskip(NEXT) | instid1(VALU_DEP_1)
	v_fmac_f32_e32 v16, v17, v9
	v_fma_f32 v3, -v3, v16, v15
	s_delay_alu instid0(VALU_DEP_1) | instskip(NEXT) | instid1(VALU_DEP_1)
	v_div_fmas_f32 v3, v3, v9, v16
	v_div_fixup_f32 v2, v3, s26, v2
	s_delay_alu instid0(VALU_DEP_1) | instskip(NEXT) | instid1(VALU_DEP_1)
	v_cvt_f16_f32_e32 v2, v2
	v_cvt_f32_f16_e32 v16, v2
	s_delay_alu instid0(VALU_DEP_1) | instskip(SKIP_2) | instid1(VALU_DEP_3)
	v_lshrrev_b32_e32 v3, 24, v16
	v_and_b32_e32 v17, 0x7f800000, v16
	v_and_b32_e32 v9, 0x7fffff, v16
	;; [unrolled: 1-line block ×3, first 2 shown]
	s_delay_alu instid0(VALU_DEP_1) | instskip(NEXT) | instid1(VALU_DEP_4)
	v_or_b32_e32 v2, 0x7e, v15
	v_cmpx_ne_u64_e32 0x7f800000, v[17:18]
	s_xor_b32 s6, exec_lo, s0
	s_cbranch_execz .LBB11_1165
; %bb.1150:                             ;   in Loop: Header=BB11_1059 Depth=1
	v_dual_mov_b32 v18, v10 :: v_dual_and_b32 v17, 0x7fffffff, v16
	s_mov_b32 s0, exec_lo
	s_delay_alu instid0(VALU_DEP_1)
	v_cmpx_gt_u64_e32 0x43e00001, v[17:18]
	s_xor_b32 s7, exec_lo, s0
	s_cbranch_execz .LBB11_1164
; %bb.1151:                             ;   in Loop: Header=BB11_1059 Depth=1
	s_mov_b32 s8, exec_lo
	v_mov_b32_e32 v2, 0
	v_mov_b32_e32 v3, 0
	v_cmpx_ne_u32_e32 0, v16
	s_cbranch_execz .LBB11_1163
; %bb.1152:                             ;   in Loop: Header=BB11_1059 Depth=1
	v_bfe_u32 v18, v16, 23, 8
	v_or_b32_e32 v16, 0x800000, v9
	s_delay_alu instid0(VALU_DEP_2) | instskip(SKIP_1) | instid1(VALU_DEP_2)
	v_sub_nc_u32_e32 v2, 0x79, v18
	v_cmp_gt_u32_e32 vcc_lo, 0x7a, v18
	v_cndmask_b32_e32 v2, 0, v2, vcc_lo
	v_cmp_eq_u32_e32 vcc_lo, 0, v18
	v_cndmask_b32_e32 v9, v16, v9, vcc_lo
	s_delay_alu instid0(VALU_DEP_3) | instskip(NEXT) | instid1(VALU_DEP_1)
	v_cndmask_b32_e64 v19, v2, 0x78, vcc_lo
	v_add_nc_u32_e32 v2, 20, v19
	v_add_nc_u32_e32 v16, 19, v19
	s_delay_alu instid0(VALU_DEP_2) | instskip(NEXT) | instid1(VALU_DEP_2)
	v_lshlrev_b64 v[2:3], v2, -1
	v_lshlrev_b64 v[16:17], v16, 1
	s_delay_alu instid0(VALU_DEP_2) | instskip(NEXT) | instid1(VALU_DEP_3)
	v_not_b32_e32 v3, v3
	v_not_b32_e32 v2, v2
	s_delay_alu instid0(VALU_DEP_2) | instskip(NEXT) | instid1(VALU_DEP_2)
	v_and_b32_e32 v22, 0, v3
	v_and_b32_e32 v21, v9, v2
	v_lshrrev_b64 v[2:3], v19, v[9:10]
	s_delay_alu instid0(VALU_DEP_2) | instskip(NEXT) | instid1(VALU_DEP_2)
	v_cmp_eq_u64_e64 s0, v[21:22], v[16:17]
	v_dual_mov_b32 v17, v3 :: v_dual_mov_b32 v16, v2
	s_delay_alu instid0(VALU_DEP_2)
	s_and_saveexec_b32 s9, s0
; %bb.1153:                             ;   in Loop: Header=BB11_1059 Depth=1
	v_bfe_u32 v9, v2, 20, 1
	s_delay_alu instid0(VALU_DEP_1) | instskip(NEXT) | instid1(VALU_DEP_1)
	v_add_co_u32 v9, s0, v2, v9
	v_add_co_u32 v16, s0, v9, -1
; %bb.1154:                             ;   in Loop: Header=BB11_1059 Depth=1
	s_or_b32 exec_lo, exec_lo, s9
	v_add_nc_u32_e32 v9, 0xffffff81, v18
	v_lshrrev_b32_e32 v17, 23, v2
	s_mov_b32 s0, exec_lo
	s_delay_alu instid0(VALU_DEP_2) | instskip(NEXT) | instid1(VALU_DEP_1)
	v_cndmask_b32_e64 v9, v9, 0xffffff82, vcc_lo
	v_add3_u32 v17, v19, v9, v17
	v_and_b32_e32 v9, 0xfffff, v16
	s_delay_alu instid0(VALU_DEP_2) | instskip(NEXT) | instid1(VALU_DEP_2)
	v_add_nc_u32_e32 v16, 6, v17
	v_add_co_u32 v2, vcc_lo, v9, v2
	v_add_co_ci_u32_e32 v3, vcc_lo, 0, v3, vcc_lo
                                        ; implicit-def: $vgpr9
	s_delay_alu instid0(VALU_DEP_3)
	v_cmpx_ne_u32_e32 0, v16
	s_xor_b32 s0, exec_lo, s0
; %bb.1155:                             ;   in Loop: Header=BB11_1059 Depth=1
	s_delay_alu instid0(VALU_DEP_2) | instskip(SKIP_1) | instid1(VALU_DEP_1)
	v_cmp_lt_u64_e32 vcc_lo, 0xffffff, v[2:3]
	v_add_nc_u32_e32 v9, 7, v17
	v_cndmask_b32_e32 v9, v16, v9, vcc_lo
	v_cndmask_b32_e64 v16, 0, 1, vcc_lo
	s_delay_alu instid0(VALU_DEP_1)
	v_lshrrev_b64 v[2:3], v16, v[2:3]
; %bb.1156:                             ;   in Loop: Header=BB11_1059 Depth=1
	s_and_not1_saveexec_b32 s0, s0
; %bb.1157:                             ;   in Loop: Header=BB11_1059 Depth=1
	s_delay_alu instid0(VALU_DEP_1)
	v_bfe_u32 v9, v2, 23, 1
; %bb.1158:                             ;   in Loop: Header=BB11_1059 Depth=1
	s_or_b32 exec_lo, exec_lo, s0
	s_delay_alu instid0(VALU_DEP_2) | instskip(NEXT) | instid1(VALU_DEP_2)
	v_lshrrev_b64 v[2:3], 20, v[2:3]
	v_cmp_gt_i32_e32 vcc_lo, 16, v9
	v_cmp_ne_u32_e64 s0, 0, v9
	s_delay_alu instid0(VALU_DEP_3) | instskip(NEXT) | instid1(VALU_DEP_1)
	v_dual_cndmask_b32 v17, 0, v3 :: v_dual_cndmask_b32 v16, 7, v2
                                        ; implicit-def: $vgpr2_vgpr3
	v_cmp_ne_u64_e32 vcc_lo, 0, v[16:17]
	s_delay_alu instid0(VALU_DEP_3) | instskip(NEXT) | instid1(SALU_CYCLE_1)
	s_or_b32 s0, s0, vcc_lo
	s_and_saveexec_b32 s9, s0
	s_delay_alu instid0(SALU_CYCLE_1)
	s_xor_b32 s0, exec_lo, s9
; %bb.1159:                             ;   in Loop: Header=BB11_1059 Depth=1
	v_min_i32_e32 v2, 15, v9
	s_delay_alu instid0(VALU_DEP_1) | instskip(NEXT) | instid1(VALU_DEP_1)
	v_lshl_or_b32 v2, v2, 3, v15
                                        ; implicit-def: $vgpr15
	v_and_or_b32 v2, v16, 7, v2
; %bb.1160:                             ;   in Loop: Header=BB11_1059 Depth=1
	s_and_not1_saveexec_b32 s0, s0
; %bb.1161:                             ;   in Loop: Header=BB11_1059 Depth=1
	v_dual_mov_b32 v2, v15 :: v_dual_mov_b32 v3, v16
; %bb.1162:                             ;   in Loop: Header=BB11_1059 Depth=1
	s_or_b32 exec_lo, exec_lo, s0
.LBB11_1163:                            ;   in Loop: Header=BB11_1059 Depth=1
	s_delay_alu instid0(SALU_CYCLE_1)
	s_or_b32 exec_lo, exec_lo, s8
.LBB11_1164:                            ;   in Loop: Header=BB11_1059 Depth=1
	s_and_not1_saveexec_b32 s0, s7
	s_delay_alu instid0(SALU_CYCLE_1)
	s_or_b32 exec_lo, exec_lo, s0
                                        ; implicit-def: $vgpr3
.LBB11_1165:                            ;   in Loop: Header=BB11_1059 Depth=1
	s_and_not1_saveexec_b32 s0, s6
; %bb.1166:                             ;   in Loop: Header=BB11_1059 Depth=1
	v_cmp_eq_u64_e32 vcc_lo, 0, v[9:10]
	v_or_b32_e32 v3, 0x7f, v3
	s_delay_alu instid0(VALU_DEP_1)
	v_cndmask_b32_e32 v2, v3, v2, vcc_lo
; %bb.1167:                             ;   in Loop: Header=BB11_1059 Depth=1
	s_or_b32 exec_lo, exec_lo, s0
	v_cvt_f32_f16_e32 v3, v4
	v_mov_b32_e32 v19, v10
	s_mov_b32 s0, exec_lo
	s_delay_alu instid0(VALU_DEP_2) | instskip(NEXT) | instid1(VALU_DEP_1)
	v_div_scale_f32 v9, null, s26, s26, v3
	v_rcp_f32_e32 v15, v9
	s_waitcnt_depctr 0xfff
	v_fma_f32 v16, -v9, v15, 1.0
	s_delay_alu instid0(VALU_DEP_1) | instskip(SKIP_1) | instid1(VALU_DEP_1)
	v_fmac_f32_e32 v15, v16, v15
	v_div_scale_f32 v16, vcc_lo, v3, s26, v3
	v_mul_f32_e32 v17, v16, v15
	s_delay_alu instid0(VALU_DEP_1) | instskip(NEXT) | instid1(VALU_DEP_1)
	v_fma_f32 v18, -v9, v17, v16
	v_fmac_f32_e32 v17, v18, v15
	s_delay_alu instid0(VALU_DEP_1) | instskip(NEXT) | instid1(VALU_DEP_1)
	v_fma_f32 v9, -v9, v17, v16
	v_div_fmas_f32 v9, v9, v15, v17
	s_delay_alu instid0(VALU_DEP_1) | instskip(NEXT) | instid1(VALU_DEP_1)
	v_div_fixup_f32 v3, v9, s26, v3
	v_cvt_f16_f32_e32 v3, v3
	s_delay_alu instid0(VALU_DEP_1) | instskip(NEXT) | instid1(VALU_DEP_1)
	v_cvt_f32_f16_e32 v17, v3
	v_and_b32_e32 v18, 0x7f800000, v17
	v_lshrrev_b32_e32 v16, 24, v17
	v_and_b32_e32 v9, 0x7fffff, v17
	s_delay_alu instid0(VALU_DEP_2) | instskip(NEXT) | instid1(VALU_DEP_1)
	v_and_b32_e32 v3, 0x80, v16
	v_or_b32_e32 v15, 0x7e, v3
	v_cmpx_ne_u64_e32 0x7f800000, v[18:19]
	s_xor_b32 s6, exec_lo, s0
	s_cbranch_execz .LBB11_1183
; %bb.1168:                             ;   in Loop: Header=BB11_1059 Depth=1
	v_dual_mov_b32 v19, v10 :: v_dual_and_b32 v18, 0x7fffffff, v17
	s_mov_b32 s0, exec_lo
	s_delay_alu instid0(VALU_DEP_1)
	v_cmpx_gt_u64_e32 0x43e00001, v[18:19]
	s_xor_b32 s7, exec_lo, s0
	s_cbranch_execz .LBB11_1182
; %bb.1169:                             ;   in Loop: Header=BB11_1059 Depth=1
	s_mov_b32 s8, exec_lo
	v_mov_b32_e32 v15, 0
	v_mov_b32_e32 v16, 0
	v_cmpx_ne_u32_e32 0, v17
	s_cbranch_execz .LBB11_1181
; %bb.1170:                             ;   in Loop: Header=BB11_1059 Depth=1
	v_bfe_u32 v19, v17, 23, 8
	v_or_b32_e32 v17, 0x800000, v9
	s_delay_alu instid0(VALU_DEP_2) | instskip(SKIP_1) | instid1(VALU_DEP_2)
	v_sub_nc_u32_e32 v15, 0x79, v19
	v_cmp_gt_u32_e32 vcc_lo, 0x7a, v19
	v_cndmask_b32_e32 v15, 0, v15, vcc_lo
	v_cmp_eq_u32_e32 vcc_lo, 0, v19
	s_delay_alu instid0(VALU_DEP_2) | instskip(SKIP_1) | instid1(VALU_DEP_2)
	v_cndmask_b32_e64 v21, v15, 0x78, vcc_lo
	v_cndmask_b32_e32 v9, v17, v9, vcc_lo
	v_add_nc_u32_e32 v15, 20, v21
	v_add_nc_u32_e32 v17, 19, v21
	s_delay_alu instid0(VALU_DEP_2) | instskip(NEXT) | instid1(VALU_DEP_2)
	v_lshlrev_b64 v[15:16], v15, -1
	v_lshlrev_b64 v[17:18], v17, 1
	s_delay_alu instid0(VALU_DEP_2) | instskip(NEXT) | instid1(VALU_DEP_3)
	v_not_b32_e32 v16, v16
	v_not_b32_e32 v15, v15
	s_delay_alu instid0(VALU_DEP_2) | instskip(NEXT) | instid1(VALU_DEP_2)
	v_and_b32_e32 v23, 0, v16
	v_and_b32_e32 v22, v9, v15
	v_lshrrev_b64 v[15:16], v21, v[9:10]
	s_delay_alu instid0(VALU_DEP_2) | instskip(NEXT) | instid1(VALU_DEP_2)
	v_cmp_eq_u64_e64 s0, v[22:23], v[17:18]
	v_dual_mov_b32 v18, v16 :: v_dual_mov_b32 v17, v15
	s_delay_alu instid0(VALU_DEP_2)
	s_and_saveexec_b32 s9, s0
; %bb.1171:                             ;   in Loop: Header=BB11_1059 Depth=1
	v_bfe_u32 v9, v15, 20, 1
	s_delay_alu instid0(VALU_DEP_1) | instskip(NEXT) | instid1(VALU_DEP_1)
	v_add_co_u32 v9, s0, v15, v9
	v_add_co_u32 v17, s0, v9, -1
; %bb.1172:                             ;   in Loop: Header=BB11_1059 Depth=1
	s_or_b32 exec_lo, exec_lo, s9
	v_add_nc_u32_e32 v9, 0xffffff81, v19
	v_lshrrev_b32_e32 v18, 23, v15
	s_mov_b32 s0, exec_lo
	s_delay_alu instid0(VALU_DEP_2) | instskip(NEXT) | instid1(VALU_DEP_1)
	v_cndmask_b32_e64 v9, v9, 0xffffff82, vcc_lo
	v_add3_u32 v18, v21, v9, v18
	v_and_b32_e32 v9, 0xfffff, v17
	s_delay_alu instid0(VALU_DEP_2) | instskip(NEXT) | instid1(VALU_DEP_2)
	v_add_nc_u32_e32 v17, 6, v18
	v_add_co_u32 v15, vcc_lo, v9, v15
	v_add_co_ci_u32_e32 v16, vcc_lo, 0, v16, vcc_lo
                                        ; implicit-def: $vgpr9
	s_delay_alu instid0(VALU_DEP_3)
	v_cmpx_ne_u32_e32 0, v17
	s_xor_b32 s0, exec_lo, s0
; %bb.1173:                             ;   in Loop: Header=BB11_1059 Depth=1
	s_delay_alu instid0(VALU_DEP_2) | instskip(SKIP_1) | instid1(VALU_DEP_1)
	v_cmp_lt_u64_e32 vcc_lo, 0xffffff, v[15:16]
	v_add_nc_u32_e32 v9, 7, v18
	v_cndmask_b32_e32 v9, v17, v9, vcc_lo
	v_cndmask_b32_e64 v17, 0, 1, vcc_lo
	s_delay_alu instid0(VALU_DEP_1)
	v_lshrrev_b64 v[15:16], v17, v[15:16]
; %bb.1174:                             ;   in Loop: Header=BB11_1059 Depth=1
	s_and_not1_saveexec_b32 s0, s0
; %bb.1175:                             ;   in Loop: Header=BB11_1059 Depth=1
	s_delay_alu instid0(VALU_DEP_1)
	v_bfe_u32 v9, v15, 23, 1
; %bb.1176:                             ;   in Loop: Header=BB11_1059 Depth=1
	s_or_b32 exec_lo, exec_lo, s0
	s_delay_alu instid0(VALU_DEP_2) | instskip(NEXT) | instid1(VALU_DEP_2)
	v_lshrrev_b64 v[15:16], 20, v[15:16]
	v_cmp_gt_i32_e32 vcc_lo, 16, v9
	v_cmp_ne_u32_e64 s0, 0, v9
	s_delay_alu instid0(VALU_DEP_3) | instskip(NEXT) | instid1(VALU_DEP_1)
	v_dual_cndmask_b32 v18, 0, v16 :: v_dual_cndmask_b32 v17, 7, v15
                                        ; implicit-def: $vgpr15_vgpr16
	v_cmp_ne_u64_e32 vcc_lo, 0, v[17:18]
	s_delay_alu instid0(VALU_DEP_3) | instskip(NEXT) | instid1(SALU_CYCLE_1)
	s_or_b32 s0, s0, vcc_lo
	s_and_saveexec_b32 s9, s0
	s_delay_alu instid0(SALU_CYCLE_1)
	s_xor_b32 s0, exec_lo, s9
; %bb.1177:                             ;   in Loop: Header=BB11_1059 Depth=1
	v_min_i32_e32 v9, 15, v9
	s_delay_alu instid0(VALU_DEP_1) | instskip(NEXT) | instid1(VALU_DEP_1)
	v_lshl_or_b32 v3, v9, 3, v3
	v_and_or_b32 v15, v17, 7, v3
                                        ; implicit-def: $vgpr3
; %bb.1178:                             ;   in Loop: Header=BB11_1059 Depth=1
	s_and_not1_saveexec_b32 s0, s0
; %bb.1179:                             ;   in Loop: Header=BB11_1059 Depth=1
	v_dual_mov_b32 v16, v4 :: v_dual_mov_b32 v15, v3
; %bb.1180:                             ;   in Loop: Header=BB11_1059 Depth=1
	s_or_b32 exec_lo, exec_lo, s0
.LBB11_1181:                            ;   in Loop: Header=BB11_1059 Depth=1
	s_delay_alu instid0(SALU_CYCLE_1)
	s_or_b32 exec_lo, exec_lo, s8
.LBB11_1182:                            ;   in Loop: Header=BB11_1059 Depth=1
	s_and_not1_saveexec_b32 s0, s7
	s_delay_alu instid0(SALU_CYCLE_1)
	s_or_b32 exec_lo, exec_lo, s0
                                        ; implicit-def: $vgpr16
.LBB11_1183:                            ;   in Loop: Header=BB11_1059 Depth=1
	s_and_not1_saveexec_b32 s0, s6
; %bb.1184:                             ;   in Loop: Header=BB11_1059 Depth=1
	v_cmp_eq_u64_e32 vcc_lo, 0, v[9:10]
	v_or_b32_e32 v3, 0x7f, v16
	s_delay_alu instid0(VALU_DEP_1)
	v_cndmask_b32_e32 v15, v3, v15, vcc_lo
; %bb.1185:                             ;   in Loop: Header=BB11_1059 Depth=1
	s_or_b32 exec_lo, exec_lo, s0
	v_lshrrev_b32_e32 v3, 16, v4
	v_mov_b32_e32 v19, v10
	s_mov_b32 s0, exec_lo
	s_delay_alu instid0(VALU_DEP_2) | instskip(NEXT) | instid1(VALU_DEP_1)
	v_cvt_f32_f16_e32 v3, v3
	v_div_scale_f32 v4, null, s26, s26, v3
	s_delay_alu instid0(VALU_DEP_1) | instskip(SKIP_2) | instid1(VALU_DEP_1)
	v_rcp_f32_e32 v9, v4
	s_waitcnt_depctr 0xfff
	v_fma_f32 v16, -v4, v9, 1.0
	v_fmac_f32_e32 v9, v16, v9
	v_div_scale_f32 v16, vcc_lo, v3, s26, v3
	s_delay_alu instid0(VALU_DEP_1) | instskip(NEXT) | instid1(VALU_DEP_1)
	v_mul_f32_e32 v17, v16, v9
	v_fma_f32 v18, -v4, v17, v16
	s_delay_alu instid0(VALU_DEP_1) | instskip(NEXT) | instid1(VALU_DEP_1)
	v_fmac_f32_e32 v17, v18, v9
	v_fma_f32 v4, -v4, v17, v16
	s_delay_alu instid0(VALU_DEP_1) | instskip(NEXT) | instid1(VALU_DEP_1)
	v_div_fmas_f32 v4, v4, v9, v17
	v_div_fixup_f32 v3, v4, s26, v3
	s_delay_alu instid0(VALU_DEP_1) | instskip(NEXT) | instid1(VALU_DEP_1)
	v_cvt_f16_f32_e32 v3, v3
	v_cvt_f32_f16_e32 v4, v3
	s_delay_alu instid0(VALU_DEP_1) | instskip(SKIP_2) | instid1(VALU_DEP_2)
	v_and_b32_e32 v18, 0x7f800000, v4
	v_lshrrev_b32_e32 v17, 24, v4
	v_and_b32_e32 v9, 0x7fffff, v4
	v_and_b32_e32 v3, 0x80, v17
	s_delay_alu instid0(VALU_DEP_1)
	v_or_b32_e32 v16, 0x7e, v3
	v_cmpx_ne_u64_e32 0x7f800000, v[18:19]
	s_xor_b32 s6, exec_lo, s0
	s_cbranch_execz .LBB11_1201
; %bb.1186:                             ;   in Loop: Header=BB11_1059 Depth=1
	v_dual_mov_b32 v18, v10 :: v_dual_and_b32 v17, 0x7fffffff, v4
	s_mov_b32 s0, exec_lo
	s_delay_alu instid0(VALU_DEP_1)
	v_cmpx_gt_u64_e32 0x43e00001, v[17:18]
	s_xor_b32 s7, exec_lo, s0
	s_cbranch_execz .LBB11_1200
; %bb.1187:                             ;   in Loop: Header=BB11_1059 Depth=1
	s_mov_b32 s8, exec_lo
	v_mov_b32_e32 v16, 0
	v_mov_b32_e32 v17, 0
	v_cmpx_ne_u32_e32 0, v4
	s_cbranch_execz .LBB11_1199
; %bb.1188:                             ;   in Loop: Header=BB11_1059 Depth=1
	v_bfe_u32 v4, v4, 23, 8
	v_or_b32_e32 v18, 0x800000, v9
	s_delay_alu instid0(VALU_DEP_2) | instskip(SKIP_1) | instid1(VALU_DEP_2)
	v_sub_nc_u32_e32 v16, 0x79, v4
	v_cmp_gt_u32_e32 vcc_lo, 0x7a, v4
	v_cndmask_b32_e32 v16, 0, v16, vcc_lo
	v_cmp_eq_u32_e32 vcc_lo, 0, v4
	v_cndmask_b32_e32 v9, v18, v9, vcc_lo
	s_delay_alu instid0(VALU_DEP_3) | instskip(NEXT) | instid1(VALU_DEP_1)
	v_cndmask_b32_e64 v21, v16, 0x78, vcc_lo
	v_add_nc_u32_e32 v16, 20, v21
	v_add_nc_u32_e32 v18, 19, v21
	s_delay_alu instid0(VALU_DEP_2) | instskip(NEXT) | instid1(VALU_DEP_2)
	v_lshlrev_b64 v[16:17], v16, -1
	v_lshlrev_b64 v[18:19], v18, 1
	s_delay_alu instid0(VALU_DEP_2) | instskip(NEXT) | instid1(VALU_DEP_3)
	v_not_b32_e32 v17, v17
	v_not_b32_e32 v16, v16
	s_delay_alu instid0(VALU_DEP_2) | instskip(NEXT) | instid1(VALU_DEP_2)
	v_and_b32_e32 v23, 0, v17
	v_and_b32_e32 v22, v9, v16
	v_lshrrev_b64 v[16:17], v21, v[9:10]
	s_delay_alu instid0(VALU_DEP_2) | instskip(NEXT) | instid1(VALU_DEP_2)
	v_cmp_eq_u64_e64 s0, v[22:23], v[18:19]
	v_dual_mov_b32 v19, v17 :: v_dual_mov_b32 v18, v16
	s_delay_alu instid0(VALU_DEP_2)
	s_and_saveexec_b32 s9, s0
; %bb.1189:                             ;   in Loop: Header=BB11_1059 Depth=1
	v_bfe_u32 v9, v16, 20, 1
	s_delay_alu instid0(VALU_DEP_1) | instskip(NEXT) | instid1(VALU_DEP_1)
	v_add_co_u32 v9, s0, v16, v9
	v_add_co_u32 v18, s0, v9, -1
; %bb.1190:                             ;   in Loop: Header=BB11_1059 Depth=1
	s_or_b32 exec_lo, exec_lo, s9
	v_add_nc_u32_e32 v4, 0xffffff81, v4
	v_lshrrev_b32_e32 v9, 23, v16
	s_mov_b32 s0, exec_lo
	s_delay_alu instid0(VALU_DEP_2) | instskip(NEXT) | instid1(VALU_DEP_1)
	v_cndmask_b32_e64 v4, v4, 0xffffff82, vcc_lo
	v_add3_u32 v9, v21, v4, v9
	v_and_b32_e32 v4, 0xfffff, v18
	s_delay_alu instid0(VALU_DEP_2) | instskip(NEXT) | instid1(VALU_DEP_2)
	v_add_nc_u32_e32 v18, 6, v9
	v_add_co_u32 v16, vcc_lo, v4, v16
	v_add_co_ci_u32_e32 v17, vcc_lo, 0, v17, vcc_lo
                                        ; implicit-def: $vgpr4
	s_delay_alu instid0(VALU_DEP_3)
	v_cmpx_ne_u32_e32 0, v18
	s_xor_b32 s0, exec_lo, s0
; %bb.1191:                             ;   in Loop: Header=BB11_1059 Depth=1
	s_delay_alu instid0(VALU_DEP_2) | instskip(SKIP_2) | instid1(VALU_DEP_2)
	v_cmp_lt_u64_e32 vcc_lo, 0xffffff, v[16:17]
	v_add_nc_u32_e32 v4, 7, v9
	v_cndmask_b32_e64 v9, 0, 1, vcc_lo
	v_cndmask_b32_e32 v4, v18, v4, vcc_lo
	s_delay_alu instid0(VALU_DEP_2)
	v_lshrrev_b64 v[16:17], v9, v[16:17]
; %bb.1192:                             ;   in Loop: Header=BB11_1059 Depth=1
	s_and_not1_saveexec_b32 s0, s0
; %bb.1193:                             ;   in Loop: Header=BB11_1059 Depth=1
	s_delay_alu instid0(VALU_DEP_1)
	v_bfe_u32 v4, v16, 23, 1
; %bb.1194:                             ;   in Loop: Header=BB11_1059 Depth=1
	s_or_b32 exec_lo, exec_lo, s0
	s_delay_alu instid0(VALU_DEP_2) | instskip(NEXT) | instid1(VALU_DEP_2)
	v_lshrrev_b64 v[16:17], 20, v[16:17]
	v_cmp_gt_i32_e32 vcc_lo, 16, v4
	v_cmp_ne_u32_e64 s0, 0, v4
	s_delay_alu instid0(VALU_DEP_3) | instskip(NEXT) | instid1(VALU_DEP_1)
	v_dual_cndmask_b32 v19, 0, v17 :: v_dual_cndmask_b32 v18, 7, v16
                                        ; implicit-def: $vgpr16_vgpr17
	v_cmp_ne_u64_e32 vcc_lo, 0, v[18:19]
	s_delay_alu instid0(VALU_DEP_3) | instskip(NEXT) | instid1(SALU_CYCLE_1)
	s_or_b32 s0, s0, vcc_lo
	s_and_saveexec_b32 s9, s0
	s_delay_alu instid0(SALU_CYCLE_1)
	s_xor_b32 s0, exec_lo, s9
; %bb.1195:                             ;   in Loop: Header=BB11_1059 Depth=1
	v_min_i32_e32 v4, 15, v4
	s_delay_alu instid0(VALU_DEP_1) | instskip(NEXT) | instid1(VALU_DEP_1)
	v_lshl_or_b32 v3, v4, 3, v3
	v_and_or_b32 v16, v18, 7, v3
                                        ; implicit-def: $vgpr3
; %bb.1196:                             ;   in Loop: Header=BB11_1059 Depth=1
	s_and_not1_saveexec_b32 s0, s0
; %bb.1197:                             ;   in Loop: Header=BB11_1059 Depth=1
	v_dual_mov_b32 v17, v4 :: v_dual_mov_b32 v16, v3
; %bb.1198:                             ;   in Loop: Header=BB11_1059 Depth=1
	s_or_b32 exec_lo, exec_lo, s0
.LBB11_1199:                            ;   in Loop: Header=BB11_1059 Depth=1
	s_delay_alu instid0(SALU_CYCLE_1)
	s_or_b32 exec_lo, exec_lo, s8
.LBB11_1200:                            ;   in Loop: Header=BB11_1059 Depth=1
	s_and_not1_saveexec_b32 s0, s7
	s_delay_alu instid0(SALU_CYCLE_1)
	s_or_b32 exec_lo, exec_lo, s0
                                        ; implicit-def: $vgpr17
.LBB11_1201:                            ;   in Loop: Header=BB11_1059 Depth=1
	s_and_not1_saveexec_b32 s0, s6
	s_cbranch_execz .LBB11_1058
; %bb.1202:                             ;   in Loop: Header=BB11_1059 Depth=1
	v_cmp_eq_u64_e32 vcc_lo, 0, v[9:10]
	v_or_b32_e32 v3, 0x7f, v17
	s_delay_alu instid0(VALU_DEP_1)
	v_cndmask_b32_e32 v16, v3, v16, vcc_lo
	s_branch .LBB11_1058
.LBB11_1203:
	s_or_b32 exec_lo, exec_lo, s2
	v_lshl_add_u32 v1, s1, 3, v0
	s_mov_b32 s21, exec_lo
	s_delay_alu instid0(VALU_DEP_1)
	v_cmpx_gt_i32_e64 s20, v1
	s_cbranch_execz .LBB11_1229
; %bb.1204:
	v_cvt_f32_u32_e32 v2, s27
	s_sub_i32 s0, 0, s27
	v_add_nc_u32_e32 v4, s27, v1
	s_cmp_eq_u32 s27, 1
	s_mov_b32 s25, 0
	v_rcp_iflag_f32_e32 v2, v2
	s_delay_alu instid0(VALU_DEP_1) | instskip(SKIP_3) | instid1(VALU_DEP_1)
	v_cmp_gt_i32_e32 vcc_lo, s20, v4
	v_max_i32_e32 v5, s20, v4
	s_waitcnt_depctr 0xfff
	v_mul_f32_e32 v2, 0x4f7ffffe, v2
	v_cvt_u32_f32_e32 v2, v2
	s_delay_alu instid0(VALU_DEP_1) | instskip(SKIP_1) | instid1(VALU_DEP_1)
	v_mul_lo_u32 v3, s0, v2
	v_add_co_ci_u32_e64 v4, s0, s27, v1, vcc_lo
	v_sub_nc_u32_e32 v4, v5, v4
	s_delay_alu instid0(VALU_DEP_3) | instskip(NEXT) | instid1(VALU_DEP_1)
	v_mul_hi_u32 v3, v2, v3
	v_add_nc_u32_e32 v2, v2, v3
	s_delay_alu instid0(VALU_DEP_1) | instskip(NEXT) | instid1(VALU_DEP_1)
	v_mul_hi_u32 v2, v4, v2
	v_mul_lo_u32 v3, v2, s27
	s_delay_alu instid0(VALU_DEP_1) | instskip(SKIP_1) | instid1(VALU_DEP_2)
	v_sub_nc_u32_e32 v3, v4, v3
	v_add_nc_u32_e32 v4, 1, v2
	v_subrev_nc_u32_e32 v5, s27, v3
	v_cmp_le_u32_e64 s0, s27, v3
	s_delay_alu instid0(VALU_DEP_1) | instskip(NEXT) | instid1(VALU_DEP_3)
	v_cndmask_b32_e64 v2, v2, v4, s0
	v_cndmask_b32_e64 v3, v3, v5, s0
	s_delay_alu instid0(VALU_DEP_2) | instskip(NEXT) | instid1(VALU_DEP_2)
	v_add_nc_u32_e32 v4, 1, v2
	v_cmp_le_u32_e64 s0, s27, v3
	s_delay_alu instid0(VALU_DEP_1) | instskip(SKIP_1) | instid1(VALU_DEP_1)
	v_cndmask_b32_e64 v2, v2, v4, s0
	s_cselect_b32 s0, -1, 0
	v_add_co_ci_u32_e32 v6, vcc_lo, 1, v2, vcc_lo
	s_delay_alu instid0(VALU_DEP_1)
	v_cmp_lt_u32_e32 vcc_lo, 1, v6
	s_and_b32 s1, vcc_lo, s0
	s_mov_b32 s0, -1
	s_and_saveexec_b32 s24, s1
	s_cbranch_execz .LBB11_1208
; %bb.1205:
	v_dual_mov_b32 v4, v1 :: v_dual_and_b32 v7, -2, v6
	s_lshl_b64 s[0:1], s[16:17], 1
	v_mov_b32_e32 v3, 0
	s_add_u32 s28, s35, s0
	s_delay_alu instid0(VALU_DEP_2)
	v_mov_b32_e32 v8, v7
	s_addc_u32 s29, s36, s1
	s_add_u32 s35, s37, s16
	s_addc_u32 s36, s38, s17
	s_mov_b32 s37, s26
.LBB11_1206:                            ; =>This Inner Loop Header: Depth=1
	v_ashrrev_i32_e32 v5, 31, v4
	v_add_nc_u32_e32 v8, -2, v8
	s_delay_alu instid0(VALU_DEP_2) | instskip(NEXT) | instid1(VALU_DEP_1)
	v_lshlrev_b64 v[9:10], 1, v[4:5]
	v_add_co_u32 v9, vcc_lo, s28, v9
	s_delay_alu instid0(VALU_DEP_2) | instskip(SKIP_4) | instid1(VALU_DEP_2)
	v_add_co_ci_u32_e32 v10, vcc_lo, s29, v10, vcc_lo
	global_load_b32 v2, v[9:10], off
	s_waitcnt vmcnt(0)
	v_lshrrev_b32_e32 v9, 16, v2
	v_cvt_f32_f16_e32 v2, v2
	v_cvt_f32_f16_e32 v9, v9
	s_delay_alu instid0(VALU_DEP_2) | instskip(SKIP_1) | instid1(VALU_DEP_3)
	v_div_scale_f32 v10, null, s26, s26, v2
	v_div_scale_f32 v16, vcc_lo, v2, s26, v2
	v_div_scale_f32 v11, null, s37, s37, v9
	s_delay_alu instid0(VALU_DEP_3) | instskip(NEXT) | instid1(VALU_DEP_1)
	v_rcp_f32_e32 v12, v10
	v_rcp_f32_e32 v13, v11
	s_waitcnt_depctr 0xfff
	v_fma_f32 v14, -v10, v12, 1.0
	v_fma_f32 v15, -v11, v13, 1.0
	s_delay_alu instid0(VALU_DEP_2) | instskip(SKIP_1) | instid1(VALU_DEP_3)
	v_fmac_f32_e32 v12, v14, v12
	v_div_scale_f32 v14, s0, v9, s37, v9
	v_fmac_f32_e32 v13, v15, v13
	s_delay_alu instid0(VALU_DEP_3) | instskip(NEXT) | instid1(VALU_DEP_2)
	v_mul_f32_e32 v15, v16, v12
	v_mul_f32_e32 v17, v14, v13
	s_delay_alu instid0(VALU_DEP_2) | instskip(NEXT) | instid1(VALU_DEP_1)
	v_fma_f32 v18, -v10, v15, v16
	v_fmac_f32_e32 v15, v18, v12
	s_delay_alu instid0(VALU_DEP_1) | instskip(NEXT) | instid1(VALU_DEP_1)
	v_fma_f32 v10, -v10, v15, v16
	v_div_fmas_f32 v10, v10, v12, v15
	v_mov_b32_e32 v12, v3
	v_fma_f32 v19, -v11, v17, v14
	s_mov_b32 vcc_lo, s0
	s_delay_alu instid0(VALU_DEP_3) | instskip(SKIP_1) | instid1(VALU_DEP_3)
	v_div_fixup_f32 v2, v10, s26, v2
	v_mov_b32_e32 v10, v3
	v_fmac_f32_e32 v17, v19, v13
	s_delay_alu instid0(VALU_DEP_3) | instskip(NEXT) | instid1(VALU_DEP_2)
	v_cvt_f16_f32_e32 v2, v2
	v_fma_f32 v11, -v11, v17, v14
	v_mov_b32_e32 v14, v3
	s_delay_alu instid0(VALU_DEP_3) | instskip(SKIP_1) | instid1(VALU_DEP_4)
	v_cvt_f32_f16_e32 v2, v2
	v_mov_b32_e32 v18, v3
	v_div_fmas_f32 v11, v11, v13, v17
	v_mov_b32_e32 v22, v3
	s_delay_alu instid0(VALU_DEP_4) | instskip(SKIP_1) | instid1(VALU_DEP_4)
	v_dual_mov_b32 v16, v3 :: v_dual_and_b32 v17, 0x7fffffff, v2
	v_bfe_u32 v23, v2, 23, 8
	v_div_fixup_f32 v9, v11, s37, v9
	v_and_b32_e32 v11, 0x7f800000, v2
	v_cmp_ne_u32_e64 s0, 0, v2
	v_cmp_gt_u64_e64 s3, 0x43e00001, v[17:18]
	v_cmp_gt_u32_e64 s12, 0x7a, v23
	v_cvt_f16_f32_e32 v9, v9
	v_cmp_ne_u64_e64 s1, 0x7f800000, v[11:12]
	v_sub_nc_u32_e32 v12, 0x79, v23
	v_lshrrev_b32_e32 v25, 24, v2
	v_cmp_eq_u32_e32 vcc_lo, 0, v2
	v_cvt_f32_f16_e32 v20, v9
	v_dual_mov_b32 v24, v3 :: v_dual_and_b32 v9, 0x7fffff, v2
	s_and_b32 s38, s1, s3
	v_cmp_lt_u64_e64 s2, 0x43e00000, v[17:18]
	s_delay_alu instid0(VALU_DEP_3)
	v_and_b32_e32 v13, 0x7f800000, v20
	v_bfe_u32 v26, v20, 23, 8
	v_and_b32_e32 v2, 0x7fffff, v20
	v_and_b32_e32 v15, 0x7fffffff, v20
	v_cmp_eq_u32_e64 s6, 0, v23
	v_or_b32_e32 v17, 0x800000, v9
	v_cmp_ne_u64_e64 s8, 0x7f800000, v[13:14]
	v_sub_nc_u32_e32 v14, 0x79, v26
	s_and_b32 s39, s38, s0
	v_cmp_gt_u32_e64 s0, 0x7a, v26
	v_cndmask_b32_e64 v12, 0, v12, s12
	v_lshrrev_b32_e32 v27, 24, v20
	v_cmp_eq_u32_e64 s4, 0, v20
	v_cmp_ne_u32_e64 s5, 0, v20
	v_cmp_eq_u64_e64 s7, 0, v[9:10]
	v_cmp_lt_u64_e64 s9, 0x43e00000, v[15:16]
	v_cmp_gt_u64_e64 s10, 0x43e00001, v[15:16]
	v_cmp_eq_u32_e64 s11, 0, v26
	v_or_b32_e32 v15, 0x800000, v2
	v_cndmask_b32_e64 v20, v17, v9, s6
	v_cndmask_b32_e64 v9, 0, v14, s0
	v_dual_mov_b32 v19, v3 :: v_dual_and_b32 v28, 0x80, v25
	v_cndmask_b32_e64 v30, v12, 0x78, s6
	v_cmp_eq_u64_e64 s12, 0, v[2:3]
	v_cndmask_b32_e64 v18, v15, v2, s11
	v_cndmask_b32_e64 v2, v9, 0x78, s11
	v_or_b32_e32 v25, 0x7f, v25
	v_or_b32_e32 v10, 0x7e, v28
	v_add_nc_u32_e32 v9, 20, v30
	s_and_b32 s1, s1, s2
	v_dual_mov_b32 v21, v3 :: v_dual_add_nc_u32 v12, 20, v2
	s_or_b32 s0, s1, s7
	v_add_nc_u32_e32 v11, 0xffffff81, v23
	v_add_nc_u32_e32 v13, 0xffffff81, v26
	v_cndmask_b32_e64 v32, v25, v10, s0
	v_lshlrev_b64 v[9:10], v9, -1
	v_add_nc_u32_e32 v14, 19, v30
	v_cndmask_b32_e64 v23, v11, 0xffffff82, s6
	v_cndmask_b32_e64 v31, v13, 0xffffff82, s11
	v_lshrrev_b64 v[10:11], v30, v[20:21]
	v_lshlrev_b64 v[12:13], v12, -1
	v_add_nc_u32_e32 v21, 19, v2
	v_not_b32_e32 v9, v9
	v_lshlrev_b64 v[13:14], v14, 1
	v_lshrrev_b64 v[15:16], v2, v[18:19]
	v_lshrrev_b32_e32 v19, 23, v10
	v_not_b32_e32 v12, v12
	v_lshlrev_b64 v[25:26], v21, 1
	v_and_b32_e32 v21, v20, v9
	v_bfe_u32 v33, v10, 20, 1
	v_add3_u32 v19, v30, v23, v19
	v_and_b32_e32 v23, v18, v12
	v_lshrrev_b32_e32 v9, 23, v15
	v_cmp_ne_u64_e64 s0, v[21:22], v[13:14]
	v_bfe_u32 v12, v15, 20, 1
	v_add3_u32 v13, v10, v33, -1
	v_cmp_ne_u64_e64 s1, v[23:24], v[25:26]
	s_and_b32 s6, s8, s10
	v_add3_u32 v2, v2, v31, v9
	s_and_b32 s0, s39, s0
	v_add3_u32 v9, v15, v12, -1
	s_and_b32 s5, s6, s5
	v_cndmask_b32_e64 v12, v13, v10, s0
	s_and_b32 s0, s5, s1
	v_add_nc_u32_e32 v14, 6, v19
	v_cndmask_b32_e64 v9, v9, v15, s0
	v_add_nc_u32_e32 v13, 7, v19
	v_and_b32_e32 v12, 0xfffff, v12
	v_and_b32_e32 v29, 0x80, v27
	v_add_nc_u32_e32 v18, 6, v2
	v_and_b32_e32 v19, 0xfffff, v9
	v_cmp_ne_u32_e64 s0, 0, v14
	v_add_co_u32 v9, s1, v12, v10
	s_delay_alu instid0(VALU_DEP_1) | instskip(NEXT) | instid1(VALU_DEP_4)
	v_add_co_ci_u32_e64 v10, s1, 0, v11, s1
	v_add_co_u32 v11, s1, v19, v15
	s_delay_alu instid0(VALU_DEP_1) | instskip(NEXT) | instid1(VALU_DEP_3)
	v_add_co_ci_u32_e64 v12, s1, 0, v16, s1
	v_cmp_lt_u64_e64 s2, 0xffffff, v[9:10]
	v_add_nc_u32_e32 v2, 7, v2
	v_cmp_ne_u32_e64 s1, 0, v18
	s_delay_alu instid0(VALU_DEP_4)
	v_cmp_lt_u64_e64 s3, 0xffffff, v[11:12]
	s_and_b32 s0, s39, s0
	v_bfe_u32 v15, v11, 23, 1
	v_cndmask_b32_e64 v13, v14, v13, s2
	v_bfe_u32 v14, v9, 23, 1
	v_or_b32_e32 v17, 0x7f, v27
	v_cndmask_b32_e64 v2, v18, v2, s3
	v_or_b32_e32 v27, 0x7e, v29
	s_delay_alu instid0(VALU_DEP_4) | instskip(SKIP_1) | instid1(SALU_CYCLE_1)
	v_cndmask_b32_e64 v13, v14, v13, s0
	s_and_b32 s0, s0, s2
	v_cndmask_b32_e64 v14, 0, 1, s0
	s_and_b32 s0, s5, s1
	s_delay_alu instid0(VALU_DEP_2)
	v_min_i32_e32 v16, 15, v13
	v_cndmask_b32_e64 v2, v15, v2, s0
	s_and_b32 s0, s0, s3
	v_lshrrev_b64 v[9:10], v14, v[9:10]
	v_cndmask_b32_e64 v15, 0, 1, s0
	s_and_b32 s0, s8, s9
	v_cmp_eq_u32_e64 s2, 0, v2
	s_or_b32 s0, s0, s12
	v_lshl_or_b32 v16, v16, 3, v28
	v_lshrrev_b64 v[11:12], v15, v[11:12]
	v_cndmask_b32_e64 v14, v17, v27, s0
	s_and_b32 s0, s38, vcc_lo
	v_lshrrev_b64 v[9:10], 20, v[9:10]
	v_cndmask_b32_e64 v15, v32, 0, s0
	s_and_b32 s0, s6, s4
	v_cmp_gt_i32_e32 vcc_lo, 16, v13
	v_lshrrev_b64 v[11:12], 20, v[11:12]
	v_cndmask_b32_e64 v14, v14, 0, s0
	v_cmp_gt_i32_e64 s0, 16, v2
	v_min_i32_e32 v17, 15, v2
	v_dual_cndmask_b32 v10, 0, v10 :: v_dual_cndmask_b32 v9, 7, v9
	s_delay_alu instid0(VALU_DEP_3) | instskip(SKIP_2) | instid1(VALU_DEP_4)
	v_cndmask_b32_e64 v12, 0, v12, s0
	v_cndmask_b32_e64 v11, 7, v11, s0
	v_cmp_eq_u32_e64 s0, 0, v13
	v_cmp_eq_u64_e32 vcc_lo, 0, v[9:10]
	v_lshl_or_b32 v10, v17, 3, v29
	v_and_or_b32 v2, v9, 7, v16
	v_cmp_eq_u64_e64 s1, 0, v[11:12]
	s_and_b32 s0, s0, vcc_lo
	s_delay_alu instid0(VALU_DEP_3) | instskip(SKIP_1) | instid1(VALU_DEP_2)
	v_and_or_b32 v9, v11, 7, v10
	s_and_b32 vcc_lo, s39, s0
	s_and_b32 s1, s2, s1
	v_cndmask_b32_e32 v10, v15, v28, vcc_lo
	s_and_b32 vcc_lo, s5, s1
	s_xor_b32 s3, s0, -1
	v_cndmask_b32_e32 v11, v14, v29, vcc_lo
	s_xor_b32 s0, s1, -1
	s_and_b32 vcc_lo, s39, s3
	v_cndmask_b32_e32 v2, v10, v2, vcc_lo
	s_and_b32 vcc_lo, s5, s0
	v_cndmask_b32_e32 v9, v11, v9, vcc_lo
	v_cmp_eq_u32_e32 vcc_lo, 0, v8
	s_delay_alu instid0(VALU_DEP_3) | instskip(NEXT) | instid1(VALU_DEP_3)
	v_and_b32_e32 v2, 0xff, v2
	v_lshlrev_b16 v11, 8, v9
	v_add_co_u32 v9, s0, s35, v4
	s_delay_alu instid0(VALU_DEP_1) | instskip(NEXT) | instid1(VALU_DEP_3)
	v_add_co_ci_u32_e64 v10, s0, s36, v5, s0
	v_or_b32_e32 v2, v2, v11
	v_add_nc_u32_e32 v4, 2, v4
	s_or_b32 s25, vcc_lo, s25
	global_store_b16 v[9:10], v2, off
	s_and_not1_b32 exec_lo, exec_lo, s25
	s_cbranch_execnz .LBB11_1206
; %bb.1207:
	s_or_b32 exec_lo, exec_lo, s25
	v_cmp_ne_u32_e32 vcc_lo, v6, v7
	v_add_nc_u32_e32 v1, v1, v7
	s_or_not1_b32 s0, vcc_lo, exec_lo
.LBB11_1208:
	s_or_b32 exec_lo, exec_lo, s24
	s_delay_alu instid0(SALU_CYCLE_1)
	s_and_b32 exec_lo, exec_lo, s0
	s_cbranch_execz .LBB11_1229
; %bb.1209:
	v_ashrrev_i32_e32 v2, 31, v1
	s_lshl_b64 s[0:1], s[16:17], 1
	v_mov_b32_e32 v3, 0
	s_add_u32 s0, s14, s0
	s_addc_u32 s1, s15, s1
	v_lshlrev_b64 v[4:5], 1, v[1:2]
	s_add_u32 s0, s18, s0
	s_addc_u32 s1, s19, s1
	s_mov_b32 s4, 0
	s_delay_alu instid0(VALU_DEP_1) | instskip(NEXT) | instid1(VALU_DEP_2)
	v_add_co_u32 v4, vcc_lo, s0, v4
	v_add_co_ci_u32_e32 v5, vcc_lo, s1, v5, vcc_lo
	s_lshl_b32 s1, s27, 1
	s_add_u32 s0, s16, s30
	s_addc_u32 s2, s17, s31
	s_add_u32 s0, s0, s34
	s_addc_u32 s2, s2, s33
	;; [unrolled: 2-line block ×3, first 2 shown]
	v_add_co_u32 v10, vcc_lo, s0, v1
	v_add_co_ci_u32_e32 v11, vcc_lo, s2, v2, vcc_lo
	s_mov_b64 s[2:3], 0
	s_branch .LBB11_1211
.LBB11_1210:                            ;   in Loop: Header=BB11_1211 Depth=1
	s_or_b32 exec_lo, exec_lo, s0
	v_add_co_u32 v8, vcc_lo, v10, s2
	s_add_u32 s2, s2, s27
	v_add_co_ci_u32_e32 v9, vcc_lo, s3, v11, vcc_lo
	v_add_nc_u32_e32 v2, s2, v1
	v_add_co_u32 v4, s0, v4, s1
	s_delay_alu instid0(VALU_DEP_1) | instskip(NEXT) | instid1(VALU_DEP_3)
	v_add_co_ci_u32_e64 v5, s0, 0, v5, s0
	v_cmp_le_i32_e32 vcc_lo, s20, v2
	s_addc_u32 s3, s3, 0
	global_store_b8 v[8:9], v7, off
	s_or_b32 s4, vcc_lo, s4
	s_delay_alu instid0(SALU_CYCLE_1)
	s_and_not1_b32 exec_lo, exec_lo, s4
	s_cbranch_execz .LBB11_1229
.LBB11_1211:                            ; =>This Inner Loop Header: Depth=1
	global_load_u16 v2, v[4:5], off
	s_mov_b32 s0, exec_lo
	v_mov_b32_e32 v14, v3
	s_waitcnt vmcnt(0)
	v_cvt_f32_f16_e32 v2, v2
	s_delay_alu instid0(VALU_DEP_1) | instskip(NEXT) | instid1(VALU_DEP_1)
	v_div_scale_f32 v6, null, s26, s26, v2
	v_rcp_f32_e32 v7, v6
	s_waitcnt_depctr 0xfff
	v_fma_f32 v8, -v6, v7, 1.0
	s_delay_alu instid0(VALU_DEP_1) | instskip(SKIP_1) | instid1(VALU_DEP_1)
	v_fmac_f32_e32 v7, v8, v7
	v_div_scale_f32 v8, vcc_lo, v2, s26, v2
	v_mul_f32_e32 v9, v8, v7
	s_delay_alu instid0(VALU_DEP_1) | instskip(NEXT) | instid1(VALU_DEP_1)
	v_fma_f32 v12, -v6, v9, v8
	v_fmac_f32_e32 v9, v12, v7
	s_delay_alu instid0(VALU_DEP_1) | instskip(NEXT) | instid1(VALU_DEP_1)
	v_fma_f32 v6, -v6, v9, v8
	v_div_fmas_f32 v6, v6, v7, v9
	s_delay_alu instid0(VALU_DEP_1) | instskip(NEXT) | instid1(VALU_DEP_1)
	v_div_fixup_f32 v2, v6, s26, v2
	v_cvt_f16_f32_e32 v2, v2
	s_delay_alu instid0(VALU_DEP_1) | instskip(NEXT) | instid1(VALU_DEP_1)
	v_cvt_f32_f16_e32 v6, v2
	v_and_b32_e32 v2, 0x7fffff, v6
	v_lshrrev_b32_e32 v8, 24, v6
	v_and_b32_e32 v13, 0x7f800000, v6
	s_delay_alu instid0(VALU_DEP_2) | instskip(NEXT) | instid1(VALU_DEP_1)
	v_and_b32_e32 v12, 0x80, v8
	v_or_b32_e32 v7, 0x7e, v12
	s_delay_alu instid0(VALU_DEP_3)
	v_cmpx_ne_u64_e32 0x7f800000, v[13:14]
	s_xor_b32 s5, exec_lo, s0
	s_cbranch_execz .LBB11_1227
; %bb.1212:                             ;   in Loop: Header=BB11_1211 Depth=1
	v_dual_mov_b32 v9, v3 :: v_dual_and_b32 v8, 0x7fffffff, v6
	s_mov_b32 s0, exec_lo
	s_delay_alu instid0(VALU_DEP_1)
	v_cmpx_gt_u64_e32 0x43e00001, v[8:9]
	s_xor_b32 s6, exec_lo, s0
	s_cbranch_execz .LBB11_1226
; %bb.1213:                             ;   in Loop: Header=BB11_1211 Depth=1
	v_mov_b32_e32 v7, 0
	s_mov_b32 s7, exec_lo
	v_cmpx_ne_u32_e32 0, v6
	s_cbranch_execz .LBB11_1225
; %bb.1214:                             ;   in Loop: Header=BB11_1211 Depth=1
	v_bfe_u32 v13, v6, 23, 8
	v_or_b32_e32 v8, 0x800000, v2
	s_delay_alu instid0(VALU_DEP_2) | instskip(SKIP_1) | instid1(VALU_DEP_2)
	v_sub_nc_u32_e32 v6, 0x79, v13
	v_cmp_gt_u32_e32 vcc_lo, 0x7a, v13
	v_cndmask_b32_e32 v6, 0, v6, vcc_lo
	v_cmp_eq_u32_e32 vcc_lo, 0, v13
	s_delay_alu instid0(VALU_DEP_2) | instskip(SKIP_1) | instid1(VALU_DEP_2)
	v_cndmask_b32_e64 v14, v6, 0x78, vcc_lo
	v_cndmask_b32_e32 v2, v8, v2, vcc_lo
	v_add_nc_u32_e32 v6, 20, v14
	v_add_nc_u32_e32 v8, 19, v14
	s_delay_alu instid0(VALU_DEP_2) | instskip(NEXT) | instid1(VALU_DEP_2)
	v_lshlrev_b64 v[6:7], v6, -1
	v_lshlrev_b64 v[8:9], v8, 1
	s_delay_alu instid0(VALU_DEP_2) | instskip(NEXT) | instid1(VALU_DEP_3)
	v_not_b32_e32 v7, v7
	v_not_b32_e32 v6, v6
	s_delay_alu instid0(VALU_DEP_2) | instskip(NEXT) | instid1(VALU_DEP_2)
	v_and_b32_e32 v16, 0, v7
	v_and_b32_e32 v15, v2, v6
	v_lshrrev_b64 v[6:7], v14, v[2:3]
	s_delay_alu instid0(VALU_DEP_2) | instskip(NEXT) | instid1(VALU_DEP_2)
	v_cmp_eq_u64_e64 s0, v[15:16], v[8:9]
	v_dual_mov_b32 v9, v7 :: v_dual_mov_b32 v8, v6
	s_delay_alu instid0(VALU_DEP_2)
	s_and_saveexec_b32 s8, s0
; %bb.1215:                             ;   in Loop: Header=BB11_1211 Depth=1
	v_bfe_u32 v2, v6, 20, 1
	s_delay_alu instid0(VALU_DEP_1) | instskip(NEXT) | instid1(VALU_DEP_1)
	v_add_co_u32 v2, s0, v6, v2
	v_add_co_u32 v8, s0, v2, -1
; %bb.1216:                             ;   in Loop: Header=BB11_1211 Depth=1
	s_or_b32 exec_lo, exec_lo, s8
	v_add_nc_u32_e32 v2, 0xffffff81, v13
	v_lshrrev_b32_e32 v9, 23, v6
	s_mov_b32 s0, exec_lo
	s_delay_alu instid0(VALU_DEP_2) | instskip(NEXT) | instid1(VALU_DEP_1)
	v_cndmask_b32_e64 v2, v2, 0xffffff82, vcc_lo
	v_add3_u32 v9, v14, v2, v9
	v_and_b32_e32 v2, 0xfffff, v8
	s_delay_alu instid0(VALU_DEP_2) | instskip(NEXT) | instid1(VALU_DEP_2)
	v_add_nc_u32_e32 v8, 6, v9
	v_add_co_u32 v6, vcc_lo, v2, v6
	v_add_co_ci_u32_e32 v7, vcc_lo, 0, v7, vcc_lo
                                        ; implicit-def: $vgpr2
	s_delay_alu instid0(VALU_DEP_3)
	v_cmpx_ne_u32_e32 0, v8
	s_xor_b32 s0, exec_lo, s0
; %bb.1217:                             ;   in Loop: Header=BB11_1211 Depth=1
	s_delay_alu instid0(VALU_DEP_2) | instskip(SKIP_1) | instid1(VALU_DEP_1)
	v_cmp_lt_u64_e32 vcc_lo, 0xffffff, v[6:7]
	v_add_nc_u32_e32 v2, 7, v9
	v_cndmask_b32_e32 v2, v8, v2, vcc_lo
	v_cndmask_b32_e64 v8, 0, 1, vcc_lo
	s_delay_alu instid0(VALU_DEP_1)
	v_lshrrev_b64 v[6:7], v8, v[6:7]
; %bb.1218:                             ;   in Loop: Header=BB11_1211 Depth=1
	s_and_not1_saveexec_b32 s0, s0
; %bb.1219:                             ;   in Loop: Header=BB11_1211 Depth=1
	s_delay_alu instid0(VALU_DEP_1)
	v_bfe_u32 v2, v6, 23, 1
; %bb.1220:                             ;   in Loop: Header=BB11_1211 Depth=1
	s_or_b32 exec_lo, exec_lo, s0
	s_delay_alu instid0(VALU_DEP_2) | instskip(NEXT) | instid1(VALU_DEP_2)
	v_lshrrev_b64 v[6:7], 20, v[6:7]
	v_cmp_gt_i32_e32 vcc_lo, 16, v2
	v_cmp_ne_u32_e64 s0, 0, v2
	s_delay_alu instid0(VALU_DEP_3) | instskip(NEXT) | instid1(VALU_DEP_1)
	v_dual_cndmask_b32 v7, 0, v7 :: v_dual_cndmask_b32 v6, 7, v6
	v_cmp_ne_u64_e32 vcc_lo, 0, v[6:7]
                                        ; implicit-def: $vgpr7
	s_delay_alu instid0(VALU_DEP_3) | instskip(NEXT) | instid1(SALU_CYCLE_1)
	s_or_b32 s0, s0, vcc_lo
	s_and_saveexec_b32 s8, s0
	s_delay_alu instid0(SALU_CYCLE_1)
	s_xor_b32 s0, exec_lo, s8
; %bb.1221:                             ;   in Loop: Header=BB11_1211 Depth=1
	v_min_i32_e32 v2, 15, v2
	s_delay_alu instid0(VALU_DEP_1) | instskip(NEXT) | instid1(VALU_DEP_1)
	v_lshl_or_b32 v2, v2, 3, v12
                                        ; implicit-def: $vgpr12
	v_and_or_b32 v7, v6, 7, v2
; %bb.1222:                             ;   in Loop: Header=BB11_1211 Depth=1
	s_and_not1_saveexec_b32 s0, s0
; %bb.1223:                             ;   in Loop: Header=BB11_1211 Depth=1
	v_mov_b32_e32 v7, v12
; %bb.1224:                             ;   in Loop: Header=BB11_1211 Depth=1
	s_or_b32 exec_lo, exec_lo, s0
.LBB11_1225:                            ;   in Loop: Header=BB11_1211 Depth=1
	s_delay_alu instid0(SALU_CYCLE_1)
	s_or_b32 exec_lo, exec_lo, s7
.LBB11_1226:                            ;   in Loop: Header=BB11_1211 Depth=1
	s_and_not1_saveexec_b32 s0, s6
	s_delay_alu instid0(SALU_CYCLE_1)
	s_or_b32 exec_lo, exec_lo, s0
                                        ; implicit-def: $vgpr8
.LBB11_1227:                            ;   in Loop: Header=BB11_1211 Depth=1
	s_and_not1_saveexec_b32 s0, s5
	s_cbranch_execz .LBB11_1210
; %bb.1228:                             ;   in Loop: Header=BB11_1211 Depth=1
	v_cmp_eq_u64_e32 vcc_lo, 0, v[2:3]
	v_or_b32_e32 v6, 0x7f, v8
	s_delay_alu instid0(VALU_DEP_1)
	v_cndmask_b32_e32 v7, v6, v7, vcc_lo
	s_branch .LBB11_1210
.LBB11_1229:
	s_or_b32 exec_lo, exec_lo, s21
	s_mov_b32 s0, 0
.LBB11_1230:
	s_delay_alu instid0(SALU_CYCLE_1)
	s_and_b32 vcc_lo, exec_lo, s0
	s_cbranch_vccz .LBB11_1378
; %bb.1231:
	s_ashr_i32 s1, s13, 3
	s_mov_b32 s0, exec_lo
	v_cmpx_gt_i32_e64 s1, v0
	s_cbranch_execz .LBB11_1378
; %bb.1232:
	v_dual_mov_b32 v10, 0 :: v_dual_lshlrev_b32 v1, 3, v0
	s_add_u32 s0, s30, s34
	s_addc_u32 s2, s31, s33
	s_add_u32 s0, s22, s0
	s_addc_u32 s2, s23, s2
	v_add_co_u32 v5, s0, s0, v1
	v_lshlrev_b32_e32 v1, 4, v0
	v_add_co_ci_u32_e64 v6, null, s2, 0, s0
	s_lshl_b32 s2, s27, 3
	s_add_u32 s0, s18, s14
	s_addc_u32 s3, s19, s15
	v_add_co_u32 v7, s0, s0, v1
	s_delay_alu instid0(VALU_DEP_1)
	v_add_co_ci_u32_e64 v8, null, s3, 0, s0
	s_mov_b32 s3, 0
	s_lshl_b32 s4, s27, 4
	s_branch .LBB11_1234
.LBB11_1233:                            ;   in Loop: Header=BB11_1234 Depth=1
	s_or_b32 exec_lo, exec_lo, s0
	v_lshlrev_b32_e32 v3, 16, v15
	v_lshlrev_b32_e32 v4, 16, v13
	;; [unrolled: 1-line block ×5, first 2 shown]
	v_and_b32_e32 v3, 0xff0000, v3
	v_perm_b32 v1, v1, v4, 0x4020c0c
	v_and_b32_e32 v4, 0xff, v14
	v_and_b32_e32 v11, 0xff, v11
	;; [unrolled: 1-line block ×3, first 2 shown]
	v_or_b32_e32 v3, v9, v3
	v_and_or_b32 v1, 0xff00, v12, v1
	v_add_nc_u32_e32 v0, s27, v0
	s_delay_alu instid0(VALU_DEP_3) | instskip(NEXT) | instid1(VALU_DEP_3)
	v_or3_b32 v2, v3, v2, v4
	v_or_b32_e32 v1, v1, v11
	s_delay_alu instid0(VALU_DEP_3) | instskip(SKIP_2) | instid1(VALU_DEP_1)
	v_cmp_le_i32_e32 vcc_lo, s1, v0
	global_store_b64 v[5:6], v[1:2], off
	v_add_co_u32 v5, s0, v5, s2
	v_add_co_ci_u32_e64 v6, s0, 0, v6, s0
	v_add_co_u32 v7, s0, v7, s4
	s_delay_alu instid0(VALU_DEP_1) | instskip(SKIP_1) | instid1(SALU_CYCLE_1)
	v_add_co_ci_u32_e64 v8, s0, 0, v8, s0
	s_or_b32 s3, vcc_lo, s3
	s_and_not1_b32 exec_lo, exec_lo, s3
	s_cbranch_execz .LBB11_1378
.LBB11_1234:                            ; =>This Inner Loop Header: Depth=1
	global_load_b128 v[1:4], v[7:8], off
	s_mov_b32 s0, exec_lo
	s_waitcnt vmcnt(0)
	v_cvt_f32_f16_e32 v9, v1
	s_delay_alu instid0(VALU_DEP_1) | instskip(NEXT) | instid1(VALU_DEP_1)
	v_div_scale_f32 v11, null, s26, s26, v9
	v_rcp_f32_e32 v12, v11
	s_waitcnt_depctr 0xfff
	v_fma_f32 v13, -v11, v12, 1.0
	s_delay_alu instid0(VALU_DEP_1) | instskip(SKIP_1) | instid1(VALU_DEP_1)
	v_fmac_f32_e32 v12, v13, v12
	v_div_scale_f32 v13, vcc_lo, v9, s26, v9
	v_mul_f32_e32 v14, v13, v12
	s_delay_alu instid0(VALU_DEP_1) | instskip(NEXT) | instid1(VALU_DEP_1)
	v_fma_f32 v15, -v11, v14, v13
	v_fmac_f32_e32 v14, v15, v12
	s_delay_alu instid0(VALU_DEP_1) | instskip(NEXT) | instid1(VALU_DEP_1)
	v_fma_f32 v11, -v11, v14, v13
	v_div_fmas_f32 v11, v11, v12, v14
	s_delay_alu instid0(VALU_DEP_1) | instskip(NEXT) | instid1(VALU_DEP_1)
	v_div_fixup_f32 v9, v11, s26, v9
	v_cvt_f16_f32_e32 v9, v9
	s_delay_alu instid0(VALU_DEP_1) | instskip(NEXT) | instid1(VALU_DEP_1)
	v_cvt_f32_f16_e32 v14, v9
	v_and_b32_e32 v15, 0x7f800000, v14
	v_lshrrev_b32_e32 v12, 24, v14
	v_dual_mov_b32 v16, v10 :: v_dual_and_b32 v9, 0x7fffff, v14
	s_delay_alu instid0(VALU_DEP_2) | instskip(NEXT) | instid1(VALU_DEP_1)
	v_and_b32_e32 v13, 0x80, v12
	v_or_b32_e32 v11, 0x7e, v13
	s_delay_alu instid0(VALU_DEP_3)
	v_cmpx_ne_u64_e32 0x7f800000, v[15:16]
	s_xor_b32 s5, exec_lo, s0
	s_cbranch_execz .LBB11_1250
; %bb.1235:                             ;   in Loop: Header=BB11_1234 Depth=1
	v_dual_mov_b32 v16, v10 :: v_dual_and_b32 v15, 0x7fffffff, v14
	s_mov_b32 s0, exec_lo
	s_delay_alu instid0(VALU_DEP_1)
	v_cmpx_gt_u64_e32 0x43e00001, v[15:16]
	s_xor_b32 s6, exec_lo, s0
	s_cbranch_execz .LBB11_1249
; %bb.1236:                             ;   in Loop: Header=BB11_1234 Depth=1
	s_mov_b32 s7, exec_lo
	v_mov_b32_e32 v11, 0
	v_mov_b32_e32 v12, 0
	v_cmpx_ne_u32_e32 0, v14
	s_cbranch_execz .LBB11_1248
; %bb.1237:                             ;   in Loop: Header=BB11_1234 Depth=1
	v_bfe_u32 v16, v14, 23, 8
	v_or_b32_e32 v14, 0x800000, v9
	s_delay_alu instid0(VALU_DEP_2) | instskip(SKIP_1) | instid1(VALU_DEP_2)
	v_sub_nc_u32_e32 v11, 0x79, v16
	v_cmp_gt_u32_e32 vcc_lo, 0x7a, v16
	v_cndmask_b32_e32 v11, 0, v11, vcc_lo
	v_cmp_eq_u32_e32 vcc_lo, 0, v16
	s_delay_alu instid0(VALU_DEP_2) | instskip(SKIP_1) | instid1(VALU_DEP_2)
	v_cndmask_b32_e64 v17, v11, 0x78, vcc_lo
	v_cndmask_b32_e32 v9, v14, v9, vcc_lo
	v_add_nc_u32_e32 v11, 20, v17
	v_add_nc_u32_e32 v14, 19, v17
	s_delay_alu instid0(VALU_DEP_2) | instskip(NEXT) | instid1(VALU_DEP_2)
	v_lshlrev_b64 v[11:12], v11, -1
	v_lshlrev_b64 v[14:15], v14, 1
	s_delay_alu instid0(VALU_DEP_2) | instskip(NEXT) | instid1(VALU_DEP_3)
	v_not_b32_e32 v12, v12
	v_not_b32_e32 v11, v11
	s_delay_alu instid0(VALU_DEP_2) | instskip(NEXT) | instid1(VALU_DEP_2)
	v_and_b32_e32 v19, 0, v12
	v_and_b32_e32 v18, v9, v11
	v_lshrrev_b64 v[11:12], v17, v[9:10]
	s_delay_alu instid0(VALU_DEP_2) | instskip(NEXT) | instid1(VALU_DEP_2)
	v_cmp_eq_u64_e64 s0, v[18:19], v[14:15]
	v_dual_mov_b32 v15, v12 :: v_dual_mov_b32 v14, v11
	s_delay_alu instid0(VALU_DEP_2)
	s_and_saveexec_b32 s8, s0
; %bb.1238:                             ;   in Loop: Header=BB11_1234 Depth=1
	v_bfe_u32 v9, v11, 20, 1
	s_delay_alu instid0(VALU_DEP_1) | instskip(NEXT) | instid1(VALU_DEP_1)
	v_add_co_u32 v9, s0, v11, v9
	v_add_co_u32 v14, s0, v9, -1
; %bb.1239:                             ;   in Loop: Header=BB11_1234 Depth=1
	s_or_b32 exec_lo, exec_lo, s8
	v_add_nc_u32_e32 v9, 0xffffff81, v16
	v_lshrrev_b32_e32 v15, 23, v11
	s_mov_b32 s0, exec_lo
	s_delay_alu instid0(VALU_DEP_2) | instskip(NEXT) | instid1(VALU_DEP_1)
	v_cndmask_b32_e64 v9, v9, 0xffffff82, vcc_lo
	v_add3_u32 v15, v17, v9, v15
	v_and_b32_e32 v9, 0xfffff, v14
	s_delay_alu instid0(VALU_DEP_2) | instskip(NEXT) | instid1(VALU_DEP_2)
	v_add_nc_u32_e32 v14, 6, v15
	v_add_co_u32 v11, vcc_lo, v9, v11
	v_add_co_ci_u32_e32 v12, vcc_lo, 0, v12, vcc_lo
                                        ; implicit-def: $vgpr9
	s_delay_alu instid0(VALU_DEP_3)
	v_cmpx_ne_u32_e32 0, v14
	s_xor_b32 s0, exec_lo, s0
; %bb.1240:                             ;   in Loop: Header=BB11_1234 Depth=1
	s_delay_alu instid0(VALU_DEP_2) | instskip(SKIP_1) | instid1(VALU_DEP_1)
	v_cmp_lt_u64_e32 vcc_lo, 0xffffff, v[11:12]
	v_add_nc_u32_e32 v9, 7, v15
	v_cndmask_b32_e32 v9, v14, v9, vcc_lo
	v_cndmask_b32_e64 v14, 0, 1, vcc_lo
	s_delay_alu instid0(VALU_DEP_1)
	v_lshrrev_b64 v[11:12], v14, v[11:12]
; %bb.1241:                             ;   in Loop: Header=BB11_1234 Depth=1
	s_and_not1_saveexec_b32 s0, s0
; %bb.1242:                             ;   in Loop: Header=BB11_1234 Depth=1
	s_delay_alu instid0(VALU_DEP_1)
	v_bfe_u32 v9, v11, 23, 1
; %bb.1243:                             ;   in Loop: Header=BB11_1234 Depth=1
	s_or_b32 exec_lo, exec_lo, s0
	s_delay_alu instid0(VALU_DEP_2) | instskip(NEXT) | instid1(VALU_DEP_2)
	v_lshrrev_b64 v[11:12], 20, v[11:12]
	v_cmp_gt_i32_e32 vcc_lo, 16, v9
	v_cmp_ne_u32_e64 s0, 0, v9
	s_delay_alu instid0(VALU_DEP_3) | instskip(NEXT) | instid1(VALU_DEP_1)
	v_dual_cndmask_b32 v15, 0, v12 :: v_dual_cndmask_b32 v14, 7, v11
                                        ; implicit-def: $vgpr11_vgpr12
	v_cmp_ne_u64_e32 vcc_lo, 0, v[14:15]
	s_delay_alu instid0(VALU_DEP_3) | instskip(NEXT) | instid1(SALU_CYCLE_1)
	s_or_b32 s0, s0, vcc_lo
	s_and_saveexec_b32 s8, s0
	s_delay_alu instid0(SALU_CYCLE_1)
	s_xor_b32 s0, exec_lo, s8
; %bb.1244:                             ;   in Loop: Header=BB11_1234 Depth=1
	v_min_i32_e32 v9, 15, v9
	s_delay_alu instid0(VALU_DEP_1) | instskip(NEXT) | instid1(VALU_DEP_1)
	v_lshl_or_b32 v9, v9, 3, v13
                                        ; implicit-def: $vgpr13
	v_and_or_b32 v11, v14, 7, v9
; %bb.1245:                             ;   in Loop: Header=BB11_1234 Depth=1
	s_and_not1_saveexec_b32 s0, s0
; %bb.1246:                             ;   in Loop: Header=BB11_1234 Depth=1
	v_dual_mov_b32 v11, v13 :: v_dual_mov_b32 v12, v14
; %bb.1247:                             ;   in Loop: Header=BB11_1234 Depth=1
	s_or_b32 exec_lo, exec_lo, s0
.LBB11_1248:                            ;   in Loop: Header=BB11_1234 Depth=1
	s_delay_alu instid0(SALU_CYCLE_1)
	s_or_b32 exec_lo, exec_lo, s7
.LBB11_1249:                            ;   in Loop: Header=BB11_1234 Depth=1
	s_and_not1_saveexec_b32 s0, s6
	s_delay_alu instid0(SALU_CYCLE_1)
	s_or_b32 exec_lo, exec_lo, s0
                                        ; implicit-def: $vgpr12
.LBB11_1250:                            ;   in Loop: Header=BB11_1234 Depth=1
	s_and_not1_saveexec_b32 s0, s5
; %bb.1251:                             ;   in Loop: Header=BB11_1234 Depth=1
	v_cmp_eq_u64_e32 vcc_lo, 0, v[9:10]
	v_or_b32_e32 v12, 0x7f, v12
	s_delay_alu instid0(VALU_DEP_1)
	v_cndmask_b32_e32 v11, v12, v11, vcc_lo
; %bb.1252:                             ;   in Loop: Header=BB11_1234 Depth=1
	s_or_b32 exec_lo, exec_lo, s0
	v_lshrrev_b32_e32 v1, 16, v1
	s_mov_b32 s0, exec_lo
	s_delay_alu instid0(VALU_DEP_1) | instskip(NEXT) | instid1(VALU_DEP_1)
	v_cvt_f32_f16_e32 v1, v1
	v_div_scale_f32 v9, null, s26, s26, v1
	s_delay_alu instid0(VALU_DEP_1) | instskip(SKIP_2) | instid1(VALU_DEP_1)
	v_rcp_f32_e32 v12, v9
	s_waitcnt_depctr 0xfff
	v_fma_f32 v13, -v9, v12, 1.0
	v_fmac_f32_e32 v12, v13, v12
	v_div_scale_f32 v13, vcc_lo, v1, s26, v1
	s_delay_alu instid0(VALU_DEP_1) | instskip(NEXT) | instid1(VALU_DEP_1)
	v_mul_f32_e32 v14, v13, v12
	v_fma_f32 v15, -v9, v14, v13
	s_delay_alu instid0(VALU_DEP_1) | instskip(NEXT) | instid1(VALU_DEP_1)
	v_fmac_f32_e32 v14, v15, v12
	v_fma_f32 v9, -v9, v14, v13
	s_delay_alu instid0(VALU_DEP_1) | instskip(NEXT) | instid1(VALU_DEP_1)
	v_div_fmas_f32 v9, v9, v12, v14
	v_div_fixup_f32 v1, v9, s26, v1
	s_delay_alu instid0(VALU_DEP_1) | instskip(NEXT) | instid1(VALU_DEP_1)
	v_cvt_f16_f32_e32 v1, v1
	v_cvt_f32_f16_e32 v14, v1
	s_delay_alu instid0(VALU_DEP_1) | instskip(SKIP_2) | instid1(VALU_DEP_2)
	v_dual_mov_b32 v16, v10 :: v_dual_and_b32 v9, 0x7fffff, v14
	v_lshrrev_b32_e32 v13, 24, v14
	v_and_b32_e32 v15, 0x7f800000, v14
	v_and_b32_e32 v1, 0x80, v13
	s_delay_alu instid0(VALU_DEP_1) | instskip(NEXT) | instid1(VALU_DEP_3)
	v_or_b32_e32 v12, 0x7e, v1
	v_cmpx_ne_u64_e32 0x7f800000, v[15:16]
	s_xor_b32 s5, exec_lo, s0
	s_cbranch_execz .LBB11_1268
; %bb.1253:                             ;   in Loop: Header=BB11_1234 Depth=1
	v_dual_mov_b32 v16, v10 :: v_dual_and_b32 v15, 0x7fffffff, v14
	s_mov_b32 s0, exec_lo
	s_delay_alu instid0(VALU_DEP_1)
	v_cmpx_gt_u64_e32 0x43e00001, v[15:16]
	s_xor_b32 s6, exec_lo, s0
	s_cbranch_execz .LBB11_1267
; %bb.1254:                             ;   in Loop: Header=BB11_1234 Depth=1
	s_mov_b32 s7, exec_lo
	v_mov_b32_e32 v12, 0
	v_mov_b32_e32 v13, 0
	v_cmpx_ne_u32_e32 0, v14
	s_cbranch_execz .LBB11_1266
; %bb.1255:                             ;   in Loop: Header=BB11_1234 Depth=1
	v_bfe_u32 v16, v14, 23, 8
	v_or_b32_e32 v14, 0x800000, v9
	s_delay_alu instid0(VALU_DEP_2) | instskip(SKIP_1) | instid1(VALU_DEP_2)
	v_sub_nc_u32_e32 v12, 0x79, v16
	v_cmp_gt_u32_e32 vcc_lo, 0x7a, v16
	v_cndmask_b32_e32 v12, 0, v12, vcc_lo
	v_cmp_eq_u32_e32 vcc_lo, 0, v16
	v_cndmask_b32_e32 v9, v14, v9, vcc_lo
	s_delay_alu instid0(VALU_DEP_3) | instskip(NEXT) | instid1(VALU_DEP_1)
	v_cndmask_b32_e64 v17, v12, 0x78, vcc_lo
	v_add_nc_u32_e32 v12, 20, v17
	v_add_nc_u32_e32 v14, 19, v17
	s_delay_alu instid0(VALU_DEP_2) | instskip(NEXT) | instid1(VALU_DEP_2)
	v_lshlrev_b64 v[12:13], v12, -1
	v_lshlrev_b64 v[14:15], v14, 1
	s_delay_alu instid0(VALU_DEP_2) | instskip(NEXT) | instid1(VALU_DEP_3)
	v_not_b32_e32 v13, v13
	v_not_b32_e32 v12, v12
	s_delay_alu instid0(VALU_DEP_2) | instskip(NEXT) | instid1(VALU_DEP_2)
	v_and_b32_e32 v19, 0, v13
	v_and_b32_e32 v18, v9, v12
	v_lshrrev_b64 v[12:13], v17, v[9:10]
	s_delay_alu instid0(VALU_DEP_2) | instskip(NEXT) | instid1(VALU_DEP_2)
	v_cmp_eq_u64_e64 s0, v[18:19], v[14:15]
	v_dual_mov_b32 v15, v13 :: v_dual_mov_b32 v14, v12
	s_delay_alu instid0(VALU_DEP_2)
	s_and_saveexec_b32 s8, s0
; %bb.1256:                             ;   in Loop: Header=BB11_1234 Depth=1
	v_bfe_u32 v9, v12, 20, 1
	s_delay_alu instid0(VALU_DEP_1) | instskip(NEXT) | instid1(VALU_DEP_1)
	v_add_co_u32 v9, s0, v12, v9
	v_add_co_u32 v14, s0, v9, -1
; %bb.1257:                             ;   in Loop: Header=BB11_1234 Depth=1
	s_or_b32 exec_lo, exec_lo, s8
	v_add_nc_u32_e32 v9, 0xffffff81, v16
	v_lshrrev_b32_e32 v15, 23, v12
	s_mov_b32 s0, exec_lo
	s_delay_alu instid0(VALU_DEP_2) | instskip(NEXT) | instid1(VALU_DEP_1)
	v_cndmask_b32_e64 v9, v9, 0xffffff82, vcc_lo
	v_add3_u32 v15, v17, v9, v15
	v_and_b32_e32 v9, 0xfffff, v14
	s_delay_alu instid0(VALU_DEP_2) | instskip(NEXT) | instid1(VALU_DEP_2)
	v_add_nc_u32_e32 v14, 6, v15
	v_add_co_u32 v12, vcc_lo, v9, v12
	v_add_co_ci_u32_e32 v13, vcc_lo, 0, v13, vcc_lo
                                        ; implicit-def: $vgpr9
	s_delay_alu instid0(VALU_DEP_3)
	v_cmpx_ne_u32_e32 0, v14
	s_xor_b32 s0, exec_lo, s0
; %bb.1258:                             ;   in Loop: Header=BB11_1234 Depth=1
	s_delay_alu instid0(VALU_DEP_2) | instskip(SKIP_1) | instid1(VALU_DEP_1)
	v_cmp_lt_u64_e32 vcc_lo, 0xffffff, v[12:13]
	v_add_nc_u32_e32 v9, 7, v15
	v_cndmask_b32_e32 v9, v14, v9, vcc_lo
	v_cndmask_b32_e64 v14, 0, 1, vcc_lo
	s_delay_alu instid0(VALU_DEP_1)
	v_lshrrev_b64 v[12:13], v14, v[12:13]
; %bb.1259:                             ;   in Loop: Header=BB11_1234 Depth=1
	s_and_not1_saveexec_b32 s0, s0
; %bb.1260:                             ;   in Loop: Header=BB11_1234 Depth=1
	s_delay_alu instid0(VALU_DEP_1)
	v_bfe_u32 v9, v12, 23, 1
; %bb.1261:                             ;   in Loop: Header=BB11_1234 Depth=1
	s_or_b32 exec_lo, exec_lo, s0
	s_delay_alu instid0(VALU_DEP_2) | instskip(NEXT) | instid1(VALU_DEP_2)
	v_lshrrev_b64 v[12:13], 20, v[12:13]
	v_cmp_gt_i32_e32 vcc_lo, 16, v9
	v_cmp_ne_u32_e64 s0, 0, v9
	s_delay_alu instid0(VALU_DEP_3) | instskip(NEXT) | instid1(VALU_DEP_1)
	v_dual_cndmask_b32 v15, 0, v13 :: v_dual_cndmask_b32 v14, 7, v12
                                        ; implicit-def: $vgpr12_vgpr13
	v_cmp_ne_u64_e32 vcc_lo, 0, v[14:15]
	s_delay_alu instid0(VALU_DEP_3) | instskip(NEXT) | instid1(SALU_CYCLE_1)
	s_or_b32 s0, s0, vcc_lo
	s_and_saveexec_b32 s8, s0
	s_delay_alu instid0(SALU_CYCLE_1)
	s_xor_b32 s0, exec_lo, s8
; %bb.1262:                             ;   in Loop: Header=BB11_1234 Depth=1
	v_min_i32_e32 v9, 15, v9
	s_delay_alu instid0(VALU_DEP_1) | instskip(NEXT) | instid1(VALU_DEP_1)
	v_lshl_or_b32 v1, v9, 3, v1
	v_and_or_b32 v12, v14, 7, v1
                                        ; implicit-def: $vgpr1
; %bb.1263:                             ;   in Loop: Header=BB11_1234 Depth=1
	s_and_not1_saveexec_b32 s0, s0
; %bb.1264:                             ;   in Loop: Header=BB11_1234 Depth=1
	v_dual_mov_b32 v13, v2 :: v_dual_mov_b32 v12, v1
; %bb.1265:                             ;   in Loop: Header=BB11_1234 Depth=1
	s_or_b32 exec_lo, exec_lo, s0
.LBB11_1266:                            ;   in Loop: Header=BB11_1234 Depth=1
	s_delay_alu instid0(SALU_CYCLE_1)
	s_or_b32 exec_lo, exec_lo, s7
.LBB11_1267:                            ;   in Loop: Header=BB11_1234 Depth=1
	s_and_not1_saveexec_b32 s0, s6
	s_delay_alu instid0(SALU_CYCLE_1)
	s_or_b32 exec_lo, exec_lo, s0
                                        ; implicit-def: $vgpr13
.LBB11_1268:                            ;   in Loop: Header=BB11_1234 Depth=1
	s_and_not1_saveexec_b32 s0, s5
; %bb.1269:                             ;   in Loop: Header=BB11_1234 Depth=1
	v_cmp_eq_u64_e32 vcc_lo, 0, v[9:10]
	v_or_b32_e32 v1, 0x7f, v13
	s_delay_alu instid0(VALU_DEP_1)
	v_cndmask_b32_e32 v12, v1, v12, vcc_lo
; %bb.1270:                             ;   in Loop: Header=BB11_1234 Depth=1
	s_or_b32 exec_lo, exec_lo, s0
	v_cvt_f32_f16_e32 v1, v2
	v_mov_b32_e32 v17, v10
	s_mov_b32 s0, exec_lo
	s_delay_alu instid0(VALU_DEP_2) | instskip(NEXT) | instid1(VALU_DEP_1)
	v_div_scale_f32 v9, null, s26, s26, v1
	v_rcp_f32_e32 v13, v9
	s_waitcnt_depctr 0xfff
	v_fma_f32 v14, -v9, v13, 1.0
	s_delay_alu instid0(VALU_DEP_1) | instskip(SKIP_1) | instid1(VALU_DEP_1)
	v_fmac_f32_e32 v13, v14, v13
	v_div_scale_f32 v14, vcc_lo, v1, s26, v1
	v_mul_f32_e32 v15, v14, v13
	s_delay_alu instid0(VALU_DEP_1) | instskip(NEXT) | instid1(VALU_DEP_1)
	v_fma_f32 v16, -v9, v15, v14
	v_fmac_f32_e32 v15, v16, v13
	s_delay_alu instid0(VALU_DEP_1) | instskip(NEXT) | instid1(VALU_DEP_1)
	v_fma_f32 v9, -v9, v15, v14
	v_div_fmas_f32 v9, v9, v13, v15
	s_delay_alu instid0(VALU_DEP_1) | instskip(NEXT) | instid1(VALU_DEP_1)
	v_div_fixup_f32 v1, v9, s26, v1
	v_cvt_f16_f32_e32 v1, v1
	s_delay_alu instid0(VALU_DEP_1) | instskip(NEXT) | instid1(VALU_DEP_1)
	v_cvt_f32_f16_e32 v15, v1
	v_and_b32_e32 v16, 0x7f800000, v15
	v_lshrrev_b32_e32 v14, 24, v15
	v_and_b32_e32 v9, 0x7fffff, v15
	s_delay_alu instid0(VALU_DEP_2) | instskip(NEXT) | instid1(VALU_DEP_1)
	v_and_b32_e32 v1, 0x80, v14
	v_or_b32_e32 v13, 0x7e, v1
	v_cmpx_ne_u64_e32 0x7f800000, v[16:17]
	s_xor_b32 s5, exec_lo, s0
	s_cbranch_execz .LBB11_1286
; %bb.1271:                             ;   in Loop: Header=BB11_1234 Depth=1
	v_dual_mov_b32 v17, v10 :: v_dual_and_b32 v16, 0x7fffffff, v15
	s_mov_b32 s0, exec_lo
	s_delay_alu instid0(VALU_DEP_1)
	v_cmpx_gt_u64_e32 0x43e00001, v[16:17]
	s_xor_b32 s6, exec_lo, s0
	s_cbranch_execz .LBB11_1285
; %bb.1272:                             ;   in Loop: Header=BB11_1234 Depth=1
	s_mov_b32 s7, exec_lo
	v_mov_b32_e32 v13, 0
	v_mov_b32_e32 v14, 0
	v_cmpx_ne_u32_e32 0, v15
	s_cbranch_execz .LBB11_1284
; %bb.1273:                             ;   in Loop: Header=BB11_1234 Depth=1
	v_bfe_u32 v17, v15, 23, 8
	v_or_b32_e32 v15, 0x800000, v9
	s_delay_alu instid0(VALU_DEP_2) | instskip(SKIP_1) | instid1(VALU_DEP_2)
	v_sub_nc_u32_e32 v13, 0x79, v17
	v_cmp_gt_u32_e32 vcc_lo, 0x7a, v17
	v_cndmask_b32_e32 v13, 0, v13, vcc_lo
	v_cmp_eq_u32_e32 vcc_lo, 0, v17
	s_delay_alu instid0(VALU_DEP_2) | instskip(SKIP_1) | instid1(VALU_DEP_2)
	v_cndmask_b32_e64 v18, v13, 0x78, vcc_lo
	v_cndmask_b32_e32 v9, v15, v9, vcc_lo
	v_add_nc_u32_e32 v13, 20, v18
	v_add_nc_u32_e32 v15, 19, v18
	s_delay_alu instid0(VALU_DEP_2) | instskip(NEXT) | instid1(VALU_DEP_2)
	v_lshlrev_b64 v[13:14], v13, -1
	v_lshlrev_b64 v[15:16], v15, 1
	s_delay_alu instid0(VALU_DEP_2) | instskip(NEXT) | instid1(VALU_DEP_3)
	v_not_b32_e32 v14, v14
	v_not_b32_e32 v13, v13
	s_delay_alu instid0(VALU_DEP_2) | instskip(NEXT) | instid1(VALU_DEP_2)
	v_and_b32_e32 v20, 0, v14
	v_and_b32_e32 v19, v9, v13
	v_lshrrev_b64 v[13:14], v18, v[9:10]
	s_delay_alu instid0(VALU_DEP_2) | instskip(NEXT) | instid1(VALU_DEP_2)
	v_cmp_eq_u64_e64 s0, v[19:20], v[15:16]
	v_dual_mov_b32 v16, v14 :: v_dual_mov_b32 v15, v13
	s_delay_alu instid0(VALU_DEP_2)
	s_and_saveexec_b32 s8, s0
; %bb.1274:                             ;   in Loop: Header=BB11_1234 Depth=1
	v_bfe_u32 v9, v13, 20, 1
	s_delay_alu instid0(VALU_DEP_1) | instskip(NEXT) | instid1(VALU_DEP_1)
	v_add_co_u32 v9, s0, v13, v9
	v_add_co_u32 v15, s0, v9, -1
; %bb.1275:                             ;   in Loop: Header=BB11_1234 Depth=1
	s_or_b32 exec_lo, exec_lo, s8
	v_add_nc_u32_e32 v9, 0xffffff81, v17
	v_lshrrev_b32_e32 v16, 23, v13
	s_mov_b32 s0, exec_lo
	s_delay_alu instid0(VALU_DEP_2) | instskip(NEXT) | instid1(VALU_DEP_1)
	v_cndmask_b32_e64 v9, v9, 0xffffff82, vcc_lo
	v_add3_u32 v16, v18, v9, v16
	v_and_b32_e32 v9, 0xfffff, v15
	s_delay_alu instid0(VALU_DEP_2) | instskip(NEXT) | instid1(VALU_DEP_2)
	v_add_nc_u32_e32 v15, 6, v16
	v_add_co_u32 v13, vcc_lo, v9, v13
	v_add_co_ci_u32_e32 v14, vcc_lo, 0, v14, vcc_lo
                                        ; implicit-def: $vgpr9
	s_delay_alu instid0(VALU_DEP_3)
	v_cmpx_ne_u32_e32 0, v15
	s_xor_b32 s0, exec_lo, s0
; %bb.1276:                             ;   in Loop: Header=BB11_1234 Depth=1
	s_delay_alu instid0(VALU_DEP_2) | instskip(SKIP_1) | instid1(VALU_DEP_1)
	v_cmp_lt_u64_e32 vcc_lo, 0xffffff, v[13:14]
	v_add_nc_u32_e32 v9, 7, v16
	v_cndmask_b32_e32 v9, v15, v9, vcc_lo
	v_cndmask_b32_e64 v15, 0, 1, vcc_lo
	s_delay_alu instid0(VALU_DEP_1)
	v_lshrrev_b64 v[13:14], v15, v[13:14]
; %bb.1277:                             ;   in Loop: Header=BB11_1234 Depth=1
	s_and_not1_saveexec_b32 s0, s0
; %bb.1278:                             ;   in Loop: Header=BB11_1234 Depth=1
	s_delay_alu instid0(VALU_DEP_1)
	v_bfe_u32 v9, v13, 23, 1
; %bb.1279:                             ;   in Loop: Header=BB11_1234 Depth=1
	s_or_b32 exec_lo, exec_lo, s0
	s_delay_alu instid0(VALU_DEP_2) | instskip(NEXT) | instid1(VALU_DEP_2)
	v_lshrrev_b64 v[13:14], 20, v[13:14]
	v_cmp_gt_i32_e32 vcc_lo, 16, v9
	v_cmp_ne_u32_e64 s0, 0, v9
	s_delay_alu instid0(VALU_DEP_3) | instskip(NEXT) | instid1(VALU_DEP_1)
	v_dual_cndmask_b32 v16, 0, v14 :: v_dual_cndmask_b32 v15, 7, v13
                                        ; implicit-def: $vgpr13_vgpr14
	v_cmp_ne_u64_e32 vcc_lo, 0, v[15:16]
	s_delay_alu instid0(VALU_DEP_3) | instskip(NEXT) | instid1(SALU_CYCLE_1)
	s_or_b32 s0, s0, vcc_lo
	s_and_saveexec_b32 s8, s0
	s_delay_alu instid0(SALU_CYCLE_1)
	s_xor_b32 s0, exec_lo, s8
; %bb.1280:                             ;   in Loop: Header=BB11_1234 Depth=1
	v_min_i32_e32 v9, 15, v9
	s_delay_alu instid0(VALU_DEP_1) | instskip(NEXT) | instid1(VALU_DEP_1)
	v_lshl_or_b32 v1, v9, 3, v1
	v_and_or_b32 v13, v15, 7, v1
                                        ; implicit-def: $vgpr1
; %bb.1281:                             ;   in Loop: Header=BB11_1234 Depth=1
	s_and_not1_saveexec_b32 s0, s0
; %bb.1282:                             ;   in Loop: Header=BB11_1234 Depth=1
	v_dual_mov_b32 v14, v2 :: v_dual_mov_b32 v13, v1
; %bb.1283:                             ;   in Loop: Header=BB11_1234 Depth=1
	s_or_b32 exec_lo, exec_lo, s0
.LBB11_1284:                            ;   in Loop: Header=BB11_1234 Depth=1
	s_delay_alu instid0(SALU_CYCLE_1)
	s_or_b32 exec_lo, exec_lo, s7
.LBB11_1285:                            ;   in Loop: Header=BB11_1234 Depth=1
	s_and_not1_saveexec_b32 s0, s6
	s_delay_alu instid0(SALU_CYCLE_1)
	s_or_b32 exec_lo, exec_lo, s0
                                        ; implicit-def: $vgpr14
.LBB11_1286:                            ;   in Loop: Header=BB11_1234 Depth=1
	s_and_not1_saveexec_b32 s0, s5
; %bb.1287:                             ;   in Loop: Header=BB11_1234 Depth=1
	v_cmp_eq_u64_e32 vcc_lo, 0, v[9:10]
	v_or_b32_e32 v1, 0x7f, v14
	s_delay_alu instid0(VALU_DEP_1)
	v_cndmask_b32_e32 v13, v1, v13, vcc_lo
; %bb.1288:                             ;   in Loop: Header=BB11_1234 Depth=1
	s_or_b32 exec_lo, exec_lo, s0
	v_lshrrev_b32_e32 v1, 16, v2
	v_mov_b32_e32 v17, v10
	s_mov_b32 s0, exec_lo
	s_delay_alu instid0(VALU_DEP_2) | instskip(NEXT) | instid1(VALU_DEP_1)
	v_cvt_f32_f16_e32 v1, v1
	v_div_scale_f32 v2, null, s26, s26, v1
	s_delay_alu instid0(VALU_DEP_1) | instskip(SKIP_2) | instid1(VALU_DEP_1)
	v_rcp_f32_e32 v9, v2
	s_waitcnt_depctr 0xfff
	v_fma_f32 v14, -v2, v9, 1.0
	v_fmac_f32_e32 v9, v14, v9
	v_div_scale_f32 v14, vcc_lo, v1, s26, v1
	s_delay_alu instid0(VALU_DEP_1) | instskip(NEXT) | instid1(VALU_DEP_1)
	v_mul_f32_e32 v15, v14, v9
	v_fma_f32 v16, -v2, v15, v14
	s_delay_alu instid0(VALU_DEP_1) | instskip(NEXT) | instid1(VALU_DEP_1)
	v_fmac_f32_e32 v15, v16, v9
	v_fma_f32 v2, -v2, v15, v14
	s_delay_alu instid0(VALU_DEP_1) | instskip(NEXT) | instid1(VALU_DEP_1)
	v_div_fmas_f32 v2, v2, v9, v15
	v_div_fixup_f32 v1, v2, s26, v1
	s_delay_alu instid0(VALU_DEP_1) | instskip(NEXT) | instid1(VALU_DEP_1)
	v_cvt_f16_f32_e32 v1, v1
	v_cvt_f32_f16_e32 v15, v1
	s_delay_alu instid0(VALU_DEP_1) | instskip(SKIP_2) | instid1(VALU_DEP_3)
	v_lshrrev_b32_e32 v2, 24, v15
	v_and_b32_e32 v16, 0x7f800000, v15
	v_and_b32_e32 v9, 0x7fffff, v15
	;; [unrolled: 1-line block ×3, first 2 shown]
	s_delay_alu instid0(VALU_DEP_1) | instskip(NEXT) | instid1(VALU_DEP_4)
	v_or_b32_e32 v1, 0x7e, v14
	v_cmpx_ne_u64_e32 0x7f800000, v[16:17]
	s_xor_b32 s5, exec_lo, s0
	s_cbranch_execz .LBB11_1304
; %bb.1289:                             ;   in Loop: Header=BB11_1234 Depth=1
	v_dual_mov_b32 v17, v10 :: v_dual_and_b32 v16, 0x7fffffff, v15
	s_mov_b32 s0, exec_lo
	s_delay_alu instid0(VALU_DEP_1)
	v_cmpx_gt_u64_e32 0x43e00001, v[16:17]
	s_xor_b32 s6, exec_lo, s0
	s_cbranch_execz .LBB11_1303
; %bb.1290:                             ;   in Loop: Header=BB11_1234 Depth=1
	s_mov_b32 s7, exec_lo
	v_mov_b32_e32 v1, 0
	v_mov_b32_e32 v2, 0
	v_cmpx_ne_u32_e32 0, v15
	s_cbranch_execz .LBB11_1302
; %bb.1291:                             ;   in Loop: Header=BB11_1234 Depth=1
	v_bfe_u32 v17, v15, 23, 8
	v_or_b32_e32 v15, 0x800000, v9
	s_delay_alu instid0(VALU_DEP_2) | instskip(SKIP_1) | instid1(VALU_DEP_2)
	v_sub_nc_u32_e32 v1, 0x79, v17
	v_cmp_gt_u32_e32 vcc_lo, 0x7a, v17
	v_cndmask_b32_e32 v1, 0, v1, vcc_lo
	v_cmp_eq_u32_e32 vcc_lo, 0, v17
	s_delay_alu instid0(VALU_DEP_2) | instskip(SKIP_1) | instid1(VALU_DEP_2)
	v_cndmask_b32_e64 v18, v1, 0x78, vcc_lo
	v_cndmask_b32_e32 v9, v15, v9, vcc_lo
	v_add_nc_u32_e32 v1, 20, v18
	v_add_nc_u32_e32 v15, 19, v18
	s_delay_alu instid0(VALU_DEP_2) | instskip(NEXT) | instid1(VALU_DEP_2)
	v_lshlrev_b64 v[1:2], v1, -1
	v_lshlrev_b64 v[15:16], v15, 1
	s_delay_alu instid0(VALU_DEP_2) | instskip(NEXT) | instid1(VALU_DEP_3)
	v_not_b32_e32 v2, v2
	v_not_b32_e32 v1, v1
	s_delay_alu instid0(VALU_DEP_2) | instskip(NEXT) | instid1(VALU_DEP_2)
	v_and_b32_e32 v20, 0, v2
	v_and_b32_e32 v19, v9, v1
	v_lshrrev_b64 v[1:2], v18, v[9:10]
	s_delay_alu instid0(VALU_DEP_2) | instskip(NEXT) | instid1(VALU_DEP_2)
	v_cmp_eq_u64_e64 s0, v[19:20], v[15:16]
	v_dual_mov_b32 v16, v2 :: v_dual_mov_b32 v15, v1
	s_delay_alu instid0(VALU_DEP_2)
	s_and_saveexec_b32 s8, s0
; %bb.1292:                             ;   in Loop: Header=BB11_1234 Depth=1
	v_bfe_u32 v9, v1, 20, 1
	s_delay_alu instid0(VALU_DEP_1) | instskip(NEXT) | instid1(VALU_DEP_1)
	v_add_co_u32 v9, s0, v1, v9
	v_add_co_u32 v15, s0, v9, -1
; %bb.1293:                             ;   in Loop: Header=BB11_1234 Depth=1
	s_or_b32 exec_lo, exec_lo, s8
	v_add_nc_u32_e32 v9, 0xffffff81, v17
	v_lshrrev_b32_e32 v16, 23, v1
	s_mov_b32 s0, exec_lo
	s_delay_alu instid0(VALU_DEP_2) | instskip(NEXT) | instid1(VALU_DEP_1)
	v_cndmask_b32_e64 v9, v9, 0xffffff82, vcc_lo
	v_add3_u32 v16, v18, v9, v16
	v_and_b32_e32 v9, 0xfffff, v15
	s_delay_alu instid0(VALU_DEP_2) | instskip(NEXT) | instid1(VALU_DEP_2)
	v_add_nc_u32_e32 v15, 6, v16
	v_add_co_u32 v1, vcc_lo, v9, v1
	v_add_co_ci_u32_e32 v2, vcc_lo, 0, v2, vcc_lo
                                        ; implicit-def: $vgpr9
	s_delay_alu instid0(VALU_DEP_3)
	v_cmpx_ne_u32_e32 0, v15
	s_xor_b32 s0, exec_lo, s0
; %bb.1294:                             ;   in Loop: Header=BB11_1234 Depth=1
	s_delay_alu instid0(VALU_DEP_2) | instskip(SKIP_1) | instid1(VALU_DEP_1)
	v_cmp_lt_u64_e32 vcc_lo, 0xffffff, v[1:2]
	v_add_nc_u32_e32 v9, 7, v16
	v_cndmask_b32_e32 v9, v15, v9, vcc_lo
	v_cndmask_b32_e64 v15, 0, 1, vcc_lo
	s_delay_alu instid0(VALU_DEP_1)
	v_lshrrev_b64 v[1:2], v15, v[1:2]
; %bb.1295:                             ;   in Loop: Header=BB11_1234 Depth=1
	s_and_not1_saveexec_b32 s0, s0
; %bb.1296:                             ;   in Loop: Header=BB11_1234 Depth=1
	s_delay_alu instid0(VALU_DEP_1)
	v_bfe_u32 v9, v1, 23, 1
; %bb.1297:                             ;   in Loop: Header=BB11_1234 Depth=1
	s_or_b32 exec_lo, exec_lo, s0
	s_delay_alu instid0(VALU_DEP_2) | instskip(NEXT) | instid1(VALU_DEP_2)
	v_lshrrev_b64 v[1:2], 20, v[1:2]
	v_cmp_gt_i32_e32 vcc_lo, 16, v9
	v_cmp_ne_u32_e64 s0, 0, v9
	s_delay_alu instid0(VALU_DEP_3) | instskip(NEXT) | instid1(VALU_DEP_1)
	v_dual_cndmask_b32 v16, 0, v2 :: v_dual_cndmask_b32 v15, 7, v1
                                        ; implicit-def: $vgpr1_vgpr2
	v_cmp_ne_u64_e32 vcc_lo, 0, v[15:16]
	s_delay_alu instid0(VALU_DEP_3) | instskip(NEXT) | instid1(SALU_CYCLE_1)
	s_or_b32 s0, s0, vcc_lo
	s_and_saveexec_b32 s8, s0
	s_delay_alu instid0(SALU_CYCLE_1)
	s_xor_b32 s0, exec_lo, s8
; %bb.1298:                             ;   in Loop: Header=BB11_1234 Depth=1
	v_min_i32_e32 v1, 15, v9
	s_delay_alu instid0(VALU_DEP_1) | instskip(NEXT) | instid1(VALU_DEP_1)
	v_lshl_or_b32 v1, v1, 3, v14
                                        ; implicit-def: $vgpr14
	v_and_or_b32 v1, v15, 7, v1
; %bb.1299:                             ;   in Loop: Header=BB11_1234 Depth=1
	s_and_not1_saveexec_b32 s0, s0
; %bb.1300:                             ;   in Loop: Header=BB11_1234 Depth=1
	v_dual_mov_b32 v1, v14 :: v_dual_mov_b32 v2, v15
; %bb.1301:                             ;   in Loop: Header=BB11_1234 Depth=1
	s_or_b32 exec_lo, exec_lo, s0
.LBB11_1302:                            ;   in Loop: Header=BB11_1234 Depth=1
	s_delay_alu instid0(SALU_CYCLE_1)
	s_or_b32 exec_lo, exec_lo, s7
.LBB11_1303:                            ;   in Loop: Header=BB11_1234 Depth=1
	s_and_not1_saveexec_b32 s0, s6
	s_delay_alu instid0(SALU_CYCLE_1)
	s_or_b32 exec_lo, exec_lo, s0
                                        ; implicit-def: $vgpr2
.LBB11_1304:                            ;   in Loop: Header=BB11_1234 Depth=1
	s_and_not1_saveexec_b32 s0, s5
; %bb.1305:                             ;   in Loop: Header=BB11_1234 Depth=1
	v_cmp_eq_u64_e32 vcc_lo, 0, v[9:10]
	v_or_b32_e32 v2, 0x7f, v2
	s_delay_alu instid0(VALU_DEP_1)
	v_cndmask_b32_e32 v1, v2, v1, vcc_lo
; %bb.1306:                             ;   in Loop: Header=BB11_1234 Depth=1
	s_or_b32 exec_lo, exec_lo, s0
	v_cvt_f32_f16_e32 v2, v3
	s_mov_b32 s0, exec_lo
	s_delay_alu instid0(VALU_DEP_1) | instskip(NEXT) | instid1(VALU_DEP_1)
	v_div_scale_f32 v9, null, s26, s26, v2
	v_rcp_f32_e32 v14, v9
	s_waitcnt_depctr 0xfff
	v_fma_f32 v15, -v9, v14, 1.0
	s_delay_alu instid0(VALU_DEP_1) | instskip(SKIP_1) | instid1(VALU_DEP_1)
	v_fmac_f32_e32 v14, v15, v14
	v_div_scale_f32 v15, vcc_lo, v2, s26, v2
	v_mul_f32_e32 v16, v15, v14
	s_delay_alu instid0(VALU_DEP_1) | instskip(NEXT) | instid1(VALU_DEP_1)
	v_fma_f32 v17, -v9, v16, v15
	v_fmac_f32_e32 v16, v17, v14
	s_delay_alu instid0(VALU_DEP_1) | instskip(NEXT) | instid1(VALU_DEP_1)
	v_fma_f32 v9, -v9, v16, v15
	v_div_fmas_f32 v9, v9, v14, v16
	s_delay_alu instid0(VALU_DEP_1) | instskip(NEXT) | instid1(VALU_DEP_1)
	v_div_fixup_f32 v2, v9, s26, v2
	v_cvt_f16_f32_e32 v2, v2
	s_delay_alu instid0(VALU_DEP_1) | instskip(NEXT) | instid1(VALU_DEP_1)
	v_cvt_f32_f16_e32 v16, v2
	v_dual_mov_b32 v18, v10 :: v_dual_and_b32 v9, 0x7fffff, v16
	v_lshrrev_b32_e32 v15, 24, v16
	v_and_b32_e32 v17, 0x7f800000, v16
	s_delay_alu instid0(VALU_DEP_2) | instskip(NEXT) | instid1(VALU_DEP_1)
	v_and_b32_e32 v2, 0x80, v15
	v_or_b32_e32 v14, 0x7e, v2
	s_delay_alu instid0(VALU_DEP_3)
	v_cmpx_ne_u64_e32 0x7f800000, v[17:18]
	s_xor_b32 s5, exec_lo, s0
	s_cbranch_execz .LBB11_1322
; %bb.1307:                             ;   in Loop: Header=BB11_1234 Depth=1
	v_dual_mov_b32 v18, v10 :: v_dual_and_b32 v17, 0x7fffffff, v16
	s_mov_b32 s0, exec_lo
	s_delay_alu instid0(VALU_DEP_1)
	v_cmpx_gt_u64_e32 0x43e00001, v[17:18]
	s_xor_b32 s6, exec_lo, s0
	s_cbranch_execz .LBB11_1321
; %bb.1308:                             ;   in Loop: Header=BB11_1234 Depth=1
	s_mov_b32 s7, exec_lo
	v_mov_b32_e32 v14, 0
	v_mov_b32_e32 v15, 0
	v_cmpx_ne_u32_e32 0, v16
	s_cbranch_execz .LBB11_1320
; %bb.1309:                             ;   in Loop: Header=BB11_1234 Depth=1
	v_bfe_u32 v18, v16, 23, 8
	v_or_b32_e32 v16, 0x800000, v9
	s_delay_alu instid0(VALU_DEP_2) | instskip(SKIP_1) | instid1(VALU_DEP_2)
	v_sub_nc_u32_e32 v14, 0x79, v18
	v_cmp_gt_u32_e32 vcc_lo, 0x7a, v18
	v_cndmask_b32_e32 v14, 0, v14, vcc_lo
	v_cmp_eq_u32_e32 vcc_lo, 0, v18
	v_cndmask_b32_e32 v9, v16, v9, vcc_lo
	s_delay_alu instid0(VALU_DEP_3) | instskip(NEXT) | instid1(VALU_DEP_1)
	v_cndmask_b32_e64 v19, v14, 0x78, vcc_lo
	v_add_nc_u32_e32 v14, 20, v19
	v_add_nc_u32_e32 v16, 19, v19
	s_delay_alu instid0(VALU_DEP_2) | instskip(NEXT) | instid1(VALU_DEP_2)
	v_lshlrev_b64 v[14:15], v14, -1
	v_lshlrev_b64 v[16:17], v16, 1
	s_delay_alu instid0(VALU_DEP_2) | instskip(NEXT) | instid1(VALU_DEP_3)
	v_not_b32_e32 v15, v15
	v_not_b32_e32 v14, v14
	s_delay_alu instid0(VALU_DEP_2) | instskip(NEXT) | instid1(VALU_DEP_2)
	v_and_b32_e32 v21, 0, v15
	v_and_b32_e32 v20, v9, v14
	v_lshrrev_b64 v[14:15], v19, v[9:10]
	s_delay_alu instid0(VALU_DEP_2) | instskip(NEXT) | instid1(VALU_DEP_2)
	v_cmp_eq_u64_e64 s0, v[20:21], v[16:17]
	v_dual_mov_b32 v17, v15 :: v_dual_mov_b32 v16, v14
	s_delay_alu instid0(VALU_DEP_2)
	s_and_saveexec_b32 s8, s0
; %bb.1310:                             ;   in Loop: Header=BB11_1234 Depth=1
	v_bfe_u32 v9, v14, 20, 1
	s_delay_alu instid0(VALU_DEP_1) | instskip(NEXT) | instid1(VALU_DEP_1)
	v_add_co_u32 v9, s0, v14, v9
	v_add_co_u32 v16, s0, v9, -1
; %bb.1311:                             ;   in Loop: Header=BB11_1234 Depth=1
	s_or_b32 exec_lo, exec_lo, s8
	v_add_nc_u32_e32 v9, 0xffffff81, v18
	v_lshrrev_b32_e32 v17, 23, v14
	s_mov_b32 s0, exec_lo
	s_delay_alu instid0(VALU_DEP_2) | instskip(NEXT) | instid1(VALU_DEP_1)
	v_cndmask_b32_e64 v9, v9, 0xffffff82, vcc_lo
	v_add3_u32 v17, v19, v9, v17
	v_and_b32_e32 v9, 0xfffff, v16
	s_delay_alu instid0(VALU_DEP_2) | instskip(NEXT) | instid1(VALU_DEP_2)
	v_add_nc_u32_e32 v16, 6, v17
	v_add_co_u32 v14, vcc_lo, v9, v14
	v_add_co_ci_u32_e32 v15, vcc_lo, 0, v15, vcc_lo
                                        ; implicit-def: $vgpr9
	s_delay_alu instid0(VALU_DEP_3)
	v_cmpx_ne_u32_e32 0, v16
	s_xor_b32 s0, exec_lo, s0
; %bb.1312:                             ;   in Loop: Header=BB11_1234 Depth=1
	s_delay_alu instid0(VALU_DEP_2) | instskip(SKIP_1) | instid1(VALU_DEP_1)
	v_cmp_lt_u64_e32 vcc_lo, 0xffffff, v[14:15]
	v_add_nc_u32_e32 v9, 7, v17
	v_cndmask_b32_e32 v9, v16, v9, vcc_lo
	v_cndmask_b32_e64 v16, 0, 1, vcc_lo
	s_delay_alu instid0(VALU_DEP_1)
	v_lshrrev_b64 v[14:15], v16, v[14:15]
; %bb.1313:                             ;   in Loop: Header=BB11_1234 Depth=1
	s_and_not1_saveexec_b32 s0, s0
; %bb.1314:                             ;   in Loop: Header=BB11_1234 Depth=1
	s_delay_alu instid0(VALU_DEP_1)
	v_bfe_u32 v9, v14, 23, 1
; %bb.1315:                             ;   in Loop: Header=BB11_1234 Depth=1
	s_or_b32 exec_lo, exec_lo, s0
	s_delay_alu instid0(VALU_DEP_2) | instskip(NEXT) | instid1(VALU_DEP_2)
	v_lshrrev_b64 v[14:15], 20, v[14:15]
	v_cmp_gt_i32_e32 vcc_lo, 16, v9
	v_cmp_ne_u32_e64 s0, 0, v9
	s_delay_alu instid0(VALU_DEP_3) | instskip(NEXT) | instid1(VALU_DEP_1)
	v_dual_cndmask_b32 v17, 0, v15 :: v_dual_cndmask_b32 v16, 7, v14
                                        ; implicit-def: $vgpr14_vgpr15
	v_cmp_ne_u64_e32 vcc_lo, 0, v[16:17]
	s_delay_alu instid0(VALU_DEP_3) | instskip(NEXT) | instid1(SALU_CYCLE_1)
	s_or_b32 s0, s0, vcc_lo
	s_and_saveexec_b32 s8, s0
	s_delay_alu instid0(SALU_CYCLE_1)
	s_xor_b32 s0, exec_lo, s8
; %bb.1316:                             ;   in Loop: Header=BB11_1234 Depth=1
	v_min_i32_e32 v9, 15, v9
	s_delay_alu instid0(VALU_DEP_1) | instskip(NEXT) | instid1(VALU_DEP_1)
	v_lshl_or_b32 v2, v9, 3, v2
	v_and_or_b32 v14, v16, 7, v2
                                        ; implicit-def: $vgpr2
; %bb.1317:                             ;   in Loop: Header=BB11_1234 Depth=1
	s_and_not1_saveexec_b32 s0, s0
; %bb.1318:                             ;   in Loop: Header=BB11_1234 Depth=1
	v_dual_mov_b32 v15, v3 :: v_dual_mov_b32 v14, v2
; %bb.1319:                             ;   in Loop: Header=BB11_1234 Depth=1
	s_or_b32 exec_lo, exec_lo, s0
.LBB11_1320:                            ;   in Loop: Header=BB11_1234 Depth=1
	s_delay_alu instid0(SALU_CYCLE_1)
	s_or_b32 exec_lo, exec_lo, s7
.LBB11_1321:                            ;   in Loop: Header=BB11_1234 Depth=1
	s_and_not1_saveexec_b32 s0, s6
	s_delay_alu instid0(SALU_CYCLE_1)
	s_or_b32 exec_lo, exec_lo, s0
                                        ; implicit-def: $vgpr15
.LBB11_1322:                            ;   in Loop: Header=BB11_1234 Depth=1
	s_and_not1_saveexec_b32 s0, s5
; %bb.1323:                             ;   in Loop: Header=BB11_1234 Depth=1
	v_cmp_eq_u64_e32 vcc_lo, 0, v[9:10]
	v_or_b32_e32 v2, 0x7f, v15
	s_delay_alu instid0(VALU_DEP_1)
	v_cndmask_b32_e32 v14, v2, v14, vcc_lo
; %bb.1324:                             ;   in Loop: Header=BB11_1234 Depth=1
	s_or_b32 exec_lo, exec_lo, s0
	v_lshrrev_b32_e32 v2, 16, v3
	s_mov_b32 s0, exec_lo
	v_mov_b32_e32 v18, v10
	s_delay_alu instid0(VALU_DEP_2) | instskip(NEXT) | instid1(VALU_DEP_1)
	v_cvt_f32_f16_e32 v2, v2
	v_div_scale_f32 v3, null, s26, s26, v2
	s_delay_alu instid0(VALU_DEP_1) | instskip(SKIP_2) | instid1(VALU_DEP_1)
	v_rcp_f32_e32 v9, v3
	s_waitcnt_depctr 0xfff
	v_fma_f32 v15, -v3, v9, 1.0
	v_fmac_f32_e32 v9, v15, v9
	v_div_scale_f32 v15, vcc_lo, v2, s26, v2
	s_delay_alu instid0(VALU_DEP_1) | instskip(NEXT) | instid1(VALU_DEP_1)
	v_mul_f32_e32 v16, v15, v9
	v_fma_f32 v17, -v3, v16, v15
	s_delay_alu instid0(VALU_DEP_1) | instskip(NEXT) | instid1(VALU_DEP_1)
	v_fmac_f32_e32 v16, v17, v9
	v_fma_f32 v3, -v3, v16, v15
	s_delay_alu instid0(VALU_DEP_1) | instskip(NEXT) | instid1(VALU_DEP_1)
	v_div_fmas_f32 v3, v3, v9, v16
	v_div_fixup_f32 v2, v3, s26, v2
	s_delay_alu instid0(VALU_DEP_1) | instskip(NEXT) | instid1(VALU_DEP_1)
	v_cvt_f16_f32_e32 v2, v2
	v_cvt_f32_f16_e32 v16, v2
	s_delay_alu instid0(VALU_DEP_1) | instskip(SKIP_2) | instid1(VALU_DEP_3)
	v_lshrrev_b32_e32 v3, 24, v16
	v_and_b32_e32 v17, 0x7f800000, v16
	v_and_b32_e32 v9, 0x7fffff, v16
	;; [unrolled: 1-line block ×3, first 2 shown]
	s_delay_alu instid0(VALU_DEP_1) | instskip(NEXT) | instid1(VALU_DEP_4)
	v_or_b32_e32 v2, 0x7e, v15
	v_cmpx_ne_u64_e32 0x7f800000, v[17:18]
	s_xor_b32 s5, exec_lo, s0
	s_cbranch_execz .LBB11_1340
; %bb.1325:                             ;   in Loop: Header=BB11_1234 Depth=1
	v_dual_mov_b32 v18, v10 :: v_dual_and_b32 v17, 0x7fffffff, v16
	s_mov_b32 s0, exec_lo
	s_delay_alu instid0(VALU_DEP_1)
	v_cmpx_gt_u64_e32 0x43e00001, v[17:18]
	s_xor_b32 s6, exec_lo, s0
	s_cbranch_execz .LBB11_1339
; %bb.1326:                             ;   in Loop: Header=BB11_1234 Depth=1
	s_mov_b32 s7, exec_lo
	v_mov_b32_e32 v2, 0
	v_mov_b32_e32 v3, 0
	v_cmpx_ne_u32_e32 0, v16
	s_cbranch_execz .LBB11_1338
; %bb.1327:                             ;   in Loop: Header=BB11_1234 Depth=1
	v_bfe_u32 v18, v16, 23, 8
	v_or_b32_e32 v16, 0x800000, v9
	s_delay_alu instid0(VALU_DEP_2) | instskip(SKIP_1) | instid1(VALU_DEP_2)
	v_sub_nc_u32_e32 v2, 0x79, v18
	v_cmp_gt_u32_e32 vcc_lo, 0x7a, v18
	v_cndmask_b32_e32 v2, 0, v2, vcc_lo
	v_cmp_eq_u32_e32 vcc_lo, 0, v18
	v_cndmask_b32_e32 v9, v16, v9, vcc_lo
	s_delay_alu instid0(VALU_DEP_3) | instskip(NEXT) | instid1(VALU_DEP_1)
	v_cndmask_b32_e64 v19, v2, 0x78, vcc_lo
	v_add_nc_u32_e32 v2, 20, v19
	v_add_nc_u32_e32 v16, 19, v19
	s_delay_alu instid0(VALU_DEP_2) | instskip(NEXT) | instid1(VALU_DEP_2)
	v_lshlrev_b64 v[2:3], v2, -1
	v_lshlrev_b64 v[16:17], v16, 1
	s_delay_alu instid0(VALU_DEP_2) | instskip(NEXT) | instid1(VALU_DEP_3)
	v_not_b32_e32 v3, v3
	v_not_b32_e32 v2, v2
	s_delay_alu instid0(VALU_DEP_2) | instskip(NEXT) | instid1(VALU_DEP_2)
	v_and_b32_e32 v21, 0, v3
	v_and_b32_e32 v20, v9, v2
	v_lshrrev_b64 v[2:3], v19, v[9:10]
	s_delay_alu instid0(VALU_DEP_2) | instskip(NEXT) | instid1(VALU_DEP_2)
	v_cmp_eq_u64_e64 s0, v[20:21], v[16:17]
	v_dual_mov_b32 v17, v3 :: v_dual_mov_b32 v16, v2
	s_delay_alu instid0(VALU_DEP_2)
	s_and_saveexec_b32 s8, s0
; %bb.1328:                             ;   in Loop: Header=BB11_1234 Depth=1
	v_bfe_u32 v9, v2, 20, 1
	s_delay_alu instid0(VALU_DEP_1) | instskip(NEXT) | instid1(VALU_DEP_1)
	v_add_co_u32 v9, s0, v2, v9
	v_add_co_u32 v16, s0, v9, -1
; %bb.1329:                             ;   in Loop: Header=BB11_1234 Depth=1
	s_or_b32 exec_lo, exec_lo, s8
	v_add_nc_u32_e32 v9, 0xffffff81, v18
	v_lshrrev_b32_e32 v17, 23, v2
	s_mov_b32 s0, exec_lo
	s_delay_alu instid0(VALU_DEP_2) | instskip(NEXT) | instid1(VALU_DEP_1)
	v_cndmask_b32_e64 v9, v9, 0xffffff82, vcc_lo
	v_add3_u32 v17, v19, v9, v17
	v_and_b32_e32 v9, 0xfffff, v16
	s_delay_alu instid0(VALU_DEP_2) | instskip(NEXT) | instid1(VALU_DEP_2)
	v_add_nc_u32_e32 v16, 6, v17
	v_add_co_u32 v2, vcc_lo, v9, v2
	v_add_co_ci_u32_e32 v3, vcc_lo, 0, v3, vcc_lo
                                        ; implicit-def: $vgpr9
	s_delay_alu instid0(VALU_DEP_3)
	v_cmpx_ne_u32_e32 0, v16
	s_xor_b32 s0, exec_lo, s0
; %bb.1330:                             ;   in Loop: Header=BB11_1234 Depth=1
	s_delay_alu instid0(VALU_DEP_2) | instskip(SKIP_1) | instid1(VALU_DEP_1)
	v_cmp_lt_u64_e32 vcc_lo, 0xffffff, v[2:3]
	v_add_nc_u32_e32 v9, 7, v17
	v_cndmask_b32_e32 v9, v16, v9, vcc_lo
	v_cndmask_b32_e64 v16, 0, 1, vcc_lo
	s_delay_alu instid0(VALU_DEP_1)
	v_lshrrev_b64 v[2:3], v16, v[2:3]
; %bb.1331:                             ;   in Loop: Header=BB11_1234 Depth=1
	s_and_not1_saveexec_b32 s0, s0
; %bb.1332:                             ;   in Loop: Header=BB11_1234 Depth=1
	s_delay_alu instid0(VALU_DEP_1)
	v_bfe_u32 v9, v2, 23, 1
; %bb.1333:                             ;   in Loop: Header=BB11_1234 Depth=1
	s_or_b32 exec_lo, exec_lo, s0
	s_delay_alu instid0(VALU_DEP_2) | instskip(NEXT) | instid1(VALU_DEP_2)
	v_lshrrev_b64 v[2:3], 20, v[2:3]
	v_cmp_gt_i32_e32 vcc_lo, 16, v9
	v_cmp_ne_u32_e64 s0, 0, v9
	s_delay_alu instid0(VALU_DEP_3) | instskip(NEXT) | instid1(VALU_DEP_1)
	v_dual_cndmask_b32 v17, 0, v3 :: v_dual_cndmask_b32 v16, 7, v2
                                        ; implicit-def: $vgpr2_vgpr3
	v_cmp_ne_u64_e32 vcc_lo, 0, v[16:17]
	s_delay_alu instid0(VALU_DEP_3) | instskip(NEXT) | instid1(SALU_CYCLE_1)
	s_or_b32 s0, s0, vcc_lo
	s_and_saveexec_b32 s8, s0
	s_delay_alu instid0(SALU_CYCLE_1)
	s_xor_b32 s0, exec_lo, s8
; %bb.1334:                             ;   in Loop: Header=BB11_1234 Depth=1
	v_min_i32_e32 v2, 15, v9
	s_delay_alu instid0(VALU_DEP_1) | instskip(NEXT) | instid1(VALU_DEP_1)
	v_lshl_or_b32 v2, v2, 3, v15
                                        ; implicit-def: $vgpr15
	v_and_or_b32 v2, v16, 7, v2
; %bb.1335:                             ;   in Loop: Header=BB11_1234 Depth=1
	s_and_not1_saveexec_b32 s0, s0
; %bb.1336:                             ;   in Loop: Header=BB11_1234 Depth=1
	v_dual_mov_b32 v2, v15 :: v_dual_mov_b32 v3, v16
; %bb.1337:                             ;   in Loop: Header=BB11_1234 Depth=1
	s_or_b32 exec_lo, exec_lo, s0
.LBB11_1338:                            ;   in Loop: Header=BB11_1234 Depth=1
	s_delay_alu instid0(SALU_CYCLE_1)
	s_or_b32 exec_lo, exec_lo, s7
.LBB11_1339:                            ;   in Loop: Header=BB11_1234 Depth=1
	s_and_not1_saveexec_b32 s0, s6
	s_delay_alu instid0(SALU_CYCLE_1)
	s_or_b32 exec_lo, exec_lo, s0
                                        ; implicit-def: $vgpr3
.LBB11_1340:                            ;   in Loop: Header=BB11_1234 Depth=1
	s_and_not1_saveexec_b32 s0, s5
; %bb.1341:                             ;   in Loop: Header=BB11_1234 Depth=1
	v_cmp_eq_u64_e32 vcc_lo, 0, v[9:10]
	v_or_b32_e32 v3, 0x7f, v3
	s_delay_alu instid0(VALU_DEP_1)
	v_cndmask_b32_e32 v2, v3, v2, vcc_lo
; %bb.1342:                             ;   in Loop: Header=BB11_1234 Depth=1
	s_or_b32 exec_lo, exec_lo, s0
	v_cvt_f32_f16_e32 v3, v4
	v_mov_b32_e32 v19, v10
	s_mov_b32 s0, exec_lo
	s_delay_alu instid0(VALU_DEP_2) | instskip(NEXT) | instid1(VALU_DEP_1)
	v_div_scale_f32 v9, null, s26, s26, v3
	v_rcp_f32_e32 v15, v9
	s_waitcnt_depctr 0xfff
	v_fma_f32 v16, -v9, v15, 1.0
	s_delay_alu instid0(VALU_DEP_1) | instskip(SKIP_1) | instid1(VALU_DEP_1)
	v_fmac_f32_e32 v15, v16, v15
	v_div_scale_f32 v16, vcc_lo, v3, s26, v3
	v_mul_f32_e32 v17, v16, v15
	s_delay_alu instid0(VALU_DEP_1) | instskip(NEXT) | instid1(VALU_DEP_1)
	v_fma_f32 v18, -v9, v17, v16
	v_fmac_f32_e32 v17, v18, v15
	s_delay_alu instid0(VALU_DEP_1) | instskip(NEXT) | instid1(VALU_DEP_1)
	v_fma_f32 v9, -v9, v17, v16
	v_div_fmas_f32 v9, v9, v15, v17
	s_delay_alu instid0(VALU_DEP_1) | instskip(NEXT) | instid1(VALU_DEP_1)
	v_div_fixup_f32 v3, v9, s26, v3
	v_cvt_f16_f32_e32 v3, v3
	s_delay_alu instid0(VALU_DEP_1) | instskip(NEXT) | instid1(VALU_DEP_1)
	v_cvt_f32_f16_e32 v17, v3
	v_and_b32_e32 v18, 0x7f800000, v17
	v_lshrrev_b32_e32 v16, 24, v17
	v_and_b32_e32 v9, 0x7fffff, v17
	s_delay_alu instid0(VALU_DEP_2) | instskip(NEXT) | instid1(VALU_DEP_1)
	v_and_b32_e32 v3, 0x80, v16
	v_or_b32_e32 v15, 0x7e, v3
	v_cmpx_ne_u64_e32 0x7f800000, v[18:19]
	s_xor_b32 s5, exec_lo, s0
	s_cbranch_execz .LBB11_1358
; %bb.1343:                             ;   in Loop: Header=BB11_1234 Depth=1
	v_dual_mov_b32 v19, v10 :: v_dual_and_b32 v18, 0x7fffffff, v17
	s_mov_b32 s0, exec_lo
	s_delay_alu instid0(VALU_DEP_1)
	v_cmpx_gt_u64_e32 0x43e00001, v[18:19]
	s_xor_b32 s6, exec_lo, s0
	s_cbranch_execz .LBB11_1357
; %bb.1344:                             ;   in Loop: Header=BB11_1234 Depth=1
	s_mov_b32 s7, exec_lo
	v_mov_b32_e32 v15, 0
	v_mov_b32_e32 v16, 0
	v_cmpx_ne_u32_e32 0, v17
	s_cbranch_execz .LBB11_1356
; %bb.1345:                             ;   in Loop: Header=BB11_1234 Depth=1
	v_bfe_u32 v19, v17, 23, 8
	v_or_b32_e32 v17, 0x800000, v9
	s_delay_alu instid0(VALU_DEP_2) | instskip(SKIP_1) | instid1(VALU_DEP_2)
	v_sub_nc_u32_e32 v15, 0x79, v19
	v_cmp_gt_u32_e32 vcc_lo, 0x7a, v19
	v_cndmask_b32_e32 v15, 0, v15, vcc_lo
	v_cmp_eq_u32_e32 vcc_lo, 0, v19
	s_delay_alu instid0(VALU_DEP_2) | instskip(SKIP_1) | instid1(VALU_DEP_2)
	v_cndmask_b32_e64 v20, v15, 0x78, vcc_lo
	v_cndmask_b32_e32 v9, v17, v9, vcc_lo
	v_add_nc_u32_e32 v15, 20, v20
	v_add_nc_u32_e32 v17, 19, v20
	s_delay_alu instid0(VALU_DEP_2) | instskip(NEXT) | instid1(VALU_DEP_2)
	v_lshlrev_b64 v[15:16], v15, -1
	v_lshlrev_b64 v[17:18], v17, 1
	s_delay_alu instid0(VALU_DEP_2) | instskip(NEXT) | instid1(VALU_DEP_3)
	v_not_b32_e32 v16, v16
	v_not_b32_e32 v15, v15
	s_delay_alu instid0(VALU_DEP_2) | instskip(NEXT) | instid1(VALU_DEP_2)
	v_and_b32_e32 v22, 0, v16
	v_and_b32_e32 v21, v9, v15
	v_lshrrev_b64 v[15:16], v20, v[9:10]
	s_delay_alu instid0(VALU_DEP_2) | instskip(NEXT) | instid1(VALU_DEP_2)
	v_cmp_eq_u64_e64 s0, v[21:22], v[17:18]
	v_dual_mov_b32 v18, v16 :: v_dual_mov_b32 v17, v15
	s_delay_alu instid0(VALU_DEP_2)
	s_and_saveexec_b32 s8, s0
; %bb.1346:                             ;   in Loop: Header=BB11_1234 Depth=1
	v_bfe_u32 v9, v15, 20, 1
	s_delay_alu instid0(VALU_DEP_1) | instskip(NEXT) | instid1(VALU_DEP_1)
	v_add_co_u32 v9, s0, v15, v9
	v_add_co_u32 v17, s0, v9, -1
; %bb.1347:                             ;   in Loop: Header=BB11_1234 Depth=1
	s_or_b32 exec_lo, exec_lo, s8
	v_add_nc_u32_e32 v9, 0xffffff81, v19
	v_lshrrev_b32_e32 v18, 23, v15
	s_mov_b32 s0, exec_lo
	s_delay_alu instid0(VALU_DEP_2) | instskip(NEXT) | instid1(VALU_DEP_1)
	v_cndmask_b32_e64 v9, v9, 0xffffff82, vcc_lo
	v_add3_u32 v18, v20, v9, v18
	v_and_b32_e32 v9, 0xfffff, v17
	s_delay_alu instid0(VALU_DEP_2) | instskip(NEXT) | instid1(VALU_DEP_2)
	v_add_nc_u32_e32 v17, 6, v18
	v_add_co_u32 v15, vcc_lo, v9, v15
	v_add_co_ci_u32_e32 v16, vcc_lo, 0, v16, vcc_lo
                                        ; implicit-def: $vgpr9
	s_delay_alu instid0(VALU_DEP_3)
	v_cmpx_ne_u32_e32 0, v17
	s_xor_b32 s0, exec_lo, s0
; %bb.1348:                             ;   in Loop: Header=BB11_1234 Depth=1
	s_delay_alu instid0(VALU_DEP_2) | instskip(SKIP_1) | instid1(VALU_DEP_1)
	v_cmp_lt_u64_e32 vcc_lo, 0xffffff, v[15:16]
	v_add_nc_u32_e32 v9, 7, v18
	v_cndmask_b32_e32 v9, v17, v9, vcc_lo
	v_cndmask_b32_e64 v17, 0, 1, vcc_lo
	s_delay_alu instid0(VALU_DEP_1)
	v_lshrrev_b64 v[15:16], v17, v[15:16]
; %bb.1349:                             ;   in Loop: Header=BB11_1234 Depth=1
	s_and_not1_saveexec_b32 s0, s0
; %bb.1350:                             ;   in Loop: Header=BB11_1234 Depth=1
	s_delay_alu instid0(VALU_DEP_1)
	v_bfe_u32 v9, v15, 23, 1
; %bb.1351:                             ;   in Loop: Header=BB11_1234 Depth=1
	s_or_b32 exec_lo, exec_lo, s0
	s_delay_alu instid0(VALU_DEP_2) | instskip(NEXT) | instid1(VALU_DEP_2)
	v_lshrrev_b64 v[15:16], 20, v[15:16]
	v_cmp_gt_i32_e32 vcc_lo, 16, v9
	v_cmp_ne_u32_e64 s0, 0, v9
	s_delay_alu instid0(VALU_DEP_3) | instskip(NEXT) | instid1(VALU_DEP_1)
	v_dual_cndmask_b32 v18, 0, v16 :: v_dual_cndmask_b32 v17, 7, v15
                                        ; implicit-def: $vgpr15_vgpr16
	v_cmp_ne_u64_e32 vcc_lo, 0, v[17:18]
	s_delay_alu instid0(VALU_DEP_3) | instskip(NEXT) | instid1(SALU_CYCLE_1)
	s_or_b32 s0, s0, vcc_lo
	s_and_saveexec_b32 s8, s0
	s_delay_alu instid0(SALU_CYCLE_1)
	s_xor_b32 s0, exec_lo, s8
; %bb.1352:                             ;   in Loop: Header=BB11_1234 Depth=1
	v_min_i32_e32 v9, 15, v9
	s_delay_alu instid0(VALU_DEP_1) | instskip(NEXT) | instid1(VALU_DEP_1)
	v_lshl_or_b32 v3, v9, 3, v3
	v_and_or_b32 v15, v17, 7, v3
                                        ; implicit-def: $vgpr3
; %bb.1353:                             ;   in Loop: Header=BB11_1234 Depth=1
	s_and_not1_saveexec_b32 s0, s0
; %bb.1354:                             ;   in Loop: Header=BB11_1234 Depth=1
	v_dual_mov_b32 v16, v4 :: v_dual_mov_b32 v15, v3
; %bb.1355:                             ;   in Loop: Header=BB11_1234 Depth=1
	s_or_b32 exec_lo, exec_lo, s0
.LBB11_1356:                            ;   in Loop: Header=BB11_1234 Depth=1
	s_delay_alu instid0(SALU_CYCLE_1)
	s_or_b32 exec_lo, exec_lo, s7
.LBB11_1357:                            ;   in Loop: Header=BB11_1234 Depth=1
	s_and_not1_saveexec_b32 s0, s6
	s_delay_alu instid0(SALU_CYCLE_1)
	s_or_b32 exec_lo, exec_lo, s0
                                        ; implicit-def: $vgpr16
.LBB11_1358:                            ;   in Loop: Header=BB11_1234 Depth=1
	s_and_not1_saveexec_b32 s0, s5
; %bb.1359:                             ;   in Loop: Header=BB11_1234 Depth=1
	v_cmp_eq_u64_e32 vcc_lo, 0, v[9:10]
	v_or_b32_e32 v3, 0x7f, v16
	s_delay_alu instid0(VALU_DEP_1)
	v_cndmask_b32_e32 v15, v3, v15, vcc_lo
; %bb.1360:                             ;   in Loop: Header=BB11_1234 Depth=1
	s_or_b32 exec_lo, exec_lo, s0
	v_lshrrev_b32_e32 v3, 16, v4
	v_mov_b32_e32 v19, v10
	s_mov_b32 s0, exec_lo
	s_delay_alu instid0(VALU_DEP_2) | instskip(NEXT) | instid1(VALU_DEP_1)
	v_cvt_f32_f16_e32 v3, v3
	v_div_scale_f32 v4, null, s26, s26, v3
	s_delay_alu instid0(VALU_DEP_1) | instskip(SKIP_2) | instid1(VALU_DEP_1)
	v_rcp_f32_e32 v9, v4
	s_waitcnt_depctr 0xfff
	v_fma_f32 v16, -v4, v9, 1.0
	v_fmac_f32_e32 v9, v16, v9
	v_div_scale_f32 v16, vcc_lo, v3, s26, v3
	s_delay_alu instid0(VALU_DEP_1) | instskip(NEXT) | instid1(VALU_DEP_1)
	v_mul_f32_e32 v17, v16, v9
	v_fma_f32 v18, -v4, v17, v16
	s_delay_alu instid0(VALU_DEP_1) | instskip(NEXT) | instid1(VALU_DEP_1)
	v_fmac_f32_e32 v17, v18, v9
	v_fma_f32 v4, -v4, v17, v16
	s_delay_alu instid0(VALU_DEP_1) | instskip(NEXT) | instid1(VALU_DEP_1)
	v_div_fmas_f32 v4, v4, v9, v17
	v_div_fixup_f32 v3, v4, s26, v3
	s_delay_alu instid0(VALU_DEP_1) | instskip(NEXT) | instid1(VALU_DEP_1)
	v_cvt_f16_f32_e32 v3, v3
	v_cvt_f32_f16_e32 v4, v3
	s_delay_alu instid0(VALU_DEP_1) | instskip(SKIP_2) | instid1(VALU_DEP_2)
	v_and_b32_e32 v18, 0x7f800000, v4
	v_lshrrev_b32_e32 v17, 24, v4
	v_and_b32_e32 v9, 0x7fffff, v4
	v_and_b32_e32 v3, 0x80, v17
	s_delay_alu instid0(VALU_DEP_1)
	v_or_b32_e32 v16, 0x7e, v3
	v_cmpx_ne_u64_e32 0x7f800000, v[18:19]
	s_xor_b32 s5, exec_lo, s0
	s_cbranch_execz .LBB11_1376
; %bb.1361:                             ;   in Loop: Header=BB11_1234 Depth=1
	v_dual_mov_b32 v18, v10 :: v_dual_and_b32 v17, 0x7fffffff, v4
	s_mov_b32 s0, exec_lo
	s_delay_alu instid0(VALU_DEP_1)
	v_cmpx_gt_u64_e32 0x43e00001, v[17:18]
	s_xor_b32 s6, exec_lo, s0
	s_cbranch_execz .LBB11_1375
; %bb.1362:                             ;   in Loop: Header=BB11_1234 Depth=1
	s_mov_b32 s7, exec_lo
	v_mov_b32_e32 v16, 0
	v_mov_b32_e32 v17, 0
	v_cmpx_ne_u32_e32 0, v4
	s_cbranch_execz .LBB11_1374
; %bb.1363:                             ;   in Loop: Header=BB11_1234 Depth=1
	v_bfe_u32 v4, v4, 23, 8
	v_or_b32_e32 v18, 0x800000, v9
	s_delay_alu instid0(VALU_DEP_2) | instskip(SKIP_1) | instid1(VALU_DEP_2)
	v_sub_nc_u32_e32 v16, 0x79, v4
	v_cmp_gt_u32_e32 vcc_lo, 0x7a, v4
	v_cndmask_b32_e32 v16, 0, v16, vcc_lo
	v_cmp_eq_u32_e32 vcc_lo, 0, v4
	v_cndmask_b32_e32 v9, v18, v9, vcc_lo
	s_delay_alu instid0(VALU_DEP_3) | instskip(NEXT) | instid1(VALU_DEP_1)
	v_cndmask_b32_e64 v20, v16, 0x78, vcc_lo
	v_add_nc_u32_e32 v16, 20, v20
	v_add_nc_u32_e32 v18, 19, v20
	s_delay_alu instid0(VALU_DEP_2) | instskip(NEXT) | instid1(VALU_DEP_2)
	v_lshlrev_b64 v[16:17], v16, -1
	v_lshlrev_b64 v[18:19], v18, 1
	s_delay_alu instid0(VALU_DEP_2) | instskip(NEXT) | instid1(VALU_DEP_3)
	v_not_b32_e32 v17, v17
	v_not_b32_e32 v16, v16
	s_delay_alu instid0(VALU_DEP_2) | instskip(NEXT) | instid1(VALU_DEP_2)
	v_and_b32_e32 v22, 0, v17
	v_and_b32_e32 v21, v9, v16
	v_lshrrev_b64 v[16:17], v20, v[9:10]
	s_delay_alu instid0(VALU_DEP_2) | instskip(NEXT) | instid1(VALU_DEP_2)
	v_cmp_eq_u64_e64 s0, v[21:22], v[18:19]
	v_dual_mov_b32 v19, v17 :: v_dual_mov_b32 v18, v16
	s_delay_alu instid0(VALU_DEP_2)
	s_and_saveexec_b32 s8, s0
; %bb.1364:                             ;   in Loop: Header=BB11_1234 Depth=1
	v_bfe_u32 v9, v16, 20, 1
	s_delay_alu instid0(VALU_DEP_1) | instskip(NEXT) | instid1(VALU_DEP_1)
	v_add_co_u32 v9, s0, v16, v9
	v_add_co_u32 v18, s0, v9, -1
; %bb.1365:                             ;   in Loop: Header=BB11_1234 Depth=1
	s_or_b32 exec_lo, exec_lo, s8
	v_add_nc_u32_e32 v4, 0xffffff81, v4
	v_lshrrev_b32_e32 v9, 23, v16
	s_mov_b32 s0, exec_lo
	s_delay_alu instid0(VALU_DEP_2) | instskip(NEXT) | instid1(VALU_DEP_1)
	v_cndmask_b32_e64 v4, v4, 0xffffff82, vcc_lo
	v_add3_u32 v9, v20, v4, v9
	v_and_b32_e32 v4, 0xfffff, v18
	s_delay_alu instid0(VALU_DEP_2) | instskip(NEXT) | instid1(VALU_DEP_2)
	v_add_nc_u32_e32 v18, 6, v9
	v_add_co_u32 v16, vcc_lo, v4, v16
	v_add_co_ci_u32_e32 v17, vcc_lo, 0, v17, vcc_lo
                                        ; implicit-def: $vgpr4
	s_delay_alu instid0(VALU_DEP_3)
	v_cmpx_ne_u32_e32 0, v18
	s_xor_b32 s0, exec_lo, s0
; %bb.1366:                             ;   in Loop: Header=BB11_1234 Depth=1
	s_delay_alu instid0(VALU_DEP_2) | instskip(SKIP_2) | instid1(VALU_DEP_2)
	v_cmp_lt_u64_e32 vcc_lo, 0xffffff, v[16:17]
	v_add_nc_u32_e32 v4, 7, v9
	v_cndmask_b32_e64 v9, 0, 1, vcc_lo
	v_cndmask_b32_e32 v4, v18, v4, vcc_lo
	s_delay_alu instid0(VALU_DEP_2)
	v_lshrrev_b64 v[16:17], v9, v[16:17]
; %bb.1367:                             ;   in Loop: Header=BB11_1234 Depth=1
	s_and_not1_saveexec_b32 s0, s0
; %bb.1368:                             ;   in Loop: Header=BB11_1234 Depth=1
	s_delay_alu instid0(VALU_DEP_1)
	v_bfe_u32 v4, v16, 23, 1
; %bb.1369:                             ;   in Loop: Header=BB11_1234 Depth=1
	s_or_b32 exec_lo, exec_lo, s0
	s_delay_alu instid0(VALU_DEP_2) | instskip(NEXT) | instid1(VALU_DEP_2)
	v_lshrrev_b64 v[16:17], 20, v[16:17]
	v_cmp_gt_i32_e32 vcc_lo, 16, v4
	v_cmp_ne_u32_e64 s0, 0, v4
	s_delay_alu instid0(VALU_DEP_3) | instskip(NEXT) | instid1(VALU_DEP_1)
	v_dual_cndmask_b32 v19, 0, v17 :: v_dual_cndmask_b32 v18, 7, v16
                                        ; implicit-def: $vgpr16_vgpr17
	v_cmp_ne_u64_e32 vcc_lo, 0, v[18:19]
	s_delay_alu instid0(VALU_DEP_3) | instskip(NEXT) | instid1(SALU_CYCLE_1)
	s_or_b32 s0, s0, vcc_lo
	s_and_saveexec_b32 s8, s0
	s_delay_alu instid0(SALU_CYCLE_1)
	s_xor_b32 s0, exec_lo, s8
; %bb.1370:                             ;   in Loop: Header=BB11_1234 Depth=1
	v_min_i32_e32 v4, 15, v4
	s_delay_alu instid0(VALU_DEP_1) | instskip(NEXT) | instid1(VALU_DEP_1)
	v_lshl_or_b32 v3, v4, 3, v3
	v_and_or_b32 v16, v18, 7, v3
                                        ; implicit-def: $vgpr3
; %bb.1371:                             ;   in Loop: Header=BB11_1234 Depth=1
	s_and_not1_saveexec_b32 s0, s0
; %bb.1372:                             ;   in Loop: Header=BB11_1234 Depth=1
	v_dual_mov_b32 v17, v4 :: v_dual_mov_b32 v16, v3
; %bb.1373:                             ;   in Loop: Header=BB11_1234 Depth=1
	s_or_b32 exec_lo, exec_lo, s0
.LBB11_1374:                            ;   in Loop: Header=BB11_1234 Depth=1
	s_delay_alu instid0(SALU_CYCLE_1)
	s_or_b32 exec_lo, exec_lo, s7
.LBB11_1375:                            ;   in Loop: Header=BB11_1234 Depth=1
	s_and_not1_saveexec_b32 s0, s6
	s_delay_alu instid0(SALU_CYCLE_1)
	s_or_b32 exec_lo, exec_lo, s0
                                        ; implicit-def: $vgpr17
.LBB11_1376:                            ;   in Loop: Header=BB11_1234 Depth=1
	s_and_not1_saveexec_b32 s0, s5
	s_cbranch_execz .LBB11_1233
; %bb.1377:                             ;   in Loop: Header=BB11_1234 Depth=1
	v_cmp_eq_u64_e32 vcc_lo, 0, v[9:10]
	v_or_b32_e32 v3, 0x7f, v17
	s_delay_alu instid0(VALU_DEP_1)
	v_cndmask_b32_e32 v16, v3, v16, vcc_lo
	s_branch .LBB11_1233
.LBB11_1378:
	s_nop 0
	s_sendmsg sendmsg(MSG_DEALLOC_VGPRS)
	s_endpgm
	.section	.rodata,"a",@progbits
	.p2align	6, 0x0
	.amdhsa_kernel _ZN4vllm30reshape_and_cache_flash_kernelIthLNS_18Fp8KVCacheDataTypeE1EEEvPKT_S4_PT0_S6_PKlllllliiiPKfSA_i
		.amdhsa_group_segment_fixed_size 0
		.amdhsa_private_segment_fixed_size 0
		.amdhsa_kernarg_size 376
		.amdhsa_user_sgpr_count 15
		.amdhsa_user_sgpr_dispatch_ptr 0
		.amdhsa_user_sgpr_queue_ptr 0
		.amdhsa_user_sgpr_kernarg_segment_ptr 1
		.amdhsa_user_sgpr_dispatch_id 0
		.amdhsa_user_sgpr_private_segment_size 0
		.amdhsa_wavefront_size32 1
		.amdhsa_uses_dynamic_stack 0
		.amdhsa_enable_private_segment 0
		.amdhsa_system_sgpr_workgroup_id_x 1
		.amdhsa_system_sgpr_workgroup_id_y 0
		.amdhsa_system_sgpr_workgroup_id_z 0
		.amdhsa_system_sgpr_workgroup_info 0
		.amdhsa_system_vgpr_workitem_id 0
		.amdhsa_next_free_vgpr 54
		.amdhsa_next_free_sgpr 57
		.amdhsa_reserve_vcc 1
		.amdhsa_float_round_mode_32 0
		.amdhsa_float_round_mode_16_64 0
		.amdhsa_float_denorm_mode_32 3
		.amdhsa_float_denorm_mode_16_64 3
		.amdhsa_dx10_clamp 1
		.amdhsa_ieee_mode 1
		.amdhsa_fp16_overflow 0
		.amdhsa_workgroup_processor_mode 1
		.amdhsa_memory_ordered 1
		.amdhsa_forward_progress 0
		.amdhsa_shared_vgpr_count 0
		.amdhsa_exception_fp_ieee_invalid_op 0
		.amdhsa_exception_fp_denorm_src 0
		.amdhsa_exception_fp_ieee_div_zero 0
		.amdhsa_exception_fp_ieee_overflow 0
		.amdhsa_exception_fp_ieee_underflow 0
		.amdhsa_exception_fp_ieee_inexact 0
		.amdhsa_exception_int_div_zero 0
	.end_amdhsa_kernel
	.section	.text._ZN4vllm30reshape_and_cache_flash_kernelIthLNS_18Fp8KVCacheDataTypeE1EEEvPKT_S4_PT0_S6_PKlllllliiiPKfSA_i,"axG",@progbits,_ZN4vllm30reshape_and_cache_flash_kernelIthLNS_18Fp8KVCacheDataTypeE1EEEvPKT_S4_PT0_S6_PKlllllliiiPKfSA_i,comdat
.Lfunc_end11:
	.size	_ZN4vllm30reshape_and_cache_flash_kernelIthLNS_18Fp8KVCacheDataTypeE1EEEvPKT_S4_PT0_S6_PKlllllliiiPKfSA_i, .Lfunc_end11-_ZN4vllm30reshape_and_cache_flash_kernelIthLNS_18Fp8KVCacheDataTypeE1EEEvPKT_S4_PT0_S6_PKlllllliiiPKfSA_i
                                        ; -- End function
	.section	.AMDGPU.csdata,"",@progbits
; Kernel info:
; codeLenInByte = 60224
; NumSgprs: 59
; NumVgprs: 54
; ScratchSize: 0
; MemoryBound: 0
; FloatMode: 240
; IeeeMode: 1
; LDSByteSize: 0 bytes/workgroup (compile time only)
; SGPRBlocks: 7
; VGPRBlocks: 6
; NumSGPRsForWavesPerEU: 59
; NumVGPRsForWavesPerEU: 54
; Occupancy: 16
; WaveLimiterHint : 0
; COMPUTE_PGM_RSRC2:SCRATCH_EN: 0
; COMPUTE_PGM_RSRC2:USER_SGPR: 15
; COMPUTE_PGM_RSRC2:TRAP_HANDLER: 0
; COMPUTE_PGM_RSRC2:TGID_X_EN: 1
; COMPUTE_PGM_RSRC2:TGID_Y_EN: 0
; COMPUTE_PGM_RSRC2:TGID_Z_EN: 0
; COMPUTE_PGM_RSRC2:TIDIG_COMP_CNT: 0
	.section	.text._ZN4vllm30reshape_and_cache_flash_kernelI14__hip_bfloat16hLNS_18Fp8KVCacheDataTypeE1EEEvPKT_S5_PT0_S7_PKlllllliiiPKfSB_i,"axG",@progbits,_ZN4vllm30reshape_and_cache_flash_kernelI14__hip_bfloat16hLNS_18Fp8KVCacheDataTypeE1EEEvPKT_S5_PT0_S7_PKlllllliiiPKfSB_i,comdat
	.protected	_ZN4vllm30reshape_and_cache_flash_kernelI14__hip_bfloat16hLNS_18Fp8KVCacheDataTypeE1EEEvPKT_S5_PT0_S7_PKlllllliiiPKfSB_i ; -- Begin function _ZN4vllm30reshape_and_cache_flash_kernelI14__hip_bfloat16hLNS_18Fp8KVCacheDataTypeE1EEEvPKT_S5_PT0_S7_PKlllllliiiPKfSB_i
	.globl	_ZN4vllm30reshape_and_cache_flash_kernelI14__hip_bfloat16hLNS_18Fp8KVCacheDataTypeE1EEEvPKT_S5_PT0_S7_PKlllllliiiPKfSB_i
	.p2align	8
	.type	_ZN4vllm30reshape_and_cache_flash_kernelI14__hip_bfloat16hLNS_18Fp8KVCacheDataTypeE1EEEvPKT_S5_PT0_S7_PKlllllliiiPKfSB_i,@function
_ZN4vllm30reshape_and_cache_flash_kernelI14__hip_bfloat16hLNS_18Fp8KVCacheDataTypeE1EEEvPKT_S5_PT0_S7_PKlllllliiiPKfSB_i: ; @_ZN4vllm30reshape_and_cache_flash_kernelI14__hip_bfloat16hLNS_18Fp8KVCacheDataTypeE1EEEvPKT_S5_PT0_S7_PKlllllliiiPKfSB_i
; %bb.0:
	s_load_b64 s[4:5], s[0:1], 0x20
	s_mov_b32 s2, s15
	s_mov_b32 s3, 0
	s_delay_alu instid0(SALU_CYCLE_1)
	s_lshl_b64 s[6:7], s[2:3], 3
	s_waitcnt lgkmcnt(0)
	s_add_u32 s4, s4, s6
	s_addc_u32 s5, s5, s7
	s_load_b64 s[28:29], s[4:5], 0x0
	s_waitcnt lgkmcnt(0)
	v_cmp_lt_i64_e64 s4, s[28:29], 0
	s_delay_alu instid0(VALU_DEP_1)
	s_and_b32 vcc_lo, exec_lo, s4
	s_cbranch_vccnz .LBB12_1378
; %bb.1:
	s_clause 0x1
	s_load_b128 s[12:15], s[0:1], 0x50
	s_load_b256 s[16:23], s[0:1], 0x0
	s_waitcnt lgkmcnt(0)
	s_ashr_i32 s15, s14, 31
	s_delay_alu instid0(SALU_CYCLE_1) | instskip(SKIP_1) | instid1(SALU_CYCLE_1)
	s_or_b64 s[4:5], s[28:29], s[14:15]
	s_mov_b32 s4, s3
	s_cmp_lg_u64 s[4:5], 0
	s_cbranch_scc0 .LBB12_710
; %bb.2:
	s_add_u32 s6, s14, s15
	s_mov_b32 s4, s15
	s_mov_b32 s5, s15
	s_addc_u32 s7, s15, s15
	s_delay_alu instid0(SALU_CYCLE_1) | instskip(NEXT) | instid1(SALU_CYCLE_1)
	s_xor_b64 s[6:7], s[6:7], s[4:5]
	v_cvt_f32_u32_e32 v1, s6
	v_cvt_f32_u32_e32 v2, s7
	s_sub_u32 s9, 0, s6
	s_subb_u32 s10, 0, s7
	s_delay_alu instid0(VALU_DEP_1) | instskip(NEXT) | instid1(VALU_DEP_1)
	v_fmamk_f32 v1, v2, 0x4f800000, v1
	v_rcp_f32_e32 v1, v1
	s_waitcnt_depctr 0xfff
	v_mul_f32_e32 v1, 0x5f7ffffc, v1
	s_delay_alu instid0(VALU_DEP_1) | instskip(NEXT) | instid1(VALU_DEP_1)
	v_mul_f32_e32 v2, 0x2f800000, v1
	v_trunc_f32_e32 v2, v2
	s_delay_alu instid0(VALU_DEP_1) | instskip(SKIP_1) | instid1(VALU_DEP_2)
	v_fmamk_f32 v1, v2, 0xcf800000, v1
	v_cvt_u32_f32_e32 v2, v2
	v_cvt_u32_f32_e32 v1, v1
	s_delay_alu instid0(VALU_DEP_2) | instskip(NEXT) | instid1(VALU_DEP_2)
	v_readfirstlane_b32 s3, v2
	v_readfirstlane_b32 s8, v1
	s_delay_alu instid0(VALU_DEP_2) | instskip(NEXT) | instid1(VALU_DEP_1)
	s_mul_i32 s11, s9, s3
	s_mul_hi_u32 s25, s9, s8
	s_mul_i32 s24, s10, s8
	s_add_i32 s11, s25, s11
	s_mul_i32 s26, s9, s8
	s_add_i32 s11, s11, s24
	s_mul_hi_u32 s25, s8, s26
	s_mul_hi_u32 s27, s3, s26
	s_mul_i32 s24, s3, s26
	s_mul_hi_u32 s26, s8, s11
	s_mul_i32 s8, s8, s11
	s_mul_hi_u32 s30, s3, s11
	s_add_u32 s8, s25, s8
	s_addc_u32 s25, 0, s26
	s_add_u32 s8, s8, s24
	s_mul_i32 s11, s3, s11
	s_addc_u32 s8, s25, s27
	s_addc_u32 s24, s30, 0
	s_add_u32 s8, s8, s11
	s_addc_u32 s11, 0, s24
	v_add_co_u32 v1, s8, v1, s8
	s_delay_alu instid0(VALU_DEP_1) | instskip(SKIP_1) | instid1(VALU_DEP_1)
	s_cmp_lg_u32 s8, 0
	s_addc_u32 s3, s3, s11
	v_readfirstlane_b32 s8, v1
	s_mul_i32 s11, s9, s3
	s_delay_alu instid0(VALU_DEP_1)
	s_mul_hi_u32 s24, s9, s8
	s_mul_i32 s10, s10, s8
	s_add_i32 s11, s24, s11
	s_mul_i32 s9, s9, s8
	s_add_i32 s11, s11, s10
	s_mul_hi_u32 s24, s3, s9
	s_mul_i32 s25, s3, s9
	s_mul_hi_u32 s9, s8, s9
	s_mul_hi_u32 s26, s8, s11
	s_mul_i32 s8, s8, s11
	s_mul_hi_u32 s10, s3, s11
	s_add_u32 s8, s9, s8
	s_addc_u32 s9, 0, s26
	s_add_u32 s8, s8, s25
	s_mul_i32 s11, s3, s11
	s_addc_u32 s8, s9, s24
	s_addc_u32 s9, s10, 0
	s_add_u32 s8, s8, s11
	s_addc_u32 s9, 0, s9
	v_add_co_u32 v1, s8, v1, s8
	s_delay_alu instid0(VALU_DEP_1) | instskip(SKIP_2) | instid1(VALU_DEP_1)
	s_cmp_lg_u32 s8, 0
	s_addc_u32 s3, s3, s9
	s_ashr_i32 s8, s29, 31
	v_readfirstlane_b32 s24, v1
	s_add_u32 s10, s28, s8
	s_mov_b32 s9, s8
	s_addc_u32 s11, s29, s8
	s_delay_alu instid0(SALU_CYCLE_1) | instskip(NEXT) | instid1(SALU_CYCLE_1)
	s_xor_b64 s[10:11], s[10:11], s[8:9]
	s_mul_i32 s26, s10, s3
	s_mul_hi_u32 s27, s10, s24
	s_mul_hi_u32 s25, s10, s3
	;; [unrolled: 1-line block ×3, first 2 shown]
	s_mul_i32 s24, s11, s24
	s_add_u32 s26, s27, s26
	s_addc_u32 s25, 0, s25
	s_mul_hi_u32 s30, s11, s3
	s_add_u32 s24, s26, s24
	s_mul_i32 s3, s11, s3
	s_addc_u32 s24, s25, s31
	s_addc_u32 s25, s30, 0
	s_add_u32 s3, s24, s3
	s_addc_u32 s24, 0, s25
	s_mul_i32 s30, s6, s3
	s_mul_hi_u32 s25, s6, s3
	s_mul_i32 s27, s6, s24
	v_sub_co_u32 v1, s10, s10, s30
	s_mul_i32 s26, s7, s3
	s_add_i32 s25, s25, s27
	s_delay_alu instid0(SALU_CYCLE_1) | instskip(NEXT) | instid1(VALU_DEP_1)
	s_add_i32 s25, s25, s26
	v_sub_co_u32 v2, s27, v1, s6
	s_sub_i32 s26, s11, s25
	s_cmp_lg_u32 s10, 0
	s_subb_u32 s26, s26, s7
	s_cmp_lg_u32 s27, 0
	v_readfirstlane_b32 s27, v2
	s_subb_u32 s26, s26, 0
	s_delay_alu instid0(SALU_CYCLE_1) | instskip(SKIP_1) | instid1(VALU_DEP_1)
	s_cmp_ge_u32 s26, s7
	s_cselect_b32 s30, -1, 0
	s_cmp_ge_u32 s27, s6
	s_cselect_b32 s27, -1, 0
	s_cmp_eq_u32 s26, s7
	s_cselect_b32 s26, s27, s30
	s_add_u32 s27, s3, 1
	s_addc_u32 s30, s24, 0
	s_add_u32 s31, s3, 2
	s_addc_u32 s33, s24, 0
	s_cmp_lg_u32 s26, 0
	s_cselect_b32 s26, s31, s27
	s_cselect_b32 s27, s33, s30
	s_cmp_lg_u32 s10, 0
	v_readfirstlane_b32 s10, v1
	s_subb_u32 s11, s11, s25
	s_delay_alu instid0(SALU_CYCLE_1) | instskip(SKIP_1) | instid1(VALU_DEP_1)
	s_cmp_ge_u32 s11, s7
	s_cselect_b32 s25, -1, 0
	s_cmp_ge_u32 s10, s6
	s_cselect_b32 s6, -1, 0
	s_cmp_eq_u32 s11, s7
	s_cselect_b32 s6, s6, s25
	s_delay_alu instid0(SALU_CYCLE_1) | instskip(SKIP_3) | instid1(SALU_CYCLE_1)
	s_cmp_lg_u32 s6, 0
	s_cselect_b32 s7, s27, s24
	s_cselect_b32 s6, s26, s3
	s_xor_b64 s[4:5], s[8:9], s[4:5]
	s_xor_b64 s[6:7], s[6:7], s[4:5]
	s_delay_alu instid0(SALU_CYCLE_1)
	s_sub_u32 s30, s6, s4
	s_subb_u32 s31, s7, s5
	s_cbranch_execnz .LBB12_4
.LBB12_3:
	v_cvt_f32_u32_e32 v1, s14
	s_sub_i32 s4, 0, s14
	s_mov_b32 s31, 0
	s_delay_alu instid0(VALU_DEP_1) | instskip(SKIP_2) | instid1(VALU_DEP_1)
	v_rcp_iflag_f32_e32 v1, v1
	s_waitcnt_depctr 0xfff
	v_mul_f32_e32 v1, 0x4f7ffffe, v1
	v_cvt_u32_f32_e32 v1, v1
	s_delay_alu instid0(VALU_DEP_1) | instskip(NEXT) | instid1(VALU_DEP_1)
	v_readfirstlane_b32 s3, v1
	s_mul_i32 s4, s4, s3
	s_delay_alu instid0(SALU_CYCLE_1) | instskip(NEXT) | instid1(SALU_CYCLE_1)
	s_mul_hi_u32 s4, s3, s4
	s_add_i32 s3, s3, s4
	s_delay_alu instid0(SALU_CYCLE_1) | instskip(NEXT) | instid1(SALU_CYCLE_1)
	s_mul_hi_u32 s3, s28, s3
	s_mul_i32 s4, s3, s14
	s_add_i32 s5, s3, 1
	s_sub_i32 s4, s28, s4
	s_delay_alu instid0(SALU_CYCLE_1)
	s_sub_i32 s6, s4, s14
	s_cmp_ge_u32 s4, s14
	s_cselect_b32 s3, s5, s3
	s_cselect_b32 s4, s6, s4
	s_add_i32 s5, s3, 1
	s_cmp_ge_u32 s4, s14
	s_cselect_b32 s30, s5, s3
.LBB12_4:
	s_clause 0x3
	s_load_b256 s[4:11], s[0:1], 0x28
	s_load_b64 s[34:35], s[0:1], 0x48
	s_load_b128 s[24:27], s[0:1], 0x60
	s_load_b32 s39, s[0:1], 0x70
	s_mul_i32 s3, s30, s15
	s_mul_hi_u32 s15, s30, s14
	s_mul_i32 s33, s31, s14
	s_add_i32 s3, s15, s3
	s_mul_i32 s14, s30, s14
	s_add_i32 s3, s3, s33
	s_sub_u32 s33, s28, s14
	s_subb_u32 s37, s29, s3
	s_waitcnt lgkmcnt(0)
	s_mul_i32 s3, s2, s11
	s_mul_hi_u32 s11, s2, s10
	s_mul_i32 s10, s2, s10
	s_add_i32 s11, s11, s3
	s_mul_i32 s14, s2, s35
	s_lshl_b64 s[28:29], s[10:11], 1
	s_mul_hi_u32 s15, s2, s34
	s_mul_i32 s2, s2, s34
	s_mul_i32 s34, s30, s5
	s_add_u32 s5, s16, s28
	s_addc_u32 s10, s17, s29
	s_add_i32 s3, s15, s14
	s_mul_hi_u32 s38, s30, s4
	s_lshl_b64 s[14:15], s[2:3], 1
	s_mul_i32 s11, s31, s4
	s_add_u32 s35, s18, s14
	s_addc_u32 s36, s19, s15
	s_add_i32 s3, s38, s34
	s_mul_i32 s30, s30, s4
	s_mul_i32 s2, s33, s7
	s_mul_hi_u32 s4, s33, s6
	s_add_i32 s31, s3, s11
	s_add_u32 s3, s20, s30
	s_addc_u32 s7, s21, s31
	s_add_i32 s2, s4, s2
	s_mul_i32 s37, s37, s6
	s_mul_i32 s34, s33, s6
	s_add_i32 s33, s2, s37
	s_add_u32 s4, s3, s34
	s_addc_u32 s6, s7, s33
	s_add_u32 s2, s22, s30
	s_addc_u32 s3, s23, s31
	;; [unrolled: 2-line block ×3, first 2 shown]
	s_ashr_i32 s3, s13, 31
	s_mov_b32 s2, s13
	s_delay_alu instid0(SALU_CYCLE_1) | instskip(SKIP_3) | instid1(SALU_CYCLE_1)
	s_cmp_lg_u64 s[2:3], s[8:9]
	s_cselect_b32 s2, -1, 0
	s_cmp_lg_u32 s39, 0
	s_cselect_b32 s3, -1, 0
	s_or_b32 s2, s2, s3
	s_delay_alu instid0(SALU_CYCLE_1)
	s_and_b32 vcc_lo, exec_lo, s2
	s_mov_b32 s2, -1
	s_cbranch_vccz .LBB12_687
; %bb.5:
	v_lshrrev_b32_e32 v35, 5, v0
	s_mov_b32 s7, exec_lo
	s_delay_alu instid0(VALU_DEP_1)
	v_cmpx_gt_i32_e64 s12, v35
	s_cbranch_execz .LBB12_686
; %bb.6:
	s_load_b32 s2, s[0:1], 0x84
	s_and_b32 s3, s13, 7
	v_and_b32_e32 v36, 31, v0
	v_mov_b32_e32 v6, 0
	v_mul_lo_u32 v7, s13, v35
	s_mov_b32 s41, 0
	s_delay_alu instid0(VALU_DEP_3)
	v_lshlrev_b32_e32 v5, 3, v36
	v_lshlrev_b32_e32 v8, 4, v36
	;; [unrolled: 1-line block ×3, first 2 shown]
	s_waitcnt lgkmcnt(0)
	s_bfe_u32 s11, s2, 0xb0005
	s_cmp_eq_u32 s3, 0
	s_mul_hi_u32 s42, s8, s11
	s_cselect_b32 s49, -1, 0
	s_ashr_i32 s40, s13, 3
	s_add_u32 s2, s34, s30
	s_addc_u32 s3, s33, s31
	s_mul_i32 s47, s8, s11
	v_mad_u64_u32 v[1:2], null, s8, v35, s[2:3]
	s_mul_i32 s3, s9, s11
	v_cmp_gt_i32_e64 s2, s40, v36
	s_add_i32 s42, s42, s3
	s_add_u32 s43, s16, s28
	s_addc_u32 s44, s17, s29
	s_add_u32 s45, s18, s14
	s_delay_alu instid0(VALU_DEP_2) | instskip(SKIP_1) | instid1(VALU_DEP_1)
	v_mad_u64_u32 v[3:4], null, s9, v35, v[2:3]
	v_add_co_u32 v37, s3, s43, v8
	v_add_co_ci_u32_e64 v38, null, s44, 0, s3
	s_addc_u32 s46, s19, s15
	v_add_co_u32 v39, s3, s45, v8
	s_delay_alu instid0(VALU_DEP_4) | instskip(SKIP_2) | instid1(VALU_DEP_3)
	v_mov_b32_e32 v2, v3
	v_add_co_u32 v3, vcc_lo, v1, v5
	v_add_co_ci_u32_e64 v40, null, s46, 0, s3
	v_add_co_ci_u32_e32 v4, vcc_lo, 0, v2, vcc_lo
	v_add_co_u32 v41, vcc_lo, s20, v1
	v_add_co_ci_u32_e32 v42, vcc_lo, s21, v2, vcc_lo
	v_add_co_u32 v43, vcc_lo, s22, v1
	;; [unrolled: 2-line block ×4, first 2 shown]
	v_add_co_ci_u32_e32 v12, vcc_lo, s23, v4, vcc_lo
	s_mul_i32 s48, s13, s11
	s_xor_b32 s49, s49, -1
	s_branch .LBB12_9
.LBB12_7:                               ;   in Loop: Header=BB12_9 Depth=1
	s_or_b32 exec_lo, exec_lo, s51
.LBB12_8:                               ;   in Loop: Header=BB12_9 Depth=1
	s_delay_alu instid0(SALU_CYCLE_1)
	s_or_b32 exec_lo, exec_lo, s50
	v_add_co_u32 v9, vcc_lo, v9, s47
	v_add_co_ci_u32_e32 v10, vcc_lo, s42, v10, vcc_lo
	v_add_co_u32 v41, vcc_lo, v41, s47
	v_add_nc_u32_e32 v35, s11, v35
	v_add_co_ci_u32_e32 v42, vcc_lo, s42, v42, vcc_lo
	v_add_co_u32 v11, vcc_lo, v11, s47
	v_add_co_ci_u32_e32 v12, vcc_lo, s42, v12, vcc_lo
	s_delay_alu instid0(VALU_DEP_4) | instskip(SKIP_4) | instid1(SALU_CYCLE_1)
	v_cmp_le_i32_e32 vcc_lo, s12, v35
	v_add_co_u32 v43, s3, v43, s47
	v_add_nc_u32_e32 v7, s48, v7
	v_add_co_ci_u32_e64 v44, s3, s42, v44, s3
	s_or_b32 s41, vcc_lo, s41
	s_and_not1_b32 exec_lo, exec_lo, s41
	s_cbranch_execz .LBB12_686
.LBB12_9:                               ; =>This Loop Header: Depth=1
                                        ;     Child Loop BB12_33 Depth 2
                                        ;     Child Loop BB12_180 Depth 2
	;; [unrolled: 1-line block ×6, first 2 shown]
	v_mul_lo_u32 v1, v35, s39
	v_mad_u64_u32 v[15:16], null, v35, s8, 0
	v_ashrrev_i32_e32 v8, 31, v7
	s_delay_alu instid0(VALU_DEP_1) | instskip(NEXT) | instid1(VALU_DEP_4)
	v_lshlrev_b64 v[13:14], 1, v[7:8]
	v_ashrrev_i32_e32 v2, 31, v1
	s_delay_alu instid0(VALU_DEP_1) | instskip(NEXT) | instid1(VALU_DEP_1)
	v_lshlrev_b64 v[1:2], 2, v[1:2]
	v_add_co_u32 v3, vcc_lo, s24, v1
	s_delay_alu instid0(VALU_DEP_2)
	v_add_co_ci_u32_e32 v4, vcc_lo, s25, v2, vcc_lo
	v_add_co_u32 v1, vcc_lo, s26, v1
	v_add_co_ci_u32_e32 v2, vcc_lo, s27, v2, vcc_lo
	global_load_b32 v48, v[3:4], off
	global_load_b32 v46, v[1:2], off
	v_mul_lo_u32 v1, v35, s13
	v_mov_b32_e32 v3, v16
	s_delay_alu instid0(VALU_DEP_1) | instskip(NEXT) | instid1(VALU_DEP_3)
	v_mad_u64_u32 v[4:5], null, v35, s9, v[3:4]
	v_ashrrev_i32_e32 v2, 31, v1
	s_delay_alu instid0(VALU_DEP_1) | instskip(NEXT) | instid1(VALU_DEP_3)
	v_lshlrev_b64 v[17:18], 1, v[1:2]
	v_mov_b32_e32 v47, v4
	s_delay_alu instid0(VALU_DEP_2) | instskip(NEXT) | instid1(VALU_DEP_3)
	v_add_co_u32 v1, vcc_lo, s5, v17
	v_add_co_ci_u32_e32 v2, vcc_lo, s10, v18, vcc_lo
	s_delay_alu instid0(VALU_DEP_2) | instskip(NEXT) | instid1(VALU_DEP_1)
	v_and_b32_e32 v5, 15, v1
	v_cmp_ne_u64_e32 vcc_lo, 0, v[5:6]
	s_or_b32 s3, s49, vcc_lo
	s_delay_alu instid0(SALU_CYCLE_1) | instskip(NEXT) | instid1(SALU_CYCLE_1)
	s_and_saveexec_b32 s50, s3
	s_xor_b32 s50, exec_lo, s50
	s_cbranch_execz .LBB12_199
; %bb.10:                               ;   in Loop: Header=BB12_9 Depth=1
	v_sub_nc_u32_e32 v3, 0, v1
	s_mov_b32 s51, exec_lo
	s_delay_alu instid0(VALU_DEP_1) | instskip(NEXT) | instid1(VALU_DEP_1)
	v_bfe_u32 v3, v3, 1, 3
	v_min_i32_e32 v19, s13, v3
	s_delay_alu instid0(VALU_DEP_1)
	v_cmpx_gt_i32_e64 v19, v36
	s_cbranch_execz .LBB12_30
; %bb.11:                               ;   in Loop: Header=BB12_9 Depth=1
	v_add_co_u32 v1, vcc_lo, v1, v45
	v_add_co_ci_u32_e32 v2, vcc_lo, 0, v2, vcc_lo
	s_mov_b32 s3, exec_lo
	global_load_u16 v1, v[1:2], off
	s_waitcnt vmcnt(0)
	v_lshlrev_b32_e32 v1, 16, v1
	s_delay_alu instid0(VALU_DEP_1) | instskip(NEXT) | instid1(VALU_DEP_1)
	v_div_scale_f32 v2, null, v48, v48, v1
	v_rcp_f32_e32 v3, v2
	s_waitcnt_depctr 0xfff
	v_fma_f32 v4, -v2, v3, 1.0
	s_delay_alu instid0(VALU_DEP_1) | instskip(SKIP_1) | instid1(VALU_DEP_1)
	v_fmac_f32_e32 v3, v4, v3
	v_div_scale_f32 v4, vcc_lo, v1, v48, v1
	v_mul_f32_e32 v5, v4, v3
	s_delay_alu instid0(VALU_DEP_1) | instskip(NEXT) | instid1(VALU_DEP_1)
	v_fma_f32 v8, -v2, v5, v4
	v_fmac_f32_e32 v5, v8, v3
	s_delay_alu instid0(VALU_DEP_1) | instskip(NEXT) | instid1(VALU_DEP_1)
	v_fma_f32 v2, -v2, v5, v4
	v_div_fmas_f32 v2, v2, v3, v5
	s_delay_alu instid0(VALU_DEP_1) | instskip(NEXT) | instid1(VALU_DEP_1)
	v_div_fixup_f32 v1, v2, v48, v1
	v_and_b32_e32 v20, 0x7f800000, v1
	v_lshrrev_b32_e32 v3, 24, v1
	v_mov_b32_e32 v21, v6
	v_and_b32_e32 v5, 0x7fffff, v1
	s_delay_alu instid0(VALU_DEP_3) | instskip(NEXT) | instid1(VALU_DEP_1)
	v_and_b32_e32 v8, 0x80, v3
	v_or_b32_e32 v2, 0x7e, v8
	s_delay_alu instid0(VALU_DEP_4)
	v_cmpx_ne_u64_e32 0x7f800000, v[20:21]
	s_xor_b32 s52, exec_lo, s3
	s_cbranch_execz .LBB12_27
; %bb.12:                               ;   in Loop: Header=BB12_9 Depth=1
	v_dual_mov_b32 v4, v6 :: v_dual_and_b32 v3, 0x7fffffff, v1
	s_mov_b32 s3, exec_lo
	s_delay_alu instid0(VALU_DEP_1)
	v_cmpx_gt_u64_e32 0x43e00001, v[3:4]
	s_xor_b32 s53, exec_lo, s3
	s_cbranch_execz .LBB12_26
; %bb.13:                               ;   in Loop: Header=BB12_9 Depth=1
	v_mov_b32_e32 v2, 0
	s_mov_b32 s54, exec_lo
	v_cmpx_ne_u32_e32 0, v1
	s_cbranch_execz .LBB12_25
; %bb.14:                               ;   in Loop: Header=BB12_9 Depth=1
	v_bfe_u32 v16, v1, 23, 8
	v_or_b32_e32 v3, 0x800000, v5
	s_delay_alu instid0(VALU_DEP_2) | instskip(SKIP_1) | instid1(VALU_DEP_2)
	v_sub_nc_u32_e32 v1, 0x79, v16
	v_cmp_gt_u32_e32 vcc_lo, 0x7a, v16
	v_cndmask_b32_e32 v1, 0, v1, vcc_lo
	v_cmp_eq_u32_e32 vcc_lo, 0, v16
	s_delay_alu instid0(VALU_DEP_2) | instskip(SKIP_1) | instid1(VALU_DEP_2)
	v_cndmask_b32_e64 v20, v1, 0x78, vcc_lo
	v_cndmask_b32_e32 v5, v3, v5, vcc_lo
	v_add_nc_u32_e32 v1, 20, v20
	v_add_nc_u32_e32 v3, 19, v20
	s_delay_alu instid0(VALU_DEP_2) | instskip(NEXT) | instid1(VALU_DEP_2)
	v_lshlrev_b64 v[1:2], v1, -1
	v_lshlrev_b64 v[3:4], v3, 1
	s_delay_alu instid0(VALU_DEP_2) | instskip(NEXT) | instid1(VALU_DEP_3)
	v_not_b32_e32 v2, v2
	v_not_b32_e32 v1, v1
	s_delay_alu instid0(VALU_DEP_2) | instskip(NEXT) | instid1(VALU_DEP_2)
	v_and_b32_e32 v22, 0, v2
	v_and_b32_e32 v21, v5, v1
	v_lshrrev_b64 v[1:2], v20, v[5:6]
	s_delay_alu instid0(VALU_DEP_2) | instskip(NEXT) | instid1(VALU_DEP_2)
	v_cmp_eq_u64_e64 s3, v[21:22], v[3:4]
	v_dual_mov_b32 v4, v2 :: v_dual_mov_b32 v3, v1
	s_delay_alu instid0(VALU_DEP_2)
	s_and_saveexec_b32 s55, s3
; %bb.15:                               ;   in Loop: Header=BB12_9 Depth=1
	v_bfe_u32 v3, v1, 20, 1
	s_delay_alu instid0(VALU_DEP_1) | instskip(NEXT) | instid1(VALU_DEP_1)
	v_add_co_u32 v3, s3, v1, v3
	v_add_co_u32 v3, s3, v3, -1
; %bb.16:                               ;   in Loop: Header=BB12_9 Depth=1
	s_or_b32 exec_lo, exec_lo, s55
	v_add_nc_u32_e32 v4, 0xffffff81, v16
	v_lshrrev_b32_e32 v5, 23, v1
	s_delay_alu instid0(VALU_DEP_3) | instskip(SKIP_1) | instid1(VALU_DEP_3)
	v_and_b32_e32 v3, 0xfffff, v3
	s_mov_b32 s3, exec_lo
	v_cndmask_b32_e64 v4, v4, 0xffffff82, vcc_lo
	s_delay_alu instid0(VALU_DEP_2) | instskip(SKIP_1) | instid1(VALU_DEP_3)
	v_add_co_u32 v1, vcc_lo, v3, v1
	v_add_co_ci_u32_e32 v2, vcc_lo, 0, v2, vcc_lo
	v_add3_u32 v4, v20, v4, v5
                                        ; implicit-def: $vgpr3
	s_delay_alu instid0(VALU_DEP_1) | instskip(NEXT) | instid1(VALU_DEP_1)
	v_add_nc_u32_e32 v5, 6, v4
	v_cmpx_ne_u32_e32 0, v5
	s_xor_b32 s3, exec_lo, s3
; %bb.17:                               ;   in Loop: Header=BB12_9 Depth=1
	v_cmp_lt_u64_e32 vcc_lo, 0xffffff, v[1:2]
	v_add_nc_u32_e32 v3, 7, v4
	v_cndmask_b32_e64 v4, 0, 1, vcc_lo
	s_delay_alu instid0(VALU_DEP_2) | instskip(NEXT) | instid1(VALU_DEP_2)
	v_cndmask_b32_e32 v3, v5, v3, vcc_lo
	v_lshrrev_b64 v[1:2], v4, v[1:2]
; %bb.18:                               ;   in Loop: Header=BB12_9 Depth=1
	s_and_not1_saveexec_b32 s3, s3
; %bb.19:                               ;   in Loop: Header=BB12_9 Depth=1
	s_delay_alu instid0(VALU_DEP_1)
	v_bfe_u32 v3, v1, 23, 1
; %bb.20:                               ;   in Loop: Header=BB12_9 Depth=1
	s_or_b32 exec_lo, exec_lo, s3
	s_delay_alu instid0(VALU_DEP_2) | instskip(NEXT) | instid1(VALU_DEP_2)
	v_lshrrev_b64 v[1:2], 20, v[1:2]
	v_cmp_gt_i32_e32 vcc_lo, 16, v3
	v_cmp_ne_u32_e64 s3, 0, v3
	s_delay_alu instid0(VALU_DEP_3) | instskip(NEXT) | instid1(VALU_DEP_1)
	v_dual_cndmask_b32 v2, 0, v2 :: v_dual_cndmask_b32 v1, 7, v1
	v_cmp_ne_u64_e32 vcc_lo, 0, v[1:2]
                                        ; implicit-def: $vgpr2
	s_delay_alu instid0(VALU_DEP_3) | instskip(NEXT) | instid1(SALU_CYCLE_1)
	s_or_b32 s3, s3, vcc_lo
	s_and_saveexec_b32 s55, s3
	s_delay_alu instid0(SALU_CYCLE_1)
	s_xor_b32 s3, exec_lo, s55
; %bb.21:                               ;   in Loop: Header=BB12_9 Depth=1
	v_min_i32_e32 v2, 15, v3
	s_delay_alu instid0(VALU_DEP_1) | instskip(NEXT) | instid1(VALU_DEP_1)
	v_lshl_or_b32 v2, v2, 3, v8
                                        ; implicit-def: $vgpr8
	v_and_or_b32 v2, v1, 7, v2
; %bb.22:                               ;   in Loop: Header=BB12_9 Depth=1
	s_and_not1_saveexec_b32 s3, s3
; %bb.23:                               ;   in Loop: Header=BB12_9 Depth=1
	v_mov_b32_e32 v2, v8
; %bb.24:                               ;   in Loop: Header=BB12_9 Depth=1
	s_or_b32 exec_lo, exec_lo, s3
.LBB12_25:                              ;   in Loop: Header=BB12_9 Depth=1
	s_delay_alu instid0(SALU_CYCLE_1)
	s_or_b32 exec_lo, exec_lo, s54
.LBB12_26:                              ;   in Loop: Header=BB12_9 Depth=1
	s_and_not1_saveexec_b32 s3, s53
	s_delay_alu instid0(SALU_CYCLE_1)
	s_or_b32 exec_lo, exec_lo, s3
                                        ; implicit-def: $vgpr3
.LBB12_27:                              ;   in Loop: Header=BB12_9 Depth=1
	s_and_not1_saveexec_b32 s3, s52
; %bb.28:                               ;   in Loop: Header=BB12_9 Depth=1
	v_cmp_eq_u64_e32 vcc_lo, 0, v[5:6]
	v_or_b32_e32 v1, 0x7f, v3
	s_delay_alu instid0(VALU_DEP_1)
	v_cndmask_b32_e32 v2, v1, v2, vcc_lo
; %bb.29:                               ;   in Loop: Header=BB12_9 Depth=1
	s_or_b32 exec_lo, exec_lo, s3
	v_add_co_u32 v1, vcc_lo, s4, v15
	v_add_co_ci_u32_e32 v4, vcc_lo, s6, v47, vcc_lo
	s_delay_alu instid0(VALU_DEP_2) | instskip(NEXT) | instid1(VALU_DEP_2)
	v_add_co_u32 v3, vcc_lo, v1, v36
	v_add_co_ci_u32_e32 v4, vcc_lo, 0, v4, vcc_lo
	global_store_b8 v[3:4], v2, off
.LBB12_30:                              ;   in Loop: Header=BB12_9 Depth=1
	s_or_b32 exec_lo, exec_lo, s51
	v_sub_nc_u32_e32 v16, s13, v19
	v_ashrrev_i32_e32 v20, 31, v19
	s_mov_b32 s51, exec_lo
	s_delay_alu instid0(VALU_DEP_2) | instskip(NEXT) | instid1(VALU_DEP_2)
	v_ashrrev_i32_e32 v1, 31, v16
	v_lshlrev_b64 v[21:22], 1, v[19:20]
	s_delay_alu instid0(VALU_DEP_2) | instskip(NEXT) | instid1(VALU_DEP_1)
	v_lshrrev_b32_e32 v1, 29, v1
	v_add_nc_u32_e32 v1, v16, v1
	s_delay_alu instid0(VALU_DEP_1) | instskip(NEXT) | instid1(VALU_DEP_1)
	v_ashrrev_i32_e32 v49, 3, v1
	v_cmpx_gt_i32_e64 v49, v36
	s_cbranch_execz .LBB12_177
; %bb.31:                               ;   in Loop: Header=BB12_9 Depth=1
	v_add_co_u32 v1, vcc_lo, v21, v13
	v_add_co_ci_u32_e32 v2, vcc_lo, v22, v14, vcc_lo
	v_add_co_u32 v23, vcc_lo, v9, v19
	v_add_co_ci_u32_e32 v24, vcc_lo, v10, v20, vcc_lo
	s_delay_alu instid0(VALU_DEP_4) | instskip(NEXT) | instid1(VALU_DEP_4)
	v_add_co_u32 v25, vcc_lo, v37, v1
	v_add_co_ci_u32_e32 v26, vcc_lo, v38, v2, vcc_lo
	v_mov_b32_e32 v50, v36
	s_mov_b32 s52, 0
	s_branch .LBB12_33
.LBB12_32:                              ;   in Loop: Header=BB12_33 Depth=2
	s_or_b32 exec_lo, exec_lo, s3
	v_lshlrev_b32_e32 v3, 16, v31
	v_lshlrev_b32_e32 v4, 16, v29
	;; [unrolled: 1-line block ×5, first 2 shown]
	v_and_b32_e32 v3, 0xff0000, v3
	v_perm_b32 v1, v1, v4, 0x4020c0c
	v_and_b32_e32 v4, 0xff, v30
	v_and_b32_e32 v27, 0xff, v27
	;; [unrolled: 1-line block ×3, first 2 shown]
	v_or_b32_e32 v3, v5, v3
	v_and_or_b32 v1, 0xff00, v8, v1
	v_add_nc_u32_e32 v50, 32, v50
	s_delay_alu instid0(VALU_DEP_3) | instskip(NEXT) | instid1(VALU_DEP_3)
	v_or3_b32 v2, v3, v2, v4
	v_or_b32_e32 v1, v1, v27
	s_delay_alu instid0(VALU_DEP_3) | instskip(SKIP_2) | instid1(VALU_DEP_1)
	v_cmp_ge_i32_e32 vcc_lo, v50, v49
	global_store_b64 v[23:24], v[1:2], off
	v_add_co_u32 v23, s3, 0x100, v23
	v_add_co_ci_u32_e64 v24, s3, 0, v24, s3
	v_add_co_u32 v25, s3, 0x200, v25
	s_delay_alu instid0(VALU_DEP_1) | instskip(SKIP_1) | instid1(SALU_CYCLE_1)
	v_add_co_ci_u32_e64 v26, s3, 0, v26, s3
	s_or_b32 s52, vcc_lo, s52
	s_and_not1_b32 exec_lo, exec_lo, s52
	s_cbranch_execz .LBB12_177
.LBB12_33:                              ;   Parent Loop BB12_9 Depth=1
                                        ; =>  This Inner Loop Header: Depth=2
	global_load_b128 v[1:4], v[25:26], off
	v_mov_b32_e32 v31, v6
	s_mov_b32 s3, exec_lo
	s_waitcnt vmcnt(0)
	v_lshlrev_b32_e32 v5, 16, v1
	s_delay_alu instid0(VALU_DEP_1) | instskip(NEXT) | instid1(VALU_DEP_1)
	v_div_scale_f32 v8, null, v48, v48, v5
	v_rcp_f32_e32 v27, v8
	s_waitcnt_depctr 0xfff
	v_fma_f32 v28, -v8, v27, 1.0
	s_delay_alu instid0(VALU_DEP_1) | instskip(SKIP_1) | instid1(VALU_DEP_1)
	v_fmac_f32_e32 v27, v28, v27
	v_div_scale_f32 v28, vcc_lo, v5, v48, v5
	v_mul_f32_e32 v29, v28, v27
	s_delay_alu instid0(VALU_DEP_1) | instskip(NEXT) | instid1(VALU_DEP_1)
	v_fma_f32 v30, -v8, v29, v28
	v_fmac_f32_e32 v29, v30, v27
	s_delay_alu instid0(VALU_DEP_1) | instskip(NEXT) | instid1(VALU_DEP_1)
	v_fma_f32 v8, -v8, v29, v28
	v_div_fmas_f32 v8, v8, v27, v29
	s_delay_alu instid0(VALU_DEP_1) | instskip(NEXT) | instid1(VALU_DEP_1)
	v_div_fixup_f32 v29, v8, v48, v5
	v_lshrrev_b32_e32 v28, 24, v29
	v_and_b32_e32 v30, 0x7f800000, v29
	v_and_b32_e32 v5, 0x7fffff, v29
	s_delay_alu instid0(VALU_DEP_3) | instskip(NEXT) | instid1(VALU_DEP_1)
	v_and_b32_e32 v8, 0x80, v28
	v_or_b32_e32 v27, 0x7e, v8
	s_delay_alu instid0(VALU_DEP_4)
	v_cmpx_ne_u64_e32 0x7f800000, v[30:31]
	s_xor_b32 s53, exec_lo, s3
	s_cbranch_execz .LBB12_49
; %bb.34:                               ;   in Loop: Header=BB12_33 Depth=2
	v_dual_mov_b32 v31, v6 :: v_dual_and_b32 v30, 0x7fffffff, v29
	s_mov_b32 s3, exec_lo
	s_delay_alu instid0(VALU_DEP_1)
	v_cmpx_gt_u64_e32 0x43e00001, v[30:31]
	s_xor_b32 s54, exec_lo, s3
	s_cbranch_execz .LBB12_48
; %bb.35:                               ;   in Loop: Header=BB12_33 Depth=2
	s_mov_b32 s55, exec_lo
	v_mov_b32_e32 v27, 0
	v_mov_b32_e32 v28, 0
	v_cmpx_ne_u32_e32 0, v29
	s_cbranch_execz .LBB12_47
; %bb.36:                               ;   in Loop: Header=BB12_33 Depth=2
	v_bfe_u32 v31, v29, 23, 8
	v_or_b32_e32 v29, 0x800000, v5
	s_delay_alu instid0(VALU_DEP_2) | instskip(SKIP_1) | instid1(VALU_DEP_2)
	v_sub_nc_u32_e32 v27, 0x79, v31
	v_cmp_gt_u32_e32 vcc_lo, 0x7a, v31
	v_cndmask_b32_e32 v27, 0, v27, vcc_lo
	v_cmp_eq_u32_e32 vcc_lo, 0, v31
	s_delay_alu instid0(VALU_DEP_2) | instskip(SKIP_1) | instid1(VALU_DEP_2)
	v_cndmask_b32_e64 v32, v27, 0x78, vcc_lo
	v_cndmask_b32_e32 v5, v29, v5, vcc_lo
	v_add_nc_u32_e32 v27, 20, v32
	v_add_nc_u32_e32 v29, 19, v32
	s_delay_alu instid0(VALU_DEP_2) | instskip(NEXT) | instid1(VALU_DEP_2)
	v_lshlrev_b64 v[27:28], v27, -1
	v_lshlrev_b64 v[29:30], v29, 1
	s_delay_alu instid0(VALU_DEP_2) | instskip(NEXT) | instid1(VALU_DEP_3)
	v_not_b32_e32 v28, v28
	v_not_b32_e32 v27, v27
	s_delay_alu instid0(VALU_DEP_2) | instskip(NEXT) | instid1(VALU_DEP_2)
	v_and_b32_e32 v34, 0, v28
	v_and_b32_e32 v33, v5, v27
	v_lshrrev_b64 v[27:28], v32, v[5:6]
	s_delay_alu instid0(VALU_DEP_2) | instskip(NEXT) | instid1(VALU_DEP_2)
	v_cmp_eq_u64_e64 s3, v[33:34], v[29:30]
	v_dual_mov_b32 v30, v28 :: v_dual_mov_b32 v29, v27
	s_delay_alu instid0(VALU_DEP_2)
	s_and_saveexec_b32 s56, s3
; %bb.37:                               ;   in Loop: Header=BB12_33 Depth=2
	v_bfe_u32 v5, v27, 20, 1
	s_delay_alu instid0(VALU_DEP_1) | instskip(NEXT) | instid1(VALU_DEP_1)
	v_add_co_u32 v5, s3, v27, v5
	v_add_co_u32 v29, s3, v5, -1
; %bb.38:                               ;   in Loop: Header=BB12_33 Depth=2
	s_or_b32 exec_lo, exec_lo, s56
	v_add_nc_u32_e32 v5, 0xffffff81, v31
	v_lshrrev_b32_e32 v30, 23, v27
	s_mov_b32 s3, exec_lo
	s_delay_alu instid0(VALU_DEP_2) | instskip(NEXT) | instid1(VALU_DEP_1)
	v_cndmask_b32_e64 v5, v5, 0xffffff82, vcc_lo
	v_add3_u32 v30, v32, v5, v30
	v_and_b32_e32 v5, 0xfffff, v29
	s_delay_alu instid0(VALU_DEP_2) | instskip(NEXT) | instid1(VALU_DEP_2)
	v_add_nc_u32_e32 v29, 6, v30
	v_add_co_u32 v27, vcc_lo, v5, v27
	v_add_co_ci_u32_e32 v28, vcc_lo, 0, v28, vcc_lo
                                        ; implicit-def: $vgpr5
	s_delay_alu instid0(VALU_DEP_3)
	v_cmpx_ne_u32_e32 0, v29
	s_xor_b32 s3, exec_lo, s3
; %bb.39:                               ;   in Loop: Header=BB12_33 Depth=2
	s_delay_alu instid0(VALU_DEP_2) | instskip(SKIP_1) | instid1(VALU_DEP_1)
	v_cmp_lt_u64_e32 vcc_lo, 0xffffff, v[27:28]
	v_add_nc_u32_e32 v5, 7, v30
	v_cndmask_b32_e32 v5, v29, v5, vcc_lo
	v_cndmask_b32_e64 v29, 0, 1, vcc_lo
	s_delay_alu instid0(VALU_DEP_1)
	v_lshrrev_b64 v[27:28], v29, v[27:28]
; %bb.40:                               ;   in Loop: Header=BB12_33 Depth=2
	s_and_not1_saveexec_b32 s3, s3
; %bb.41:                               ;   in Loop: Header=BB12_33 Depth=2
	s_delay_alu instid0(VALU_DEP_1)
	v_bfe_u32 v5, v27, 23, 1
; %bb.42:                               ;   in Loop: Header=BB12_33 Depth=2
	s_or_b32 exec_lo, exec_lo, s3
	s_delay_alu instid0(VALU_DEP_2) | instskip(NEXT) | instid1(VALU_DEP_2)
	v_lshrrev_b64 v[27:28], 20, v[27:28]
	v_cmp_gt_i32_e32 vcc_lo, 16, v5
	v_cmp_ne_u32_e64 s3, 0, v5
	s_delay_alu instid0(VALU_DEP_3) | instskip(NEXT) | instid1(VALU_DEP_1)
	v_dual_cndmask_b32 v30, 0, v28 :: v_dual_cndmask_b32 v29, 7, v27
                                        ; implicit-def: $vgpr27_vgpr28
	v_cmp_ne_u64_e32 vcc_lo, 0, v[29:30]
	s_delay_alu instid0(VALU_DEP_3) | instskip(NEXT) | instid1(SALU_CYCLE_1)
	s_or_b32 s3, s3, vcc_lo
	s_and_saveexec_b32 s56, s3
	s_delay_alu instid0(SALU_CYCLE_1)
	s_xor_b32 s3, exec_lo, s56
; %bb.43:                               ;   in Loop: Header=BB12_33 Depth=2
	v_min_i32_e32 v5, 15, v5
	s_delay_alu instid0(VALU_DEP_1) | instskip(NEXT) | instid1(VALU_DEP_1)
	v_lshl_or_b32 v5, v5, 3, v8
                                        ; implicit-def: $vgpr8
	v_and_or_b32 v27, v29, 7, v5
; %bb.44:                               ;   in Loop: Header=BB12_33 Depth=2
	s_and_not1_saveexec_b32 s3, s3
; %bb.45:                               ;   in Loop: Header=BB12_33 Depth=2
	v_dual_mov_b32 v28, v9 :: v_dual_mov_b32 v27, v8
; %bb.46:                               ;   in Loop: Header=BB12_33 Depth=2
	s_or_b32 exec_lo, exec_lo, s3
.LBB12_47:                              ;   in Loop: Header=BB12_33 Depth=2
	s_delay_alu instid0(SALU_CYCLE_1)
	s_or_b32 exec_lo, exec_lo, s55
.LBB12_48:                              ;   in Loop: Header=BB12_33 Depth=2
	s_and_not1_saveexec_b32 s3, s54
	s_delay_alu instid0(SALU_CYCLE_1)
	s_or_b32 exec_lo, exec_lo, s3
                                        ; implicit-def: $vgpr28
.LBB12_49:                              ;   in Loop: Header=BB12_33 Depth=2
	s_and_not1_saveexec_b32 s3, s53
; %bb.50:                               ;   in Loop: Header=BB12_33 Depth=2
	v_cmp_eq_u64_e32 vcc_lo, 0, v[5:6]
	v_or_b32_e32 v8, 0x7f, v28
	s_delay_alu instid0(VALU_DEP_1)
	v_cndmask_b32_e32 v27, v8, v27, vcc_lo
; %bb.51:                               ;   in Loop: Header=BB12_33 Depth=2
	s_or_b32 exec_lo, exec_lo, s3
	v_and_b32_e32 v1, 0xffff0000, v1
	s_mov_b32 s3, exec_lo
	v_mov_b32_e32 v31, v6
	s_delay_alu instid0(VALU_DEP_2) | instskip(NEXT) | instid1(VALU_DEP_1)
	v_div_scale_f32 v5, null, v48, v48, v1
	v_rcp_f32_e32 v8, v5
	s_waitcnt_depctr 0xfff
	v_fma_f32 v28, -v5, v8, 1.0
	s_delay_alu instid0(VALU_DEP_1) | instskip(SKIP_1) | instid1(VALU_DEP_1)
	v_fmac_f32_e32 v8, v28, v8
	v_div_scale_f32 v28, vcc_lo, v1, v48, v1
	v_mul_f32_e32 v29, v28, v8
	s_delay_alu instid0(VALU_DEP_1) | instskip(NEXT) | instid1(VALU_DEP_1)
	v_fma_f32 v30, -v5, v29, v28
	v_fmac_f32_e32 v29, v30, v8
	s_delay_alu instid0(VALU_DEP_1) | instskip(NEXT) | instid1(VALU_DEP_1)
	v_fma_f32 v5, -v5, v29, v28
	v_div_fmas_f32 v5, v5, v8, v29
	s_delay_alu instid0(VALU_DEP_1) | instskip(NEXT) | instid1(VALU_DEP_1)
	v_div_fixup_f32 v8, v5, v48, v1
	v_lshrrev_b32_e32 v29, 24, v8
	v_and_b32_e32 v30, 0x7f800000, v8
	v_and_b32_e32 v5, 0x7fffff, v8
	s_delay_alu instid0(VALU_DEP_3) | instskip(NEXT) | instid1(VALU_DEP_1)
	v_and_b32_e32 v1, 0x80, v29
	v_or_b32_e32 v28, 0x7e, v1
	s_delay_alu instid0(VALU_DEP_4)
	v_cmpx_ne_u64_e32 0x7f800000, v[30:31]
	s_xor_b32 s53, exec_lo, s3
	s_cbranch_execz .LBB12_67
; %bb.52:                               ;   in Loop: Header=BB12_33 Depth=2
	v_dual_mov_b32 v30, v6 :: v_dual_and_b32 v29, 0x7fffffff, v8
	s_mov_b32 s3, exec_lo
	s_delay_alu instid0(VALU_DEP_1)
	v_cmpx_gt_u64_e32 0x43e00001, v[29:30]
	s_xor_b32 s54, exec_lo, s3
	s_cbranch_execz .LBB12_66
; %bb.53:                               ;   in Loop: Header=BB12_33 Depth=2
	s_mov_b32 s55, exec_lo
	v_mov_b32_e32 v28, 0
	v_mov_b32_e32 v29, 0
	v_cmpx_ne_u32_e32 0, v8
	s_cbranch_execz .LBB12_65
; %bb.54:                               ;   in Loop: Header=BB12_33 Depth=2
	v_bfe_u32 v8, v8, 23, 8
	v_or_b32_e32 v30, 0x800000, v5
	s_delay_alu instid0(VALU_DEP_2) | instskip(SKIP_1) | instid1(VALU_DEP_2)
	v_sub_nc_u32_e32 v28, 0x79, v8
	v_cmp_gt_u32_e32 vcc_lo, 0x7a, v8
	v_cndmask_b32_e32 v28, 0, v28, vcc_lo
	v_cmp_eq_u32_e32 vcc_lo, 0, v8
	v_cndmask_b32_e32 v5, v30, v5, vcc_lo
	s_delay_alu instid0(VALU_DEP_3) | instskip(NEXT) | instid1(VALU_DEP_1)
	v_cndmask_b32_e64 v32, v28, 0x78, vcc_lo
	v_add_nc_u32_e32 v28, 20, v32
	v_add_nc_u32_e32 v30, 19, v32
	s_delay_alu instid0(VALU_DEP_2) | instskip(NEXT) | instid1(VALU_DEP_2)
	v_lshlrev_b64 v[28:29], v28, -1
	v_lshlrev_b64 v[30:31], v30, 1
	s_delay_alu instid0(VALU_DEP_2) | instskip(NEXT) | instid1(VALU_DEP_3)
	v_not_b32_e32 v29, v29
	v_not_b32_e32 v28, v28
	s_delay_alu instid0(VALU_DEP_2) | instskip(NEXT) | instid1(VALU_DEP_2)
	v_and_b32_e32 v34, 0, v29
	v_and_b32_e32 v33, v5, v28
	v_lshrrev_b64 v[28:29], v32, v[5:6]
	s_delay_alu instid0(VALU_DEP_2) | instskip(NEXT) | instid1(VALU_DEP_2)
	v_cmp_eq_u64_e64 s3, v[33:34], v[30:31]
	v_dual_mov_b32 v31, v29 :: v_dual_mov_b32 v30, v28
	s_delay_alu instid0(VALU_DEP_2)
	s_and_saveexec_b32 s56, s3
; %bb.55:                               ;   in Loop: Header=BB12_33 Depth=2
	v_bfe_u32 v5, v28, 20, 1
	s_delay_alu instid0(VALU_DEP_1) | instskip(NEXT) | instid1(VALU_DEP_1)
	v_add_co_u32 v5, s3, v28, v5
	v_add_co_u32 v30, s3, v5, -1
; %bb.56:                               ;   in Loop: Header=BB12_33 Depth=2
	s_or_b32 exec_lo, exec_lo, s56
	v_add_nc_u32_e32 v5, 0xffffff81, v8
	v_lshrrev_b32_e32 v8, 23, v28
	s_mov_b32 s3, exec_lo
	s_delay_alu instid0(VALU_DEP_2) | instskip(NEXT) | instid1(VALU_DEP_1)
	v_cndmask_b32_e64 v5, v5, 0xffffff82, vcc_lo
	v_add3_u32 v8, v32, v5, v8
	v_and_b32_e32 v5, 0xfffff, v30
	s_delay_alu instid0(VALU_DEP_2) | instskip(NEXT) | instid1(VALU_DEP_2)
	v_add_nc_u32_e32 v30, 6, v8
	v_add_co_u32 v28, vcc_lo, v5, v28
	v_add_co_ci_u32_e32 v29, vcc_lo, 0, v29, vcc_lo
                                        ; implicit-def: $vgpr5
	s_delay_alu instid0(VALU_DEP_3)
	v_cmpx_ne_u32_e32 0, v30
	s_xor_b32 s3, exec_lo, s3
; %bb.57:                               ;   in Loop: Header=BB12_33 Depth=2
	s_delay_alu instid0(VALU_DEP_2) | instskip(SKIP_2) | instid1(VALU_DEP_2)
	v_cmp_lt_u64_e32 vcc_lo, 0xffffff, v[28:29]
	v_add_nc_u32_e32 v5, 7, v8
	v_cndmask_b32_e64 v8, 0, 1, vcc_lo
	v_cndmask_b32_e32 v5, v30, v5, vcc_lo
	s_delay_alu instid0(VALU_DEP_2)
	v_lshrrev_b64 v[28:29], v8, v[28:29]
; %bb.58:                               ;   in Loop: Header=BB12_33 Depth=2
	s_and_not1_saveexec_b32 s3, s3
; %bb.59:                               ;   in Loop: Header=BB12_33 Depth=2
	s_delay_alu instid0(VALU_DEP_1)
	v_bfe_u32 v5, v28, 23, 1
; %bb.60:                               ;   in Loop: Header=BB12_33 Depth=2
	s_or_b32 exec_lo, exec_lo, s3
	s_delay_alu instid0(VALU_DEP_2) | instskip(NEXT) | instid1(VALU_DEP_2)
	v_lshrrev_b64 v[28:29], 20, v[28:29]
	v_cmp_gt_i32_e32 vcc_lo, 16, v5
	v_cmp_ne_u32_e64 s3, 0, v5
	s_delay_alu instid0(VALU_DEP_3) | instskip(NEXT) | instid1(VALU_DEP_1)
	v_dual_cndmask_b32 v31, 0, v29 :: v_dual_cndmask_b32 v30, 7, v28
                                        ; implicit-def: $vgpr28_vgpr29
	v_cmp_ne_u64_e32 vcc_lo, 0, v[30:31]
	s_delay_alu instid0(VALU_DEP_3) | instskip(NEXT) | instid1(SALU_CYCLE_1)
	s_or_b32 s3, s3, vcc_lo
	s_and_saveexec_b32 s56, s3
	s_delay_alu instid0(SALU_CYCLE_1)
	s_xor_b32 s3, exec_lo, s56
; %bb.61:                               ;   in Loop: Header=BB12_33 Depth=2
	v_min_i32_e32 v5, 15, v5
	s_delay_alu instid0(VALU_DEP_1) | instskip(NEXT) | instid1(VALU_DEP_1)
	v_lshl_or_b32 v1, v5, 3, v1
	v_and_or_b32 v28, v30, 7, v1
                                        ; implicit-def: $vgpr1
; %bb.62:                               ;   in Loop: Header=BB12_33 Depth=2
	s_and_not1_saveexec_b32 s3, s3
; %bb.63:                               ;   in Loop: Header=BB12_33 Depth=2
	v_dual_mov_b32 v29, v2 :: v_dual_mov_b32 v28, v1
; %bb.64:                               ;   in Loop: Header=BB12_33 Depth=2
	s_or_b32 exec_lo, exec_lo, s3
.LBB12_65:                              ;   in Loop: Header=BB12_33 Depth=2
	s_delay_alu instid0(SALU_CYCLE_1)
	s_or_b32 exec_lo, exec_lo, s55
.LBB12_66:                              ;   in Loop: Header=BB12_33 Depth=2
	s_and_not1_saveexec_b32 s3, s54
	s_delay_alu instid0(SALU_CYCLE_1)
	s_or_b32 exec_lo, exec_lo, s3
                                        ; implicit-def: $vgpr29
.LBB12_67:                              ;   in Loop: Header=BB12_33 Depth=2
	s_and_not1_saveexec_b32 s3, s53
; %bb.68:                               ;   in Loop: Header=BB12_33 Depth=2
	v_cmp_eq_u64_e32 vcc_lo, 0, v[5:6]
	v_or_b32_e32 v1, 0x7f, v29
	s_delay_alu instid0(VALU_DEP_1)
	v_cndmask_b32_e32 v28, v1, v28, vcc_lo
; %bb.69:                               ;   in Loop: Header=BB12_33 Depth=2
	s_or_b32 exec_lo, exec_lo, s3
	v_lshlrev_b32_e32 v1, 16, v2
	s_mov_b32 s3, exec_lo
	v_mov_b32_e32 v32, v6
	s_delay_alu instid0(VALU_DEP_2) | instskip(NEXT) | instid1(VALU_DEP_1)
	v_div_scale_f32 v5, null, v48, v48, v1
	v_rcp_f32_e32 v8, v5
	s_waitcnt_depctr 0xfff
	v_fma_f32 v29, -v5, v8, 1.0
	s_delay_alu instid0(VALU_DEP_1) | instskip(SKIP_1) | instid1(VALU_DEP_1)
	v_fmac_f32_e32 v8, v29, v8
	v_div_scale_f32 v29, vcc_lo, v1, v48, v1
	v_mul_f32_e32 v30, v29, v8
	s_delay_alu instid0(VALU_DEP_1) | instskip(NEXT) | instid1(VALU_DEP_1)
	v_fma_f32 v31, -v5, v30, v29
	v_fmac_f32_e32 v30, v31, v8
	s_delay_alu instid0(VALU_DEP_1) | instskip(NEXT) | instid1(VALU_DEP_1)
	v_fma_f32 v5, -v5, v30, v29
	v_div_fmas_f32 v5, v5, v8, v30
	s_delay_alu instid0(VALU_DEP_1) | instskip(NEXT) | instid1(VALU_DEP_1)
	v_div_fixup_f32 v8, v5, v48, v1
	v_lshrrev_b32_e32 v30, 24, v8
	v_and_b32_e32 v31, 0x7f800000, v8
	v_and_b32_e32 v5, 0x7fffff, v8
	s_delay_alu instid0(VALU_DEP_3) | instskip(NEXT) | instid1(VALU_DEP_1)
	v_and_b32_e32 v1, 0x80, v30
	v_or_b32_e32 v29, 0x7e, v1
	s_delay_alu instid0(VALU_DEP_4)
	v_cmpx_ne_u64_e32 0x7f800000, v[31:32]
	s_xor_b32 s53, exec_lo, s3
	s_cbranch_execz .LBB12_85
; %bb.70:                               ;   in Loop: Header=BB12_33 Depth=2
	v_dual_mov_b32 v31, v6 :: v_dual_and_b32 v30, 0x7fffffff, v8
	s_mov_b32 s3, exec_lo
	s_delay_alu instid0(VALU_DEP_1)
	v_cmpx_gt_u64_e32 0x43e00001, v[30:31]
	s_xor_b32 s54, exec_lo, s3
	s_cbranch_execz .LBB12_84
; %bb.71:                               ;   in Loop: Header=BB12_33 Depth=2
	s_mov_b32 s55, exec_lo
	v_mov_b32_e32 v29, 0
	v_mov_b32_e32 v30, 0
	v_cmpx_ne_u32_e32 0, v8
	s_cbranch_execz .LBB12_83
; %bb.72:                               ;   in Loop: Header=BB12_33 Depth=2
	v_bfe_u32 v8, v8, 23, 8
	v_or_b32_e32 v31, 0x800000, v5
	s_delay_alu instid0(VALU_DEP_2) | instskip(SKIP_1) | instid1(VALU_DEP_2)
	v_sub_nc_u32_e32 v29, 0x79, v8
	v_cmp_gt_u32_e32 vcc_lo, 0x7a, v8
	v_cndmask_b32_e32 v29, 0, v29, vcc_lo
	v_cmp_eq_u32_e32 vcc_lo, 0, v8
	s_delay_alu instid0(VALU_DEP_2) | instskip(SKIP_1) | instid1(VALU_DEP_2)
	v_cndmask_b32_e64 v33, v29, 0x78, vcc_lo
	v_cndmask_b32_e32 v5, v31, v5, vcc_lo
	v_add_nc_u32_e32 v29, 20, v33
	v_add_nc_u32_e32 v31, 19, v33
	s_delay_alu instid0(VALU_DEP_2) | instskip(NEXT) | instid1(VALU_DEP_2)
	v_lshlrev_b64 v[29:30], v29, -1
	v_lshlrev_b64 v[31:32], v31, 1
	s_delay_alu instid0(VALU_DEP_2) | instskip(NEXT) | instid1(VALU_DEP_3)
	v_not_b32_e32 v30, v30
	v_not_b32_e32 v29, v29
	s_delay_alu instid0(VALU_DEP_2) | instskip(NEXT) | instid1(VALU_DEP_2)
	v_and_b32_e32 v52, 0, v30
	v_and_b32_e32 v51, v5, v29
	v_lshrrev_b64 v[29:30], v33, v[5:6]
	s_delay_alu instid0(VALU_DEP_2) | instskip(NEXT) | instid1(VALU_DEP_2)
	v_cmp_eq_u64_e64 s3, v[51:52], v[31:32]
	v_dual_mov_b32 v32, v30 :: v_dual_mov_b32 v31, v29
	s_delay_alu instid0(VALU_DEP_2)
	s_and_saveexec_b32 s56, s3
; %bb.73:                               ;   in Loop: Header=BB12_33 Depth=2
	v_bfe_u32 v5, v29, 20, 1
	s_delay_alu instid0(VALU_DEP_1) | instskip(NEXT) | instid1(VALU_DEP_1)
	v_add_co_u32 v5, s3, v29, v5
	v_add_co_u32 v31, s3, v5, -1
; %bb.74:                               ;   in Loop: Header=BB12_33 Depth=2
	s_or_b32 exec_lo, exec_lo, s56
	v_add_nc_u32_e32 v5, 0xffffff81, v8
	v_lshrrev_b32_e32 v8, 23, v29
	s_mov_b32 s3, exec_lo
	s_delay_alu instid0(VALU_DEP_2) | instskip(NEXT) | instid1(VALU_DEP_1)
	v_cndmask_b32_e64 v5, v5, 0xffffff82, vcc_lo
	v_add3_u32 v8, v33, v5, v8
	v_and_b32_e32 v5, 0xfffff, v31
	s_delay_alu instid0(VALU_DEP_2) | instskip(NEXT) | instid1(VALU_DEP_2)
	v_add_nc_u32_e32 v31, 6, v8
	v_add_co_u32 v29, vcc_lo, v5, v29
	v_add_co_ci_u32_e32 v30, vcc_lo, 0, v30, vcc_lo
                                        ; implicit-def: $vgpr5
	s_delay_alu instid0(VALU_DEP_3)
	v_cmpx_ne_u32_e32 0, v31
	s_xor_b32 s3, exec_lo, s3
; %bb.75:                               ;   in Loop: Header=BB12_33 Depth=2
	s_delay_alu instid0(VALU_DEP_2) | instskip(SKIP_2) | instid1(VALU_DEP_2)
	v_cmp_lt_u64_e32 vcc_lo, 0xffffff, v[29:30]
	v_add_nc_u32_e32 v5, 7, v8
	v_cndmask_b32_e64 v8, 0, 1, vcc_lo
	v_cndmask_b32_e32 v5, v31, v5, vcc_lo
	s_delay_alu instid0(VALU_DEP_2)
	v_lshrrev_b64 v[29:30], v8, v[29:30]
; %bb.76:                               ;   in Loop: Header=BB12_33 Depth=2
	s_and_not1_saveexec_b32 s3, s3
; %bb.77:                               ;   in Loop: Header=BB12_33 Depth=2
	s_delay_alu instid0(VALU_DEP_1)
	v_bfe_u32 v5, v29, 23, 1
; %bb.78:                               ;   in Loop: Header=BB12_33 Depth=2
	s_or_b32 exec_lo, exec_lo, s3
	s_delay_alu instid0(VALU_DEP_2) | instskip(NEXT) | instid1(VALU_DEP_2)
	v_lshrrev_b64 v[29:30], 20, v[29:30]
	v_cmp_gt_i32_e32 vcc_lo, 16, v5
	v_cmp_ne_u32_e64 s3, 0, v5
	s_delay_alu instid0(VALU_DEP_3) | instskip(NEXT) | instid1(VALU_DEP_1)
	v_dual_cndmask_b32 v32, 0, v30 :: v_dual_cndmask_b32 v31, 7, v29
                                        ; implicit-def: $vgpr29_vgpr30
	v_cmp_ne_u64_e32 vcc_lo, 0, v[31:32]
	s_delay_alu instid0(VALU_DEP_3) | instskip(NEXT) | instid1(SALU_CYCLE_1)
	s_or_b32 s3, s3, vcc_lo
	s_and_saveexec_b32 s56, s3
	s_delay_alu instid0(SALU_CYCLE_1)
	s_xor_b32 s3, exec_lo, s56
; %bb.79:                               ;   in Loop: Header=BB12_33 Depth=2
	v_min_i32_e32 v5, 15, v5
	s_delay_alu instid0(VALU_DEP_1) | instskip(NEXT) | instid1(VALU_DEP_1)
	v_lshl_or_b32 v1, v5, 3, v1
	v_and_or_b32 v29, v31, 7, v1
                                        ; implicit-def: $vgpr1
; %bb.80:                               ;   in Loop: Header=BB12_33 Depth=2
	s_and_not1_saveexec_b32 s3, s3
; %bb.81:                               ;   in Loop: Header=BB12_33 Depth=2
	v_dual_mov_b32 v30, v2 :: v_dual_mov_b32 v29, v1
; %bb.82:                               ;   in Loop: Header=BB12_33 Depth=2
	s_or_b32 exec_lo, exec_lo, s3
.LBB12_83:                              ;   in Loop: Header=BB12_33 Depth=2
	s_delay_alu instid0(SALU_CYCLE_1)
	s_or_b32 exec_lo, exec_lo, s55
.LBB12_84:                              ;   in Loop: Header=BB12_33 Depth=2
	s_and_not1_saveexec_b32 s3, s54
	s_delay_alu instid0(SALU_CYCLE_1)
	s_or_b32 exec_lo, exec_lo, s3
                                        ; implicit-def: $vgpr30
.LBB12_85:                              ;   in Loop: Header=BB12_33 Depth=2
	s_and_not1_saveexec_b32 s3, s53
; %bb.86:                               ;   in Loop: Header=BB12_33 Depth=2
	v_cmp_eq_u64_e32 vcc_lo, 0, v[5:6]
	v_or_b32_e32 v1, 0x7f, v30
	s_delay_alu instid0(VALU_DEP_1)
	v_cndmask_b32_e32 v29, v1, v29, vcc_lo
; %bb.87:                               ;   in Loop: Header=BB12_33 Depth=2
	s_or_b32 exec_lo, exec_lo, s3
	v_and_b32_e32 v1, 0xffff0000, v2
	s_mov_b32 s3, exec_lo
	v_mov_b32_e32 v32, v6
	s_delay_alu instid0(VALU_DEP_2) | instskip(NEXT) | instid1(VALU_DEP_1)
	v_div_scale_f32 v2, null, v48, v48, v1
	v_rcp_f32_e32 v5, v2
	s_waitcnt_depctr 0xfff
	v_fma_f32 v8, -v2, v5, 1.0
	s_delay_alu instid0(VALU_DEP_1) | instskip(SKIP_1) | instid1(VALU_DEP_1)
	v_fmac_f32_e32 v5, v8, v5
	v_div_scale_f32 v8, vcc_lo, v1, v48, v1
	v_mul_f32_e32 v30, v8, v5
	s_delay_alu instid0(VALU_DEP_1) | instskip(NEXT) | instid1(VALU_DEP_1)
	v_fma_f32 v31, -v2, v30, v8
	v_fmac_f32_e32 v30, v31, v5
	s_delay_alu instid0(VALU_DEP_1) | instskip(NEXT) | instid1(VALU_DEP_1)
	v_fma_f32 v2, -v2, v30, v8
	v_div_fmas_f32 v2, v2, v5, v30
	s_delay_alu instid0(VALU_DEP_1) | instskip(NEXT) | instid1(VALU_DEP_1)
	v_div_fixup_f32 v30, v2, v48, v1
	v_lshrrev_b32_e32 v2, 24, v30
	v_and_b32_e32 v31, 0x7f800000, v30
	v_and_b32_e32 v5, 0x7fffff, v30
	s_delay_alu instid0(VALU_DEP_3) | instskip(NEXT) | instid1(VALU_DEP_1)
	v_and_b32_e32 v8, 0x80, v2
	v_or_b32_e32 v1, 0x7e, v8
	s_delay_alu instid0(VALU_DEP_4)
	v_cmpx_ne_u64_e32 0x7f800000, v[31:32]
	s_xor_b32 s53, exec_lo, s3
	s_cbranch_execz .LBB12_103
; %bb.88:                               ;   in Loop: Header=BB12_33 Depth=2
	v_dual_mov_b32 v32, v6 :: v_dual_and_b32 v31, 0x7fffffff, v30
	s_mov_b32 s3, exec_lo
	s_delay_alu instid0(VALU_DEP_1)
	v_cmpx_gt_u64_e32 0x43e00001, v[31:32]
	s_xor_b32 s54, exec_lo, s3
	s_cbranch_execz .LBB12_102
; %bb.89:                               ;   in Loop: Header=BB12_33 Depth=2
	s_mov_b32 s55, exec_lo
	v_mov_b32_e32 v1, 0
	v_mov_b32_e32 v2, 0
	v_cmpx_ne_u32_e32 0, v30
	s_cbranch_execz .LBB12_101
; %bb.90:                               ;   in Loop: Header=BB12_33 Depth=2
	v_bfe_u32 v32, v30, 23, 8
	v_or_b32_e32 v30, 0x800000, v5
	s_delay_alu instid0(VALU_DEP_2) | instskip(SKIP_1) | instid1(VALU_DEP_2)
	v_sub_nc_u32_e32 v1, 0x79, v32
	v_cmp_gt_u32_e32 vcc_lo, 0x7a, v32
	v_cndmask_b32_e32 v1, 0, v1, vcc_lo
	v_cmp_eq_u32_e32 vcc_lo, 0, v32
	s_delay_alu instid0(VALU_DEP_2) | instskip(SKIP_1) | instid1(VALU_DEP_2)
	v_cndmask_b32_e64 v33, v1, 0x78, vcc_lo
	v_cndmask_b32_e32 v5, v30, v5, vcc_lo
	v_add_nc_u32_e32 v1, 20, v33
	v_add_nc_u32_e32 v30, 19, v33
	s_delay_alu instid0(VALU_DEP_2) | instskip(NEXT) | instid1(VALU_DEP_2)
	v_lshlrev_b64 v[1:2], v1, -1
	v_lshlrev_b64 v[30:31], v30, 1
	s_delay_alu instid0(VALU_DEP_2) | instskip(NEXT) | instid1(VALU_DEP_3)
	v_not_b32_e32 v2, v2
	v_not_b32_e32 v1, v1
	s_delay_alu instid0(VALU_DEP_2) | instskip(NEXT) | instid1(VALU_DEP_2)
	v_and_b32_e32 v52, 0, v2
	v_and_b32_e32 v51, v5, v1
	v_lshrrev_b64 v[1:2], v33, v[5:6]
	s_delay_alu instid0(VALU_DEP_2) | instskip(NEXT) | instid1(VALU_DEP_2)
	v_cmp_eq_u64_e64 s3, v[51:52], v[30:31]
	v_dual_mov_b32 v31, v2 :: v_dual_mov_b32 v30, v1
	s_delay_alu instid0(VALU_DEP_2)
	s_and_saveexec_b32 s56, s3
; %bb.91:                               ;   in Loop: Header=BB12_33 Depth=2
	v_bfe_u32 v5, v1, 20, 1
	s_delay_alu instid0(VALU_DEP_1) | instskip(NEXT) | instid1(VALU_DEP_1)
	v_add_co_u32 v5, s3, v1, v5
	v_add_co_u32 v30, s3, v5, -1
; %bb.92:                               ;   in Loop: Header=BB12_33 Depth=2
	s_or_b32 exec_lo, exec_lo, s56
	v_add_nc_u32_e32 v5, 0xffffff81, v32
	v_lshrrev_b32_e32 v31, 23, v1
	s_mov_b32 s3, exec_lo
	s_delay_alu instid0(VALU_DEP_2) | instskip(NEXT) | instid1(VALU_DEP_1)
	v_cndmask_b32_e64 v5, v5, 0xffffff82, vcc_lo
	v_add3_u32 v31, v33, v5, v31
	v_and_b32_e32 v5, 0xfffff, v30
	s_delay_alu instid0(VALU_DEP_2) | instskip(NEXT) | instid1(VALU_DEP_2)
	v_add_nc_u32_e32 v30, 6, v31
	v_add_co_u32 v1, vcc_lo, v5, v1
	v_add_co_ci_u32_e32 v2, vcc_lo, 0, v2, vcc_lo
                                        ; implicit-def: $vgpr5
	s_delay_alu instid0(VALU_DEP_3)
	v_cmpx_ne_u32_e32 0, v30
	s_xor_b32 s3, exec_lo, s3
; %bb.93:                               ;   in Loop: Header=BB12_33 Depth=2
	s_delay_alu instid0(VALU_DEP_2) | instskip(SKIP_1) | instid1(VALU_DEP_1)
	v_cmp_lt_u64_e32 vcc_lo, 0xffffff, v[1:2]
	v_add_nc_u32_e32 v5, 7, v31
	v_cndmask_b32_e32 v5, v30, v5, vcc_lo
	v_cndmask_b32_e64 v30, 0, 1, vcc_lo
	s_delay_alu instid0(VALU_DEP_1)
	v_lshrrev_b64 v[1:2], v30, v[1:2]
; %bb.94:                               ;   in Loop: Header=BB12_33 Depth=2
	s_and_not1_saveexec_b32 s3, s3
; %bb.95:                               ;   in Loop: Header=BB12_33 Depth=2
	s_delay_alu instid0(VALU_DEP_1)
	v_bfe_u32 v5, v1, 23, 1
; %bb.96:                               ;   in Loop: Header=BB12_33 Depth=2
	s_or_b32 exec_lo, exec_lo, s3
	s_delay_alu instid0(VALU_DEP_2) | instskip(NEXT) | instid1(VALU_DEP_2)
	v_lshrrev_b64 v[1:2], 20, v[1:2]
	v_cmp_gt_i32_e32 vcc_lo, 16, v5
	v_cmp_ne_u32_e64 s3, 0, v5
	s_delay_alu instid0(VALU_DEP_3) | instskip(NEXT) | instid1(VALU_DEP_1)
	v_dual_cndmask_b32 v31, 0, v2 :: v_dual_cndmask_b32 v30, 7, v1
                                        ; implicit-def: $vgpr1_vgpr2
	v_cmp_ne_u64_e32 vcc_lo, 0, v[30:31]
	s_delay_alu instid0(VALU_DEP_3) | instskip(NEXT) | instid1(SALU_CYCLE_1)
	s_or_b32 s3, s3, vcc_lo
	s_and_saveexec_b32 s56, s3
	s_delay_alu instid0(SALU_CYCLE_1)
	s_xor_b32 s3, exec_lo, s56
; %bb.97:                               ;   in Loop: Header=BB12_33 Depth=2
	v_min_i32_e32 v1, 15, v5
	s_delay_alu instid0(VALU_DEP_1) | instskip(NEXT) | instid1(VALU_DEP_1)
	v_lshl_or_b32 v1, v1, 3, v8
                                        ; implicit-def: $vgpr8
	v_and_or_b32 v1, v30, 7, v1
; %bb.98:                               ;   in Loop: Header=BB12_33 Depth=2
	s_and_not1_saveexec_b32 s3, s3
; %bb.99:                               ;   in Loop: Header=BB12_33 Depth=2
	v_dual_mov_b32 v1, v8 :: v_dual_mov_b32 v2, v9
; %bb.100:                              ;   in Loop: Header=BB12_33 Depth=2
	s_or_b32 exec_lo, exec_lo, s3
.LBB12_101:                             ;   in Loop: Header=BB12_33 Depth=2
	s_delay_alu instid0(SALU_CYCLE_1)
	s_or_b32 exec_lo, exec_lo, s55
.LBB12_102:                             ;   in Loop: Header=BB12_33 Depth=2
	s_and_not1_saveexec_b32 s3, s54
	s_delay_alu instid0(SALU_CYCLE_1)
	s_or_b32 exec_lo, exec_lo, s3
                                        ; implicit-def: $vgpr2
.LBB12_103:                             ;   in Loop: Header=BB12_33 Depth=2
	s_and_not1_saveexec_b32 s3, s53
; %bb.104:                              ;   in Loop: Header=BB12_33 Depth=2
	v_cmp_eq_u64_e32 vcc_lo, 0, v[5:6]
	v_or_b32_e32 v2, 0x7f, v2
	s_delay_alu instid0(VALU_DEP_1)
	v_cndmask_b32_e32 v1, v2, v1, vcc_lo
; %bb.105:                              ;   in Loop: Header=BB12_33 Depth=2
	s_or_b32 exec_lo, exec_lo, s3
	v_lshlrev_b32_e32 v2, 16, v3
	s_mov_b32 s3, exec_lo
	v_mov_b32_e32 v33, v6
	s_delay_alu instid0(VALU_DEP_2) | instskip(NEXT) | instid1(VALU_DEP_1)
	v_div_scale_f32 v5, null, v48, v48, v2
	v_rcp_f32_e32 v8, v5
	s_waitcnt_depctr 0xfff
	v_fma_f32 v30, -v5, v8, 1.0
	s_delay_alu instid0(VALU_DEP_1) | instskip(SKIP_1) | instid1(VALU_DEP_1)
	v_fmac_f32_e32 v8, v30, v8
	v_div_scale_f32 v30, vcc_lo, v2, v48, v2
	v_mul_f32_e32 v31, v30, v8
	s_delay_alu instid0(VALU_DEP_1) | instskip(NEXT) | instid1(VALU_DEP_1)
	v_fma_f32 v32, -v5, v31, v30
	v_fmac_f32_e32 v31, v32, v8
	s_delay_alu instid0(VALU_DEP_1) | instskip(NEXT) | instid1(VALU_DEP_1)
	v_fma_f32 v5, -v5, v31, v30
	v_div_fmas_f32 v5, v5, v8, v31
	s_delay_alu instid0(VALU_DEP_1) | instskip(NEXT) | instid1(VALU_DEP_1)
	v_div_fixup_f32 v8, v5, v48, v2
	v_lshrrev_b32_e32 v31, 24, v8
	v_and_b32_e32 v32, 0x7f800000, v8
	v_and_b32_e32 v5, 0x7fffff, v8
	s_delay_alu instid0(VALU_DEP_3) | instskip(NEXT) | instid1(VALU_DEP_1)
	v_and_b32_e32 v2, 0x80, v31
	v_or_b32_e32 v30, 0x7e, v2
	s_delay_alu instid0(VALU_DEP_4)
	v_cmpx_ne_u64_e32 0x7f800000, v[32:33]
	s_xor_b32 s53, exec_lo, s3
	s_cbranch_execz .LBB12_121
; %bb.106:                              ;   in Loop: Header=BB12_33 Depth=2
	v_dual_mov_b32 v32, v6 :: v_dual_and_b32 v31, 0x7fffffff, v8
	s_mov_b32 s3, exec_lo
	s_delay_alu instid0(VALU_DEP_1)
	v_cmpx_gt_u64_e32 0x43e00001, v[31:32]
	s_xor_b32 s54, exec_lo, s3
	s_cbranch_execz .LBB12_120
; %bb.107:                              ;   in Loop: Header=BB12_33 Depth=2
	s_mov_b32 s55, exec_lo
	v_mov_b32_e32 v30, 0
	v_mov_b32_e32 v31, 0
	v_cmpx_ne_u32_e32 0, v8
	s_cbranch_execz .LBB12_119
; %bb.108:                              ;   in Loop: Header=BB12_33 Depth=2
	v_bfe_u32 v8, v8, 23, 8
	v_or_b32_e32 v32, 0x800000, v5
	s_delay_alu instid0(VALU_DEP_2) | instskip(SKIP_1) | instid1(VALU_DEP_2)
	v_sub_nc_u32_e32 v30, 0x79, v8
	v_cmp_gt_u32_e32 vcc_lo, 0x7a, v8
	v_cndmask_b32_e32 v30, 0, v30, vcc_lo
	v_cmp_eq_u32_e32 vcc_lo, 0, v8
	v_cndmask_b32_e32 v5, v32, v5, vcc_lo
	s_delay_alu instid0(VALU_DEP_3) | instskip(NEXT) | instid1(VALU_DEP_1)
	v_cndmask_b32_e64 v34, v30, 0x78, vcc_lo
	v_add_nc_u32_e32 v30, 20, v34
	v_add_nc_u32_e32 v32, 19, v34
	s_delay_alu instid0(VALU_DEP_2) | instskip(NEXT) | instid1(VALU_DEP_2)
	v_lshlrev_b64 v[30:31], v30, -1
	v_lshlrev_b64 v[32:33], v32, 1
	s_delay_alu instid0(VALU_DEP_2) | instskip(NEXT) | instid1(VALU_DEP_3)
	v_not_b32_e32 v31, v31
	v_not_b32_e32 v30, v30
	s_delay_alu instid0(VALU_DEP_2) | instskip(NEXT) | instid1(VALU_DEP_2)
	v_and_b32_e32 v52, 0, v31
	v_and_b32_e32 v51, v5, v30
	v_lshrrev_b64 v[30:31], v34, v[5:6]
	s_delay_alu instid0(VALU_DEP_2) | instskip(NEXT) | instid1(VALU_DEP_2)
	v_cmp_eq_u64_e64 s3, v[51:52], v[32:33]
	v_dual_mov_b32 v33, v31 :: v_dual_mov_b32 v32, v30
	s_delay_alu instid0(VALU_DEP_2)
	s_and_saveexec_b32 s56, s3
; %bb.109:                              ;   in Loop: Header=BB12_33 Depth=2
	v_bfe_u32 v5, v30, 20, 1
	s_delay_alu instid0(VALU_DEP_1) | instskip(NEXT) | instid1(VALU_DEP_1)
	v_add_co_u32 v5, s3, v30, v5
	v_add_co_u32 v32, s3, v5, -1
; %bb.110:                              ;   in Loop: Header=BB12_33 Depth=2
	s_or_b32 exec_lo, exec_lo, s56
	v_add_nc_u32_e32 v5, 0xffffff81, v8
	v_lshrrev_b32_e32 v8, 23, v30
	s_mov_b32 s3, exec_lo
	s_delay_alu instid0(VALU_DEP_2) | instskip(NEXT) | instid1(VALU_DEP_1)
	v_cndmask_b32_e64 v5, v5, 0xffffff82, vcc_lo
	v_add3_u32 v8, v34, v5, v8
	v_and_b32_e32 v5, 0xfffff, v32
	s_delay_alu instid0(VALU_DEP_2) | instskip(NEXT) | instid1(VALU_DEP_2)
	v_add_nc_u32_e32 v32, 6, v8
	v_add_co_u32 v30, vcc_lo, v5, v30
	v_add_co_ci_u32_e32 v31, vcc_lo, 0, v31, vcc_lo
                                        ; implicit-def: $vgpr5
	s_delay_alu instid0(VALU_DEP_3)
	v_cmpx_ne_u32_e32 0, v32
	s_xor_b32 s3, exec_lo, s3
; %bb.111:                              ;   in Loop: Header=BB12_33 Depth=2
	s_delay_alu instid0(VALU_DEP_2) | instskip(SKIP_2) | instid1(VALU_DEP_2)
	v_cmp_lt_u64_e32 vcc_lo, 0xffffff, v[30:31]
	v_add_nc_u32_e32 v5, 7, v8
	v_cndmask_b32_e64 v8, 0, 1, vcc_lo
	v_cndmask_b32_e32 v5, v32, v5, vcc_lo
	s_delay_alu instid0(VALU_DEP_2)
	v_lshrrev_b64 v[30:31], v8, v[30:31]
; %bb.112:                              ;   in Loop: Header=BB12_33 Depth=2
	s_and_not1_saveexec_b32 s3, s3
; %bb.113:                              ;   in Loop: Header=BB12_33 Depth=2
	s_delay_alu instid0(VALU_DEP_1)
	v_bfe_u32 v5, v30, 23, 1
; %bb.114:                              ;   in Loop: Header=BB12_33 Depth=2
	s_or_b32 exec_lo, exec_lo, s3
	s_delay_alu instid0(VALU_DEP_2) | instskip(NEXT) | instid1(VALU_DEP_2)
	v_lshrrev_b64 v[30:31], 20, v[30:31]
	v_cmp_gt_i32_e32 vcc_lo, 16, v5
	v_cmp_ne_u32_e64 s3, 0, v5
	s_delay_alu instid0(VALU_DEP_3) | instskip(NEXT) | instid1(VALU_DEP_1)
	v_dual_cndmask_b32 v33, 0, v31 :: v_dual_cndmask_b32 v32, 7, v30
                                        ; implicit-def: $vgpr30_vgpr31
	v_cmp_ne_u64_e32 vcc_lo, 0, v[32:33]
	s_delay_alu instid0(VALU_DEP_3) | instskip(NEXT) | instid1(SALU_CYCLE_1)
	s_or_b32 s3, s3, vcc_lo
	s_and_saveexec_b32 s56, s3
	s_delay_alu instid0(SALU_CYCLE_1)
	s_xor_b32 s3, exec_lo, s56
; %bb.115:                              ;   in Loop: Header=BB12_33 Depth=2
	v_min_i32_e32 v5, 15, v5
	s_delay_alu instid0(VALU_DEP_1) | instskip(NEXT) | instid1(VALU_DEP_1)
	v_lshl_or_b32 v2, v5, 3, v2
	v_and_or_b32 v30, v32, 7, v2
                                        ; implicit-def: $vgpr2
; %bb.116:                              ;   in Loop: Header=BB12_33 Depth=2
	s_and_not1_saveexec_b32 s3, s3
; %bb.117:                              ;   in Loop: Header=BB12_33 Depth=2
	v_dual_mov_b32 v31, v3 :: v_dual_mov_b32 v30, v2
; %bb.118:                              ;   in Loop: Header=BB12_33 Depth=2
	s_or_b32 exec_lo, exec_lo, s3
.LBB12_119:                             ;   in Loop: Header=BB12_33 Depth=2
	s_delay_alu instid0(SALU_CYCLE_1)
	s_or_b32 exec_lo, exec_lo, s55
.LBB12_120:                             ;   in Loop: Header=BB12_33 Depth=2
	s_and_not1_saveexec_b32 s3, s54
	s_delay_alu instid0(SALU_CYCLE_1)
	s_or_b32 exec_lo, exec_lo, s3
                                        ; implicit-def: $vgpr31
.LBB12_121:                             ;   in Loop: Header=BB12_33 Depth=2
	s_and_not1_saveexec_b32 s3, s53
; %bb.122:                              ;   in Loop: Header=BB12_33 Depth=2
	v_cmp_eq_u64_e32 vcc_lo, 0, v[5:6]
	v_or_b32_e32 v2, 0x7f, v31
	s_delay_alu instid0(VALU_DEP_1)
	v_cndmask_b32_e32 v30, v2, v30, vcc_lo
; %bb.123:                              ;   in Loop: Header=BB12_33 Depth=2
	s_or_b32 exec_lo, exec_lo, s3
	v_and_b32_e32 v2, 0xffff0000, v3
	s_mov_b32 s3, exec_lo
	v_mov_b32_e32 v33, v6
	s_delay_alu instid0(VALU_DEP_2) | instskip(NEXT) | instid1(VALU_DEP_1)
	v_div_scale_f32 v3, null, v48, v48, v2
	v_rcp_f32_e32 v5, v3
	s_waitcnt_depctr 0xfff
	v_fma_f32 v8, -v3, v5, 1.0
	s_delay_alu instid0(VALU_DEP_1) | instskip(SKIP_1) | instid1(VALU_DEP_1)
	v_fmac_f32_e32 v5, v8, v5
	v_div_scale_f32 v8, vcc_lo, v2, v48, v2
	v_mul_f32_e32 v31, v8, v5
	s_delay_alu instid0(VALU_DEP_1) | instskip(NEXT) | instid1(VALU_DEP_1)
	v_fma_f32 v32, -v3, v31, v8
	v_fmac_f32_e32 v31, v32, v5
	s_delay_alu instid0(VALU_DEP_1) | instskip(NEXT) | instid1(VALU_DEP_1)
	v_fma_f32 v3, -v3, v31, v8
	v_div_fmas_f32 v3, v3, v5, v31
	s_delay_alu instid0(VALU_DEP_1) | instskip(NEXT) | instid1(VALU_DEP_1)
	v_div_fixup_f32 v31, v3, v48, v2
	v_lshrrev_b32_e32 v3, 24, v31
	v_and_b32_e32 v32, 0x7f800000, v31
	v_and_b32_e32 v5, 0x7fffff, v31
	s_delay_alu instid0(VALU_DEP_3) | instskip(NEXT) | instid1(VALU_DEP_1)
	v_and_b32_e32 v8, 0x80, v3
	v_or_b32_e32 v2, 0x7e, v8
	s_delay_alu instid0(VALU_DEP_4)
	v_cmpx_ne_u64_e32 0x7f800000, v[32:33]
	s_xor_b32 s53, exec_lo, s3
	s_cbranch_execz .LBB12_139
; %bb.124:                              ;   in Loop: Header=BB12_33 Depth=2
	v_dual_mov_b32 v33, v6 :: v_dual_and_b32 v32, 0x7fffffff, v31
	s_mov_b32 s3, exec_lo
	s_delay_alu instid0(VALU_DEP_1)
	v_cmpx_gt_u64_e32 0x43e00001, v[32:33]
	s_xor_b32 s54, exec_lo, s3
	s_cbranch_execz .LBB12_138
; %bb.125:                              ;   in Loop: Header=BB12_33 Depth=2
	s_mov_b32 s55, exec_lo
	v_mov_b32_e32 v2, 0
	v_mov_b32_e32 v3, 0
	v_cmpx_ne_u32_e32 0, v31
	s_cbranch_execz .LBB12_137
; %bb.126:                              ;   in Loop: Header=BB12_33 Depth=2
	v_bfe_u32 v33, v31, 23, 8
	v_or_b32_e32 v31, 0x800000, v5
	s_delay_alu instid0(VALU_DEP_2) | instskip(SKIP_1) | instid1(VALU_DEP_2)
	v_sub_nc_u32_e32 v2, 0x79, v33
	v_cmp_gt_u32_e32 vcc_lo, 0x7a, v33
	v_cndmask_b32_e32 v2, 0, v2, vcc_lo
	v_cmp_eq_u32_e32 vcc_lo, 0, v33
	v_cndmask_b32_e32 v5, v31, v5, vcc_lo
	s_delay_alu instid0(VALU_DEP_3) | instskip(NEXT) | instid1(VALU_DEP_1)
	v_cndmask_b32_e64 v34, v2, 0x78, vcc_lo
	v_add_nc_u32_e32 v2, 20, v34
	v_add_nc_u32_e32 v31, 19, v34
	s_delay_alu instid0(VALU_DEP_2) | instskip(NEXT) | instid1(VALU_DEP_2)
	v_lshlrev_b64 v[2:3], v2, -1
	v_lshlrev_b64 v[31:32], v31, 1
	s_delay_alu instid0(VALU_DEP_2) | instskip(NEXT) | instid1(VALU_DEP_3)
	v_not_b32_e32 v3, v3
	v_not_b32_e32 v2, v2
	s_delay_alu instid0(VALU_DEP_2) | instskip(NEXT) | instid1(VALU_DEP_2)
	v_and_b32_e32 v52, 0, v3
	v_and_b32_e32 v51, v5, v2
	v_lshrrev_b64 v[2:3], v34, v[5:6]
	s_delay_alu instid0(VALU_DEP_2) | instskip(NEXT) | instid1(VALU_DEP_2)
	v_cmp_eq_u64_e64 s3, v[51:52], v[31:32]
	v_dual_mov_b32 v32, v3 :: v_dual_mov_b32 v31, v2
	s_delay_alu instid0(VALU_DEP_2)
	s_and_saveexec_b32 s56, s3
; %bb.127:                              ;   in Loop: Header=BB12_33 Depth=2
	v_bfe_u32 v5, v2, 20, 1
	s_delay_alu instid0(VALU_DEP_1) | instskip(NEXT) | instid1(VALU_DEP_1)
	v_add_co_u32 v5, s3, v2, v5
	v_add_co_u32 v31, s3, v5, -1
; %bb.128:                              ;   in Loop: Header=BB12_33 Depth=2
	s_or_b32 exec_lo, exec_lo, s56
	v_add_nc_u32_e32 v5, 0xffffff81, v33
	v_lshrrev_b32_e32 v32, 23, v2
	s_mov_b32 s3, exec_lo
	s_delay_alu instid0(VALU_DEP_2) | instskip(NEXT) | instid1(VALU_DEP_1)
	v_cndmask_b32_e64 v5, v5, 0xffffff82, vcc_lo
	v_add3_u32 v32, v34, v5, v32
	v_and_b32_e32 v5, 0xfffff, v31
	s_delay_alu instid0(VALU_DEP_2) | instskip(NEXT) | instid1(VALU_DEP_2)
	v_add_nc_u32_e32 v31, 6, v32
	v_add_co_u32 v2, vcc_lo, v5, v2
	v_add_co_ci_u32_e32 v3, vcc_lo, 0, v3, vcc_lo
                                        ; implicit-def: $vgpr5
	s_delay_alu instid0(VALU_DEP_3)
	v_cmpx_ne_u32_e32 0, v31
	s_xor_b32 s3, exec_lo, s3
; %bb.129:                              ;   in Loop: Header=BB12_33 Depth=2
	s_delay_alu instid0(VALU_DEP_2) | instskip(SKIP_1) | instid1(VALU_DEP_1)
	v_cmp_lt_u64_e32 vcc_lo, 0xffffff, v[2:3]
	v_add_nc_u32_e32 v5, 7, v32
	v_cndmask_b32_e32 v5, v31, v5, vcc_lo
	v_cndmask_b32_e64 v31, 0, 1, vcc_lo
	s_delay_alu instid0(VALU_DEP_1)
	v_lshrrev_b64 v[2:3], v31, v[2:3]
; %bb.130:                              ;   in Loop: Header=BB12_33 Depth=2
	s_and_not1_saveexec_b32 s3, s3
; %bb.131:                              ;   in Loop: Header=BB12_33 Depth=2
	s_delay_alu instid0(VALU_DEP_1)
	v_bfe_u32 v5, v2, 23, 1
; %bb.132:                              ;   in Loop: Header=BB12_33 Depth=2
	s_or_b32 exec_lo, exec_lo, s3
	s_delay_alu instid0(VALU_DEP_2) | instskip(NEXT) | instid1(VALU_DEP_2)
	v_lshrrev_b64 v[2:3], 20, v[2:3]
	v_cmp_gt_i32_e32 vcc_lo, 16, v5
	v_cmp_ne_u32_e64 s3, 0, v5
	s_delay_alu instid0(VALU_DEP_3) | instskip(NEXT) | instid1(VALU_DEP_1)
	v_dual_cndmask_b32 v32, 0, v3 :: v_dual_cndmask_b32 v31, 7, v2
                                        ; implicit-def: $vgpr2_vgpr3
	v_cmp_ne_u64_e32 vcc_lo, 0, v[31:32]
	s_delay_alu instid0(VALU_DEP_3) | instskip(NEXT) | instid1(SALU_CYCLE_1)
	s_or_b32 s3, s3, vcc_lo
	s_and_saveexec_b32 s56, s3
	s_delay_alu instid0(SALU_CYCLE_1)
	s_xor_b32 s3, exec_lo, s56
; %bb.133:                              ;   in Loop: Header=BB12_33 Depth=2
	v_min_i32_e32 v2, 15, v5
	s_delay_alu instid0(VALU_DEP_1) | instskip(NEXT) | instid1(VALU_DEP_1)
	v_lshl_or_b32 v2, v2, 3, v8
                                        ; implicit-def: $vgpr8
	v_and_or_b32 v2, v31, 7, v2
; %bb.134:                              ;   in Loop: Header=BB12_33 Depth=2
	s_and_not1_saveexec_b32 s3, s3
; %bb.135:                              ;   in Loop: Header=BB12_33 Depth=2
	v_dual_mov_b32 v2, v8 :: v_dual_mov_b32 v3, v9
; %bb.136:                              ;   in Loop: Header=BB12_33 Depth=2
	s_or_b32 exec_lo, exec_lo, s3
.LBB12_137:                             ;   in Loop: Header=BB12_33 Depth=2
	s_delay_alu instid0(SALU_CYCLE_1)
	s_or_b32 exec_lo, exec_lo, s55
.LBB12_138:                             ;   in Loop: Header=BB12_33 Depth=2
	s_and_not1_saveexec_b32 s3, s54
	s_delay_alu instid0(SALU_CYCLE_1)
	s_or_b32 exec_lo, exec_lo, s3
                                        ; implicit-def: $vgpr3
.LBB12_139:                             ;   in Loop: Header=BB12_33 Depth=2
	s_and_not1_saveexec_b32 s3, s53
; %bb.140:                              ;   in Loop: Header=BB12_33 Depth=2
	v_cmp_eq_u64_e32 vcc_lo, 0, v[5:6]
	v_or_b32_e32 v3, 0x7f, v3
	s_delay_alu instid0(VALU_DEP_1)
	v_cndmask_b32_e32 v2, v3, v2, vcc_lo
; %bb.141:                              ;   in Loop: Header=BB12_33 Depth=2
	s_or_b32 exec_lo, exec_lo, s3
	v_dual_mov_b32 v34, v6 :: v_dual_lshlrev_b32 v3, 16, v4
	s_mov_b32 s3, exec_lo
	s_delay_alu instid0(VALU_DEP_1) | instskip(NEXT) | instid1(VALU_DEP_1)
	v_div_scale_f32 v5, null, v48, v48, v3
	v_rcp_f32_e32 v8, v5
	s_waitcnt_depctr 0xfff
	v_fma_f32 v31, -v5, v8, 1.0
	s_delay_alu instid0(VALU_DEP_1) | instskip(SKIP_1) | instid1(VALU_DEP_1)
	v_fmac_f32_e32 v8, v31, v8
	v_div_scale_f32 v31, vcc_lo, v3, v48, v3
	v_mul_f32_e32 v32, v31, v8
	s_delay_alu instid0(VALU_DEP_1) | instskip(NEXT) | instid1(VALU_DEP_1)
	v_fma_f32 v33, -v5, v32, v31
	v_fmac_f32_e32 v32, v33, v8
	s_delay_alu instid0(VALU_DEP_1) | instskip(NEXT) | instid1(VALU_DEP_1)
	v_fma_f32 v5, -v5, v32, v31
	v_div_fmas_f32 v5, v5, v8, v32
	s_delay_alu instid0(VALU_DEP_1) | instskip(NEXT) | instid1(VALU_DEP_1)
	v_div_fixup_f32 v8, v5, v48, v3
	v_lshrrev_b32_e32 v32, 24, v8
	v_and_b32_e32 v33, 0x7f800000, v8
	v_and_b32_e32 v5, 0x7fffff, v8
	s_delay_alu instid0(VALU_DEP_3) | instskip(NEXT) | instid1(VALU_DEP_1)
	v_and_b32_e32 v3, 0x80, v32
	v_or_b32_e32 v31, 0x7e, v3
	s_delay_alu instid0(VALU_DEP_4)
	v_cmpx_ne_u64_e32 0x7f800000, v[33:34]
	s_xor_b32 s53, exec_lo, s3
	s_cbranch_execz .LBB12_157
; %bb.142:                              ;   in Loop: Header=BB12_33 Depth=2
	v_dual_mov_b32 v33, v6 :: v_dual_and_b32 v32, 0x7fffffff, v8
	s_mov_b32 s3, exec_lo
	s_delay_alu instid0(VALU_DEP_1)
	v_cmpx_gt_u64_e32 0x43e00001, v[32:33]
	s_xor_b32 s54, exec_lo, s3
	s_cbranch_execz .LBB12_156
; %bb.143:                              ;   in Loop: Header=BB12_33 Depth=2
	s_mov_b32 s55, exec_lo
	v_mov_b32_e32 v31, 0
	v_mov_b32_e32 v32, 0
	v_cmpx_ne_u32_e32 0, v8
	s_cbranch_execz .LBB12_155
; %bb.144:                              ;   in Loop: Header=BB12_33 Depth=2
	v_bfe_u32 v8, v8, 23, 8
	v_or_b32_e32 v33, 0x800000, v5
	s_delay_alu instid0(VALU_DEP_2) | instskip(SKIP_1) | instid1(VALU_DEP_2)
	v_sub_nc_u32_e32 v31, 0x79, v8
	v_cmp_gt_u32_e32 vcc_lo, 0x7a, v8
	v_cndmask_b32_e32 v31, 0, v31, vcc_lo
	v_cmp_eq_u32_e32 vcc_lo, 0, v8
	s_delay_alu instid0(VALU_DEP_2) | instskip(SKIP_1) | instid1(VALU_DEP_2)
	v_cndmask_b32_e64 v51, v31, 0x78, vcc_lo
	v_cndmask_b32_e32 v5, v33, v5, vcc_lo
	v_add_nc_u32_e32 v31, 20, v51
	v_add_nc_u32_e32 v33, 19, v51
	s_delay_alu instid0(VALU_DEP_2) | instskip(NEXT) | instid1(VALU_DEP_2)
	v_lshlrev_b64 v[31:32], v31, -1
	v_lshlrev_b64 v[33:34], v33, 1
	s_delay_alu instid0(VALU_DEP_2) | instskip(NEXT) | instid1(VALU_DEP_3)
	v_not_b32_e32 v32, v32
	v_not_b32_e32 v31, v31
	s_delay_alu instid0(VALU_DEP_2) | instskip(NEXT) | instid1(VALU_DEP_2)
	v_and_b32_e32 v53, 0, v32
	v_and_b32_e32 v52, v5, v31
	v_lshrrev_b64 v[31:32], v51, v[5:6]
	s_delay_alu instid0(VALU_DEP_2) | instskip(NEXT) | instid1(VALU_DEP_2)
	v_cmp_eq_u64_e64 s3, v[52:53], v[33:34]
	v_dual_mov_b32 v34, v32 :: v_dual_mov_b32 v33, v31
	s_delay_alu instid0(VALU_DEP_2)
	s_and_saveexec_b32 s56, s3
; %bb.145:                              ;   in Loop: Header=BB12_33 Depth=2
	v_bfe_u32 v5, v31, 20, 1
	s_delay_alu instid0(VALU_DEP_1) | instskip(NEXT) | instid1(VALU_DEP_1)
	v_add_co_u32 v5, s3, v31, v5
	v_add_co_u32 v33, s3, v5, -1
; %bb.146:                              ;   in Loop: Header=BB12_33 Depth=2
	s_or_b32 exec_lo, exec_lo, s56
	v_add_nc_u32_e32 v5, 0xffffff81, v8
	v_lshrrev_b32_e32 v8, 23, v31
	s_mov_b32 s3, exec_lo
	s_delay_alu instid0(VALU_DEP_2) | instskip(NEXT) | instid1(VALU_DEP_1)
	v_cndmask_b32_e64 v5, v5, 0xffffff82, vcc_lo
	v_add3_u32 v8, v51, v5, v8
	v_and_b32_e32 v5, 0xfffff, v33
	s_delay_alu instid0(VALU_DEP_2) | instskip(NEXT) | instid1(VALU_DEP_2)
	v_add_nc_u32_e32 v33, 6, v8
	v_add_co_u32 v31, vcc_lo, v5, v31
	v_add_co_ci_u32_e32 v32, vcc_lo, 0, v32, vcc_lo
                                        ; implicit-def: $vgpr5
	s_delay_alu instid0(VALU_DEP_3)
	v_cmpx_ne_u32_e32 0, v33
	s_xor_b32 s3, exec_lo, s3
; %bb.147:                              ;   in Loop: Header=BB12_33 Depth=2
	s_delay_alu instid0(VALU_DEP_2) | instskip(SKIP_2) | instid1(VALU_DEP_2)
	v_cmp_lt_u64_e32 vcc_lo, 0xffffff, v[31:32]
	v_add_nc_u32_e32 v5, 7, v8
	v_cndmask_b32_e64 v8, 0, 1, vcc_lo
	v_cndmask_b32_e32 v5, v33, v5, vcc_lo
	s_delay_alu instid0(VALU_DEP_2)
	v_lshrrev_b64 v[31:32], v8, v[31:32]
; %bb.148:                              ;   in Loop: Header=BB12_33 Depth=2
	s_and_not1_saveexec_b32 s3, s3
; %bb.149:                              ;   in Loop: Header=BB12_33 Depth=2
	s_delay_alu instid0(VALU_DEP_1)
	v_bfe_u32 v5, v31, 23, 1
; %bb.150:                              ;   in Loop: Header=BB12_33 Depth=2
	s_or_b32 exec_lo, exec_lo, s3
	s_delay_alu instid0(VALU_DEP_2) | instskip(NEXT) | instid1(VALU_DEP_2)
	v_lshrrev_b64 v[31:32], 20, v[31:32]
	v_cmp_gt_i32_e32 vcc_lo, 16, v5
	v_cmp_ne_u32_e64 s3, 0, v5
	s_delay_alu instid0(VALU_DEP_3) | instskip(NEXT) | instid1(VALU_DEP_1)
	v_dual_cndmask_b32 v34, 0, v32 :: v_dual_cndmask_b32 v33, 7, v31
                                        ; implicit-def: $vgpr31_vgpr32
	v_cmp_ne_u64_e32 vcc_lo, 0, v[33:34]
	s_delay_alu instid0(VALU_DEP_3) | instskip(NEXT) | instid1(SALU_CYCLE_1)
	s_or_b32 s3, s3, vcc_lo
	s_and_saveexec_b32 s56, s3
	s_delay_alu instid0(SALU_CYCLE_1)
	s_xor_b32 s3, exec_lo, s56
; %bb.151:                              ;   in Loop: Header=BB12_33 Depth=2
	v_min_i32_e32 v5, 15, v5
	s_delay_alu instid0(VALU_DEP_1) | instskip(NEXT) | instid1(VALU_DEP_1)
	v_lshl_or_b32 v3, v5, 3, v3
	v_and_or_b32 v31, v33, 7, v3
                                        ; implicit-def: $vgpr3
; %bb.152:                              ;   in Loop: Header=BB12_33 Depth=2
	s_and_not1_saveexec_b32 s3, s3
; %bb.153:                              ;   in Loop: Header=BB12_33 Depth=2
	v_dual_mov_b32 v32, v4 :: v_dual_mov_b32 v31, v3
; %bb.154:                              ;   in Loop: Header=BB12_33 Depth=2
	s_or_b32 exec_lo, exec_lo, s3
.LBB12_155:                             ;   in Loop: Header=BB12_33 Depth=2
	s_delay_alu instid0(SALU_CYCLE_1)
	s_or_b32 exec_lo, exec_lo, s55
.LBB12_156:                             ;   in Loop: Header=BB12_33 Depth=2
	s_and_not1_saveexec_b32 s3, s54
	s_delay_alu instid0(SALU_CYCLE_1)
	s_or_b32 exec_lo, exec_lo, s3
                                        ; implicit-def: $vgpr32
.LBB12_157:                             ;   in Loop: Header=BB12_33 Depth=2
	s_and_not1_saveexec_b32 s3, s53
; %bb.158:                              ;   in Loop: Header=BB12_33 Depth=2
	v_cmp_eq_u64_e32 vcc_lo, 0, v[5:6]
	v_or_b32_e32 v3, 0x7f, v32
	s_delay_alu instid0(VALU_DEP_1)
	v_cndmask_b32_e32 v31, v3, v31, vcc_lo
; %bb.159:                              ;   in Loop: Header=BB12_33 Depth=2
	s_or_b32 exec_lo, exec_lo, s3
	v_and_b32_e32 v3, 0xffff0000, v4
	s_delay_alu instid0(VALU_DEP_1) | instskip(NEXT) | instid1(VALU_DEP_1)
	v_div_scale_f32 v4, null, v48, v48, v3
	v_rcp_f32_e32 v5, v4
	s_waitcnt_depctr 0xfff
	v_fma_f32 v8, -v4, v5, 1.0
	s_delay_alu instid0(VALU_DEP_1) | instskip(SKIP_1) | instid1(VALU_DEP_1)
	v_fmac_f32_e32 v5, v8, v5
	v_div_scale_f32 v8, vcc_lo, v3, v48, v3
	v_mul_f32_e32 v32, v8, v5
	s_delay_alu instid0(VALU_DEP_1) | instskip(NEXT) | instid1(VALU_DEP_1)
	v_fma_f32 v33, -v4, v32, v8
	v_dual_fmac_f32 v32, v33, v5 :: v_dual_mov_b32 v33, v6
	s_delay_alu instid0(VALU_DEP_1) | instskip(NEXT) | instid1(VALU_DEP_1)
	v_fma_f32 v4, -v4, v32, v8
	v_div_fmas_f32 v4, v4, v5, v32
	s_delay_alu instid0(VALU_DEP_1) | instskip(NEXT) | instid1(VALU_DEP_1)
	v_div_fixup_f32 v4, v4, v48, v3
	v_lshrrev_b32_e32 v8, 24, v4
	v_and_b32_e32 v32, 0x7f800000, v4
	v_and_b32_e32 v5, 0x7fffff, v4
	s_delay_alu instid0(VALU_DEP_3) | instskip(NEXT) | instid1(VALU_DEP_3)
	v_and_b32_e32 v3, 0x80, v8
	v_cmp_ne_u64_e32 vcc_lo, 0x7f800000, v[32:33]
	s_delay_alu instid0(VALU_DEP_2) | instskip(SKIP_1) | instid1(SALU_CYCLE_1)
	v_or_b32_e32 v32, 0x7e, v3
	s_and_saveexec_b32 s3, vcc_lo
	s_xor_b32 s53, exec_lo, s3
	s_cbranch_execz .LBB12_175
; %bb.160:                              ;   in Loop: Header=BB12_33 Depth=2
	v_dual_mov_b32 v34, v6 :: v_dual_and_b32 v33, 0x7fffffff, v4
	s_mov_b32 s3, exec_lo
	s_delay_alu instid0(VALU_DEP_1)
	v_cmpx_gt_u64_e32 0x43e00001, v[33:34]
	s_xor_b32 s54, exec_lo, s3
	s_cbranch_execz .LBB12_174
; %bb.161:                              ;   in Loop: Header=BB12_33 Depth=2
	s_mov_b32 s55, exec_lo
	v_mov_b32_e32 v32, 0
	v_mov_b32_e32 v33, 0
	v_cmpx_ne_u32_e32 0, v4
	s_cbranch_execz .LBB12_173
; %bb.162:                              ;   in Loop: Header=BB12_33 Depth=2
	v_bfe_u32 v8, v4, 23, 8
	v_or_b32_e32 v51, 0x800000, v5
	s_delay_alu instid0(VALU_DEP_2) | instskip(SKIP_1) | instid1(VALU_DEP_2)
	v_sub_nc_u32_e32 v4, 0x79, v8
	v_cmp_gt_u32_e32 vcc_lo, 0x7a, v8
	v_cndmask_b32_e32 v4, 0, v4, vcc_lo
	v_cmp_eq_u32_e32 vcc_lo, 0, v8
	v_cndmask_b32_e32 v5, v51, v5, vcc_lo
	s_delay_alu instid0(VALU_DEP_3) | instskip(NEXT) | instid1(VALU_DEP_1)
	v_cndmask_b32_e64 v34, v4, 0x78, vcc_lo
	v_add_nc_u32_e32 v4, 20, v34
	s_delay_alu instid0(VALU_DEP_1) | instskip(SKIP_1) | instid1(VALU_DEP_2)
	v_lshlrev_b64 v[32:33], v4, -1
	v_add_nc_u32_e32 v4, 19, v34
	v_not_b32_e32 v51, v33
	s_delay_alu instid0(VALU_DEP_3) | instskip(NEXT) | instid1(VALU_DEP_3)
	v_not_b32_e32 v53, v32
	v_lshlrev_b64 v[32:33], v4, 1
	s_delay_alu instid0(VALU_DEP_3) | instskip(NEXT) | instid1(VALU_DEP_3)
	v_and_b32_e32 v52, 0, v51
	v_and_b32_e32 v51, v5, v53
	v_lshrrev_b64 v[4:5], v34, v[5:6]
	s_delay_alu instid0(VALU_DEP_2) | instskip(NEXT) | instid1(VALU_DEP_2)
	v_cmp_eq_u64_e64 s3, v[51:52], v[32:33]
	v_dual_mov_b32 v33, v5 :: v_dual_mov_b32 v32, v4
	s_delay_alu instid0(VALU_DEP_2)
	s_and_saveexec_b32 s56, s3
; %bb.163:                              ;   in Loop: Header=BB12_33 Depth=2
	v_bfe_u32 v32, v4, 20, 1
	s_delay_alu instid0(VALU_DEP_1) | instskip(NEXT) | instid1(VALU_DEP_1)
	v_add_co_u32 v32, s3, v4, v32
	v_add_co_u32 v32, s3, v32, -1
; %bb.164:                              ;   in Loop: Header=BB12_33 Depth=2
	s_or_b32 exec_lo, exec_lo, s56
	v_add_nc_u32_e32 v8, 0xffffff81, v8
	v_lshrrev_b32_e32 v33, 23, v4
	s_mov_b32 s3, exec_lo
	s_delay_alu instid0(VALU_DEP_2) | instskip(NEXT) | instid1(VALU_DEP_1)
	v_cndmask_b32_e64 v8, v8, 0xffffff82, vcc_lo
	v_add3_u32 v33, v34, v8, v33
	v_and_b32_e32 v8, 0xfffff, v32
	s_delay_alu instid0(VALU_DEP_2) | instskip(NEXT) | instid1(VALU_DEP_2)
	v_add_nc_u32_e32 v32, 6, v33
	v_add_co_u32 v4, vcc_lo, v8, v4
	v_add_co_ci_u32_e32 v5, vcc_lo, 0, v5, vcc_lo
                                        ; implicit-def: $vgpr8
	s_delay_alu instid0(VALU_DEP_3)
	v_cmpx_ne_u32_e32 0, v32
	s_xor_b32 s3, exec_lo, s3
; %bb.165:                              ;   in Loop: Header=BB12_33 Depth=2
	s_delay_alu instid0(VALU_DEP_2) | instskip(SKIP_1) | instid1(VALU_DEP_1)
	v_cmp_lt_u64_e32 vcc_lo, 0xffffff, v[4:5]
	v_add_nc_u32_e32 v8, 7, v33
	v_cndmask_b32_e32 v8, v32, v8, vcc_lo
	v_cndmask_b32_e64 v32, 0, 1, vcc_lo
	s_delay_alu instid0(VALU_DEP_1)
	v_lshrrev_b64 v[4:5], v32, v[4:5]
; %bb.166:                              ;   in Loop: Header=BB12_33 Depth=2
	s_and_not1_saveexec_b32 s3, s3
; %bb.167:                              ;   in Loop: Header=BB12_33 Depth=2
	s_delay_alu instid0(VALU_DEP_1)
	v_bfe_u32 v8, v4, 23, 1
; %bb.168:                              ;   in Loop: Header=BB12_33 Depth=2
	s_or_b32 exec_lo, exec_lo, s3
	s_delay_alu instid0(VALU_DEP_2) | instskip(NEXT) | instid1(VALU_DEP_2)
	v_lshrrev_b64 v[4:5], 20, v[4:5]
	v_cmp_gt_i32_e32 vcc_lo, 16, v8
	v_cmp_ne_u32_e64 s3, 0, v8
                                        ; implicit-def: $vgpr32_vgpr33
	s_delay_alu instid0(VALU_DEP_3) | instskip(NEXT) | instid1(VALU_DEP_1)
	v_dual_cndmask_b32 v5, 0, v5 :: v_dual_cndmask_b32 v4, 7, v4
	v_cmp_ne_u64_e32 vcc_lo, 0, v[4:5]
	s_delay_alu instid0(VALU_DEP_3) | instskip(NEXT) | instid1(SALU_CYCLE_1)
	s_or_b32 s3, s3, vcc_lo
	s_and_saveexec_b32 s56, s3
	s_delay_alu instid0(SALU_CYCLE_1)
	s_xor_b32 s3, exec_lo, s56
; %bb.169:                              ;   in Loop: Header=BB12_33 Depth=2
	v_min_i32_e32 v5, 15, v8
	s_delay_alu instid0(VALU_DEP_1) | instskip(NEXT) | instid1(VALU_DEP_1)
	v_lshl_or_b32 v3, v5, 3, v3
	v_and_or_b32 v32, v4, 7, v3
                                        ; implicit-def: $vgpr3
; %bb.170:                              ;   in Loop: Header=BB12_33 Depth=2
	s_and_not1_saveexec_b32 s3, s3
; %bb.171:                              ;   in Loop: Header=BB12_33 Depth=2
	v_dual_mov_b32 v33, v4 :: v_dual_mov_b32 v32, v3
; %bb.172:                              ;   in Loop: Header=BB12_33 Depth=2
	s_or_b32 exec_lo, exec_lo, s3
.LBB12_173:                             ;   in Loop: Header=BB12_33 Depth=2
	s_delay_alu instid0(SALU_CYCLE_1)
	s_or_b32 exec_lo, exec_lo, s55
.LBB12_174:                             ;   in Loop: Header=BB12_33 Depth=2
	s_and_not1_saveexec_b32 s3, s54
	s_delay_alu instid0(SALU_CYCLE_1)
	s_or_b32 exec_lo, exec_lo, s3
                                        ; implicit-def: $vgpr8
.LBB12_175:                             ;   in Loop: Header=BB12_33 Depth=2
	s_and_not1_saveexec_b32 s3, s53
	s_cbranch_execz .LBB12_32
; %bb.176:                              ;   in Loop: Header=BB12_33 Depth=2
	v_cmp_eq_u64_e32 vcc_lo, 0, v[5:6]
	v_or_b32_e32 v3, 0x7f, v8
	s_delay_alu instid0(VALU_DEP_1)
	v_cndmask_b32_e32 v32, v3, v32, vcc_lo
	s_branch .LBB12_32
.LBB12_177:                             ;   in Loop: Header=BB12_9 Depth=1
	s_or_b32 exec_lo, exec_lo, s51
	v_lshl_add_u32 v1, v49, 3, v36
	s_mov_b32 s51, exec_lo
	s_delay_alu instid0(VALU_DEP_1)
	v_cmpx_lt_i32_e64 v1, v16
	s_cbranch_execz .LBB12_198
; %bb.178:                              ;   in Loop: Header=BB12_9 Depth=1
	v_ashrrev_i32_e32 v2, 31, v1
	v_add_co_u32 v5, vcc_lo, v21, v13
	v_add_co_ci_u32_e32 v8, vcc_lo, v22, v14, vcc_lo
	s_delay_alu instid0(VALU_DEP_3) | instskip(SKIP_1) | instid1(VALU_DEP_1)
	v_lshlrev_b64 v[3:4], 1, v[1:2]
	s_mov_b32 s52, 0
	v_add_co_u32 v3, vcc_lo, v5, v3
	s_delay_alu instid0(VALU_DEP_2) | instskip(SKIP_2) | instid1(VALU_DEP_4)
	v_add_co_ci_u32_e32 v4, vcc_lo, v8, v4, vcc_lo
	v_add_co_u32 v5, vcc_lo, v19, v1
	v_add_co_ci_u32_e32 v8, vcc_lo, v20, v2, vcc_lo
	v_add_co_u32 v2, vcc_lo, s43, v3
	s_delay_alu instid0(VALU_DEP_4) | instskip(NEXT) | instid1(VALU_DEP_4)
	v_add_co_ci_u32_e32 v3, vcc_lo, s44, v4, vcc_lo
	v_add_co_u32 v19, vcc_lo, v41, v5
	s_delay_alu instid0(VALU_DEP_4)
	v_add_co_ci_u32_e32 v20, vcc_lo, v42, v8, vcc_lo
	s_branch .LBB12_180
.LBB12_179:                             ;   in Loop: Header=BB12_180 Depth=2
	s_or_b32 exec_lo, exec_lo, s3
	v_add_nc_u32_e32 v1, 32, v1
	v_add_co_u32 v2, vcc_lo, v2, 64
	v_add_co_ci_u32_e32 v3, vcc_lo, 0, v3, vcc_lo
	global_store_b8 v[19:20], v21, off
	v_cmp_ge_i32_e32 vcc_lo, v1, v16
	v_add_co_u32 v19, s3, v19, 32
	s_delay_alu instid0(VALU_DEP_1) | instskip(SKIP_1) | instid1(SALU_CYCLE_1)
	v_add_co_ci_u32_e64 v20, s3, 0, v20, s3
	s_or_b32 s52, vcc_lo, s52
	s_and_not1_b32 exec_lo, exec_lo, s52
	s_cbranch_execz .LBB12_198
.LBB12_180:                             ;   Parent Loop BB12_9 Depth=1
                                        ; =>  This Inner Loop Header: Depth=2
	global_load_u16 v4, v[2:3], off
	s_mov_b32 s3, exec_lo
	v_mov_b32_e32 v24, v6
	s_waitcnt vmcnt(0)
	v_lshlrev_b32_e32 v4, 16, v4
	s_delay_alu instid0(VALU_DEP_1) | instskip(NEXT) | instid1(VALU_DEP_1)
	v_div_scale_f32 v5, null, v48, v48, v4
	v_rcp_f32_e32 v8, v5
	s_waitcnt_depctr 0xfff
	v_fma_f32 v21, -v5, v8, 1.0
	s_delay_alu instid0(VALU_DEP_1) | instskip(SKIP_1) | instid1(VALU_DEP_1)
	v_fmac_f32_e32 v8, v21, v8
	v_div_scale_f32 v21, vcc_lo, v4, v48, v4
	v_mul_f32_e32 v22, v21, v8
	s_delay_alu instid0(VALU_DEP_1) | instskip(NEXT) | instid1(VALU_DEP_1)
	v_fma_f32 v23, -v5, v22, v21
	v_fmac_f32_e32 v22, v23, v8
	s_delay_alu instid0(VALU_DEP_1) | instskip(NEXT) | instid1(VALU_DEP_1)
	v_fma_f32 v5, -v5, v22, v21
	v_div_fmas_f32 v5, v5, v8, v22
	s_delay_alu instid0(VALU_DEP_1) | instskip(NEXT) | instid1(VALU_DEP_1)
	v_div_fixup_f32 v4, v5, v48, v4
	v_lshrrev_b32_e32 v22, 24, v4
	v_and_b32_e32 v23, 0x7f800000, v4
	v_and_b32_e32 v5, 0x7fffff, v4
	s_delay_alu instid0(VALU_DEP_3) | instskip(NEXT) | instid1(VALU_DEP_1)
	v_and_b32_e32 v8, 0x80, v22
	v_or_b32_e32 v21, 0x7e, v8
	s_delay_alu instid0(VALU_DEP_4)
	v_cmpx_ne_u64_e32 0x7f800000, v[23:24]
	s_xor_b32 s53, exec_lo, s3
	s_cbranch_execz .LBB12_196
; %bb.181:                              ;   in Loop: Header=BB12_180 Depth=2
	v_dual_mov_b32 v23, v6 :: v_dual_and_b32 v22, 0x7fffffff, v4
	s_mov_b32 s3, exec_lo
	s_delay_alu instid0(VALU_DEP_1)
	v_cmpx_gt_u64_e32 0x43e00001, v[22:23]
	s_xor_b32 s54, exec_lo, s3
	s_cbranch_execz .LBB12_195
; %bb.182:                              ;   in Loop: Header=BB12_180 Depth=2
	v_mov_b32_e32 v21, 0
	s_mov_b32 s55, exec_lo
	v_cmpx_ne_u32_e32 0, v4
	s_cbranch_execz .LBB12_194
; %bb.183:                              ;   in Loop: Header=BB12_180 Depth=2
	v_bfe_u32 v23, v4, 23, 8
	v_or_b32_e32 v25, 0x800000, v5
	s_delay_alu instid0(VALU_DEP_2) | instskip(SKIP_1) | instid1(VALU_DEP_2)
	v_sub_nc_u32_e32 v4, 0x79, v23
	v_cmp_gt_u32_e32 vcc_lo, 0x7a, v23
	v_cndmask_b32_e32 v4, 0, v4, vcc_lo
	v_cmp_eq_u32_e32 vcc_lo, 0, v23
	v_cndmask_b32_e32 v5, v25, v5, vcc_lo
	s_delay_alu instid0(VALU_DEP_3) | instskip(NEXT) | instid1(VALU_DEP_1)
	v_cndmask_b32_e64 v24, v4, 0x78, vcc_lo
	v_add_nc_u32_e32 v4, 20, v24
	s_delay_alu instid0(VALU_DEP_1) | instskip(SKIP_1) | instid1(VALU_DEP_2)
	v_lshlrev_b64 v[21:22], v4, -1
	v_add_nc_u32_e32 v4, 19, v24
	v_not_b32_e32 v25, v22
	s_delay_alu instid0(VALU_DEP_3) | instskip(NEXT) | instid1(VALU_DEP_3)
	v_not_b32_e32 v27, v21
	v_lshlrev_b64 v[21:22], v4, 1
	s_delay_alu instid0(VALU_DEP_3) | instskip(NEXT) | instid1(VALU_DEP_3)
	v_and_b32_e32 v26, 0, v25
	v_and_b32_e32 v25, v5, v27
	v_lshrrev_b64 v[4:5], v24, v[5:6]
	s_delay_alu instid0(VALU_DEP_2) | instskip(NEXT) | instid1(VALU_DEP_2)
	v_cmp_eq_u64_e64 s3, v[25:26], v[21:22]
	v_dual_mov_b32 v22, v5 :: v_dual_mov_b32 v21, v4
	s_delay_alu instid0(VALU_DEP_2)
	s_and_saveexec_b32 s56, s3
; %bb.184:                              ;   in Loop: Header=BB12_180 Depth=2
	v_bfe_u32 v21, v4, 20, 1
	s_delay_alu instid0(VALU_DEP_1) | instskip(NEXT) | instid1(VALU_DEP_1)
	v_add_co_u32 v21, s3, v4, v21
	v_add_co_u32 v21, s3, v21, -1
; %bb.185:                              ;   in Loop: Header=BB12_180 Depth=2
	s_or_b32 exec_lo, exec_lo, s56
	v_add_nc_u32_e32 v22, 0xffffff81, v23
	v_lshrrev_b32_e32 v23, 23, v4
	s_mov_b32 s3, exec_lo
	s_delay_alu instid0(VALU_DEP_2) | instskip(NEXT) | instid1(VALU_DEP_1)
	v_cndmask_b32_e64 v22, v22, 0xffffff82, vcc_lo
	v_add3_u32 v23, v24, v22, v23
	v_and_b32_e32 v22, 0xfffff, v21
	s_delay_alu instid0(VALU_DEP_2) | instskip(NEXT) | instid1(VALU_DEP_2)
	v_add_nc_u32_e32 v21, 6, v23
	v_add_co_u32 v4, vcc_lo, v22, v4
	v_add_co_ci_u32_e32 v5, vcc_lo, 0, v5, vcc_lo
                                        ; implicit-def: $vgpr22
	s_delay_alu instid0(VALU_DEP_3)
	v_cmpx_ne_u32_e32 0, v21
	s_xor_b32 s3, exec_lo, s3
; %bb.186:                              ;   in Loop: Header=BB12_180 Depth=2
	s_delay_alu instid0(VALU_DEP_2) | instskip(SKIP_1) | instid1(VALU_DEP_1)
	v_cmp_lt_u64_e32 vcc_lo, 0xffffff, v[4:5]
	v_add_nc_u32_e32 v22, 7, v23
	v_cndmask_b32_e32 v22, v21, v22, vcc_lo
	v_cndmask_b32_e64 v21, 0, 1, vcc_lo
	s_delay_alu instid0(VALU_DEP_1)
	v_lshrrev_b64 v[4:5], v21, v[4:5]
; %bb.187:                              ;   in Loop: Header=BB12_180 Depth=2
	s_and_not1_saveexec_b32 s3, s3
; %bb.188:                              ;   in Loop: Header=BB12_180 Depth=2
	s_delay_alu instid0(VALU_DEP_1)
	v_bfe_u32 v22, v4, 23, 1
; %bb.189:                              ;   in Loop: Header=BB12_180 Depth=2
	s_or_b32 exec_lo, exec_lo, s3
	s_delay_alu instid0(VALU_DEP_2) | instskip(NEXT) | instid1(VALU_DEP_2)
	v_lshrrev_b64 v[4:5], 20, v[4:5]
	v_cmp_gt_i32_e32 vcc_lo, 16, v22
	v_cmp_ne_u32_e64 s3, 0, v22
                                        ; implicit-def: $vgpr21
	s_delay_alu instid0(VALU_DEP_3) | instskip(NEXT) | instid1(VALU_DEP_1)
	v_dual_cndmask_b32 v5, 0, v5 :: v_dual_cndmask_b32 v4, 7, v4
	v_cmp_ne_u64_e32 vcc_lo, 0, v[4:5]
	s_delay_alu instid0(VALU_DEP_3) | instskip(NEXT) | instid1(SALU_CYCLE_1)
	s_or_b32 s3, s3, vcc_lo
	s_and_saveexec_b32 s56, s3
	s_delay_alu instid0(SALU_CYCLE_1)
	s_xor_b32 s3, exec_lo, s56
; %bb.190:                              ;   in Loop: Header=BB12_180 Depth=2
	v_min_i32_e32 v5, 15, v22
	s_delay_alu instid0(VALU_DEP_1) | instskip(NEXT) | instid1(VALU_DEP_1)
	v_lshl_or_b32 v5, v5, 3, v8
                                        ; implicit-def: $vgpr8
	v_and_or_b32 v21, v4, 7, v5
; %bb.191:                              ;   in Loop: Header=BB12_180 Depth=2
	s_and_not1_saveexec_b32 s3, s3
; %bb.192:                              ;   in Loop: Header=BB12_180 Depth=2
	v_mov_b32_e32 v21, v8
; %bb.193:                              ;   in Loop: Header=BB12_180 Depth=2
	s_or_b32 exec_lo, exec_lo, s3
.LBB12_194:                             ;   in Loop: Header=BB12_180 Depth=2
	s_delay_alu instid0(SALU_CYCLE_1)
	s_or_b32 exec_lo, exec_lo, s55
.LBB12_195:                             ;   in Loop: Header=BB12_180 Depth=2
	s_and_not1_saveexec_b32 s3, s54
	s_delay_alu instid0(SALU_CYCLE_1)
	s_or_b32 exec_lo, exec_lo, s3
                                        ; implicit-def: $vgpr22
.LBB12_196:                             ;   in Loop: Header=BB12_180 Depth=2
	s_and_not1_saveexec_b32 s3, s53
	s_cbranch_execz .LBB12_179
; %bb.197:                              ;   in Loop: Header=BB12_180 Depth=2
	v_cmp_eq_u64_e32 vcc_lo, 0, v[5:6]
	v_or_b32_e32 v4, 0x7f, v22
	s_delay_alu instid0(VALU_DEP_1)
	v_cndmask_b32_e32 v21, v4, v21, vcc_lo
	s_branch .LBB12_179
.LBB12_198:                             ;   in Loop: Header=BB12_9 Depth=1
	s_or_b32 exec_lo, exec_lo, s51
                                        ; implicit-def: $vgpr48
.LBB12_199:                             ;   in Loop: Header=BB12_9 Depth=1
	s_and_not1_saveexec_b32 s50, s50
	s_cbranch_execz .LBB12_348
; %bb.200:                              ;   in Loop: Header=BB12_9 Depth=1
	s_and_saveexec_b32 s51, s2
	s_cbranch_execz .LBB12_347
; %bb.201:                              ;   in Loop: Header=BB12_9 Depth=1
	v_add_co_u32 v19, vcc_lo, v37, v13
	v_add_co_ci_u32_e32 v20, vcc_lo, v38, v14, vcc_lo
	v_dual_mov_b32 v22, v10 :: v_dual_mov_b32 v21, v9
	v_mov_b32_e32 v16, v36
	s_mov_b32 s52, 0
	s_branch .LBB12_203
.LBB12_202:                             ;   in Loop: Header=BB12_203 Depth=2
	s_or_b32 exec_lo, exec_lo, s3
	v_lshlrev_b32_e32 v3, 16, v27
	v_lshlrev_b32_e32 v4, 16, v25
	;; [unrolled: 1-line block ×5, first 2 shown]
	v_and_b32_e32 v3, 0xff0000, v3
	v_perm_b32 v1, v1, v4, 0x4020c0c
	v_and_b32_e32 v4, 0xff, v26
	v_and_b32_e32 v23, 0xff, v23
	;; [unrolled: 1-line block ×3, first 2 shown]
	v_or_b32_e32 v3, v5, v3
	v_and_or_b32 v1, 0xff00, v8, v1
	v_add_nc_u32_e32 v16, 32, v16
	s_delay_alu instid0(VALU_DEP_3) | instskip(NEXT) | instid1(VALU_DEP_3)
	v_or3_b32 v2, v3, v2, v4
	v_or_b32_e32 v1, v1, v23
	s_delay_alu instid0(VALU_DEP_3) | instskip(SKIP_2) | instid1(VALU_DEP_1)
	v_cmp_le_i32_e32 vcc_lo, s40, v16
	global_store_b64 v[21:22], v[1:2], off
	v_add_co_u32 v21, s3, 0x100, v21
	v_add_co_ci_u32_e64 v22, s3, 0, v22, s3
	v_add_co_u32 v19, s3, 0x200, v19
	s_delay_alu instid0(VALU_DEP_1) | instskip(SKIP_1) | instid1(SALU_CYCLE_1)
	v_add_co_ci_u32_e64 v20, s3, 0, v20, s3
	s_or_b32 s52, vcc_lo, s52
	s_and_not1_b32 exec_lo, exec_lo, s52
	s_cbranch_execz .LBB12_347
.LBB12_203:                             ;   Parent Loop BB12_9 Depth=1
                                        ; =>  This Inner Loop Header: Depth=2
	global_load_b128 v[1:4], v[19:20], off
	v_mov_b32_e32 v27, v6
	s_mov_b32 s3, exec_lo
	s_waitcnt vmcnt(0)
	v_lshlrev_b32_e32 v5, 16, v1
	s_delay_alu instid0(VALU_DEP_1) | instskip(NEXT) | instid1(VALU_DEP_1)
	v_div_scale_f32 v8, null, v48, v48, v5
	v_rcp_f32_e32 v23, v8
	s_waitcnt_depctr 0xfff
	v_fma_f32 v24, -v8, v23, 1.0
	s_delay_alu instid0(VALU_DEP_1) | instskip(SKIP_1) | instid1(VALU_DEP_1)
	v_fmac_f32_e32 v23, v24, v23
	v_div_scale_f32 v24, vcc_lo, v5, v48, v5
	v_mul_f32_e32 v25, v24, v23
	s_delay_alu instid0(VALU_DEP_1) | instskip(NEXT) | instid1(VALU_DEP_1)
	v_fma_f32 v26, -v8, v25, v24
	v_fmac_f32_e32 v25, v26, v23
	s_delay_alu instid0(VALU_DEP_1) | instskip(NEXT) | instid1(VALU_DEP_1)
	v_fma_f32 v8, -v8, v25, v24
	v_div_fmas_f32 v8, v8, v23, v25
	s_delay_alu instid0(VALU_DEP_1) | instskip(NEXT) | instid1(VALU_DEP_1)
	v_div_fixup_f32 v25, v8, v48, v5
	v_lshrrev_b32_e32 v24, 24, v25
	v_and_b32_e32 v26, 0x7f800000, v25
	v_and_b32_e32 v5, 0x7fffff, v25
	s_delay_alu instid0(VALU_DEP_3) | instskip(NEXT) | instid1(VALU_DEP_1)
	v_and_b32_e32 v8, 0x80, v24
	v_or_b32_e32 v23, 0x7e, v8
	s_delay_alu instid0(VALU_DEP_4)
	v_cmpx_ne_u64_e32 0x7f800000, v[26:27]
	s_xor_b32 s53, exec_lo, s3
	s_cbranch_execz .LBB12_219
; %bb.204:                              ;   in Loop: Header=BB12_203 Depth=2
	v_dual_mov_b32 v27, v6 :: v_dual_and_b32 v26, 0x7fffffff, v25
	s_mov_b32 s3, exec_lo
	s_delay_alu instid0(VALU_DEP_1)
	v_cmpx_gt_u64_e32 0x43e00001, v[26:27]
	s_xor_b32 s54, exec_lo, s3
	s_cbranch_execz .LBB12_218
; %bb.205:                              ;   in Loop: Header=BB12_203 Depth=2
	s_mov_b32 s55, exec_lo
	v_mov_b32_e32 v23, 0
	v_mov_b32_e32 v24, 0
	v_cmpx_ne_u32_e32 0, v25
	s_cbranch_execz .LBB12_217
; %bb.206:                              ;   in Loop: Header=BB12_203 Depth=2
	v_bfe_u32 v27, v25, 23, 8
	v_or_b32_e32 v25, 0x800000, v5
	s_delay_alu instid0(VALU_DEP_2) | instskip(SKIP_1) | instid1(VALU_DEP_2)
	v_sub_nc_u32_e32 v23, 0x79, v27
	v_cmp_gt_u32_e32 vcc_lo, 0x7a, v27
	v_cndmask_b32_e32 v23, 0, v23, vcc_lo
	v_cmp_eq_u32_e32 vcc_lo, 0, v27
	s_delay_alu instid0(VALU_DEP_2) | instskip(SKIP_1) | instid1(VALU_DEP_2)
	v_cndmask_b32_e64 v28, v23, 0x78, vcc_lo
	v_cndmask_b32_e32 v5, v25, v5, vcc_lo
	v_add_nc_u32_e32 v23, 20, v28
	v_add_nc_u32_e32 v25, 19, v28
	s_delay_alu instid0(VALU_DEP_2) | instskip(NEXT) | instid1(VALU_DEP_2)
	v_lshlrev_b64 v[23:24], v23, -1
	v_lshlrev_b64 v[25:26], v25, 1
	s_delay_alu instid0(VALU_DEP_2) | instskip(NEXT) | instid1(VALU_DEP_3)
	v_not_b32_e32 v24, v24
	v_not_b32_e32 v23, v23
	s_delay_alu instid0(VALU_DEP_2) | instskip(NEXT) | instid1(VALU_DEP_2)
	v_and_b32_e32 v30, 0, v24
	v_and_b32_e32 v29, v5, v23
	v_lshrrev_b64 v[23:24], v28, v[5:6]
	s_delay_alu instid0(VALU_DEP_2) | instskip(NEXT) | instid1(VALU_DEP_2)
	v_cmp_eq_u64_e64 s3, v[29:30], v[25:26]
	v_dual_mov_b32 v26, v24 :: v_dual_mov_b32 v25, v23
	s_delay_alu instid0(VALU_DEP_2)
	s_and_saveexec_b32 s56, s3
; %bb.207:                              ;   in Loop: Header=BB12_203 Depth=2
	v_bfe_u32 v5, v23, 20, 1
	s_delay_alu instid0(VALU_DEP_1) | instskip(NEXT) | instid1(VALU_DEP_1)
	v_add_co_u32 v5, s3, v23, v5
	v_add_co_u32 v25, s3, v5, -1
; %bb.208:                              ;   in Loop: Header=BB12_203 Depth=2
	s_or_b32 exec_lo, exec_lo, s56
	v_add_nc_u32_e32 v5, 0xffffff81, v27
	v_lshrrev_b32_e32 v26, 23, v23
	s_mov_b32 s3, exec_lo
	s_delay_alu instid0(VALU_DEP_2) | instskip(NEXT) | instid1(VALU_DEP_1)
	v_cndmask_b32_e64 v5, v5, 0xffffff82, vcc_lo
	v_add3_u32 v26, v28, v5, v26
	v_and_b32_e32 v5, 0xfffff, v25
	s_delay_alu instid0(VALU_DEP_2) | instskip(NEXT) | instid1(VALU_DEP_2)
	v_add_nc_u32_e32 v25, 6, v26
	v_add_co_u32 v23, vcc_lo, v5, v23
	v_add_co_ci_u32_e32 v24, vcc_lo, 0, v24, vcc_lo
                                        ; implicit-def: $vgpr5
	s_delay_alu instid0(VALU_DEP_3)
	v_cmpx_ne_u32_e32 0, v25
	s_xor_b32 s3, exec_lo, s3
; %bb.209:                              ;   in Loop: Header=BB12_203 Depth=2
	s_delay_alu instid0(VALU_DEP_2) | instskip(SKIP_1) | instid1(VALU_DEP_1)
	v_cmp_lt_u64_e32 vcc_lo, 0xffffff, v[23:24]
	v_add_nc_u32_e32 v5, 7, v26
	v_cndmask_b32_e32 v5, v25, v5, vcc_lo
	v_cndmask_b32_e64 v25, 0, 1, vcc_lo
	s_delay_alu instid0(VALU_DEP_1)
	v_lshrrev_b64 v[23:24], v25, v[23:24]
; %bb.210:                              ;   in Loop: Header=BB12_203 Depth=2
	s_and_not1_saveexec_b32 s3, s3
; %bb.211:                              ;   in Loop: Header=BB12_203 Depth=2
	s_delay_alu instid0(VALU_DEP_1)
	v_bfe_u32 v5, v23, 23, 1
; %bb.212:                              ;   in Loop: Header=BB12_203 Depth=2
	s_or_b32 exec_lo, exec_lo, s3
	s_delay_alu instid0(VALU_DEP_2) | instskip(NEXT) | instid1(VALU_DEP_2)
	v_lshrrev_b64 v[23:24], 20, v[23:24]
	v_cmp_gt_i32_e32 vcc_lo, 16, v5
	v_cmp_ne_u32_e64 s3, 0, v5
	s_delay_alu instid0(VALU_DEP_3) | instskip(NEXT) | instid1(VALU_DEP_1)
	v_dual_cndmask_b32 v26, 0, v24 :: v_dual_cndmask_b32 v25, 7, v23
                                        ; implicit-def: $vgpr23_vgpr24
	v_cmp_ne_u64_e32 vcc_lo, 0, v[25:26]
	s_delay_alu instid0(VALU_DEP_3) | instskip(NEXT) | instid1(SALU_CYCLE_1)
	s_or_b32 s3, s3, vcc_lo
	s_and_saveexec_b32 s56, s3
	s_delay_alu instid0(SALU_CYCLE_1)
	s_xor_b32 s3, exec_lo, s56
; %bb.213:                              ;   in Loop: Header=BB12_203 Depth=2
	v_min_i32_e32 v5, 15, v5
	s_delay_alu instid0(VALU_DEP_1) | instskip(NEXT) | instid1(VALU_DEP_1)
	v_lshl_or_b32 v5, v5, 3, v8
                                        ; implicit-def: $vgpr8
	v_and_or_b32 v23, v25, 7, v5
; %bb.214:                              ;   in Loop: Header=BB12_203 Depth=2
	s_and_not1_saveexec_b32 s3, s3
; %bb.215:                              ;   in Loop: Header=BB12_203 Depth=2
	v_dual_mov_b32 v24, v9 :: v_dual_mov_b32 v23, v8
; %bb.216:                              ;   in Loop: Header=BB12_203 Depth=2
	s_or_b32 exec_lo, exec_lo, s3
.LBB12_217:                             ;   in Loop: Header=BB12_203 Depth=2
	s_delay_alu instid0(SALU_CYCLE_1)
	s_or_b32 exec_lo, exec_lo, s55
.LBB12_218:                             ;   in Loop: Header=BB12_203 Depth=2
	s_and_not1_saveexec_b32 s3, s54
	s_delay_alu instid0(SALU_CYCLE_1)
	s_or_b32 exec_lo, exec_lo, s3
                                        ; implicit-def: $vgpr24
.LBB12_219:                             ;   in Loop: Header=BB12_203 Depth=2
	s_and_not1_saveexec_b32 s3, s53
; %bb.220:                              ;   in Loop: Header=BB12_203 Depth=2
	v_cmp_eq_u64_e32 vcc_lo, 0, v[5:6]
	v_or_b32_e32 v8, 0x7f, v24
	s_delay_alu instid0(VALU_DEP_1)
	v_cndmask_b32_e32 v23, v8, v23, vcc_lo
; %bb.221:                              ;   in Loop: Header=BB12_203 Depth=2
	s_or_b32 exec_lo, exec_lo, s3
	v_and_b32_e32 v1, 0xffff0000, v1
	s_mov_b32 s3, exec_lo
	v_mov_b32_e32 v27, v6
	s_delay_alu instid0(VALU_DEP_2) | instskip(NEXT) | instid1(VALU_DEP_1)
	v_div_scale_f32 v5, null, v48, v48, v1
	v_rcp_f32_e32 v8, v5
	s_waitcnt_depctr 0xfff
	v_fma_f32 v24, -v5, v8, 1.0
	s_delay_alu instid0(VALU_DEP_1) | instskip(SKIP_1) | instid1(VALU_DEP_1)
	v_fmac_f32_e32 v8, v24, v8
	v_div_scale_f32 v24, vcc_lo, v1, v48, v1
	v_mul_f32_e32 v25, v24, v8
	s_delay_alu instid0(VALU_DEP_1) | instskip(NEXT) | instid1(VALU_DEP_1)
	v_fma_f32 v26, -v5, v25, v24
	v_fmac_f32_e32 v25, v26, v8
	s_delay_alu instid0(VALU_DEP_1) | instskip(NEXT) | instid1(VALU_DEP_1)
	v_fma_f32 v5, -v5, v25, v24
	v_div_fmas_f32 v5, v5, v8, v25
	s_delay_alu instid0(VALU_DEP_1) | instskip(NEXT) | instid1(VALU_DEP_1)
	v_div_fixup_f32 v8, v5, v48, v1
	v_lshrrev_b32_e32 v25, 24, v8
	v_and_b32_e32 v26, 0x7f800000, v8
	v_and_b32_e32 v5, 0x7fffff, v8
	s_delay_alu instid0(VALU_DEP_3) | instskip(NEXT) | instid1(VALU_DEP_1)
	v_and_b32_e32 v1, 0x80, v25
	v_or_b32_e32 v24, 0x7e, v1
	s_delay_alu instid0(VALU_DEP_4)
	v_cmpx_ne_u64_e32 0x7f800000, v[26:27]
	s_xor_b32 s53, exec_lo, s3
	s_cbranch_execz .LBB12_237
; %bb.222:                              ;   in Loop: Header=BB12_203 Depth=2
	v_dual_mov_b32 v26, v6 :: v_dual_and_b32 v25, 0x7fffffff, v8
	s_mov_b32 s3, exec_lo
	s_delay_alu instid0(VALU_DEP_1)
	v_cmpx_gt_u64_e32 0x43e00001, v[25:26]
	s_xor_b32 s54, exec_lo, s3
	s_cbranch_execz .LBB12_236
; %bb.223:                              ;   in Loop: Header=BB12_203 Depth=2
	s_mov_b32 s55, exec_lo
	v_mov_b32_e32 v24, 0
	v_mov_b32_e32 v25, 0
	v_cmpx_ne_u32_e32 0, v8
	s_cbranch_execz .LBB12_235
; %bb.224:                              ;   in Loop: Header=BB12_203 Depth=2
	v_bfe_u32 v8, v8, 23, 8
	v_or_b32_e32 v26, 0x800000, v5
	s_delay_alu instid0(VALU_DEP_2) | instskip(SKIP_1) | instid1(VALU_DEP_2)
	v_sub_nc_u32_e32 v24, 0x79, v8
	v_cmp_gt_u32_e32 vcc_lo, 0x7a, v8
	v_cndmask_b32_e32 v24, 0, v24, vcc_lo
	v_cmp_eq_u32_e32 vcc_lo, 0, v8
	v_cndmask_b32_e32 v5, v26, v5, vcc_lo
	s_delay_alu instid0(VALU_DEP_3) | instskip(NEXT) | instid1(VALU_DEP_1)
	v_cndmask_b32_e64 v28, v24, 0x78, vcc_lo
	v_add_nc_u32_e32 v24, 20, v28
	v_add_nc_u32_e32 v26, 19, v28
	s_delay_alu instid0(VALU_DEP_2) | instskip(NEXT) | instid1(VALU_DEP_2)
	v_lshlrev_b64 v[24:25], v24, -1
	v_lshlrev_b64 v[26:27], v26, 1
	s_delay_alu instid0(VALU_DEP_2) | instskip(NEXT) | instid1(VALU_DEP_3)
	v_not_b32_e32 v25, v25
	v_not_b32_e32 v24, v24
	s_delay_alu instid0(VALU_DEP_2) | instskip(NEXT) | instid1(VALU_DEP_2)
	v_and_b32_e32 v30, 0, v25
	v_and_b32_e32 v29, v5, v24
	v_lshrrev_b64 v[24:25], v28, v[5:6]
	s_delay_alu instid0(VALU_DEP_2) | instskip(NEXT) | instid1(VALU_DEP_2)
	v_cmp_eq_u64_e64 s3, v[29:30], v[26:27]
	v_dual_mov_b32 v27, v25 :: v_dual_mov_b32 v26, v24
	s_delay_alu instid0(VALU_DEP_2)
	s_and_saveexec_b32 s56, s3
; %bb.225:                              ;   in Loop: Header=BB12_203 Depth=2
	v_bfe_u32 v5, v24, 20, 1
	s_delay_alu instid0(VALU_DEP_1) | instskip(NEXT) | instid1(VALU_DEP_1)
	v_add_co_u32 v5, s3, v24, v5
	v_add_co_u32 v26, s3, v5, -1
; %bb.226:                              ;   in Loop: Header=BB12_203 Depth=2
	s_or_b32 exec_lo, exec_lo, s56
	v_add_nc_u32_e32 v5, 0xffffff81, v8
	v_lshrrev_b32_e32 v8, 23, v24
	s_mov_b32 s3, exec_lo
	s_delay_alu instid0(VALU_DEP_2) | instskip(NEXT) | instid1(VALU_DEP_1)
	v_cndmask_b32_e64 v5, v5, 0xffffff82, vcc_lo
	v_add3_u32 v8, v28, v5, v8
	v_and_b32_e32 v5, 0xfffff, v26
	s_delay_alu instid0(VALU_DEP_2) | instskip(NEXT) | instid1(VALU_DEP_2)
	v_add_nc_u32_e32 v26, 6, v8
	v_add_co_u32 v24, vcc_lo, v5, v24
	v_add_co_ci_u32_e32 v25, vcc_lo, 0, v25, vcc_lo
                                        ; implicit-def: $vgpr5
	s_delay_alu instid0(VALU_DEP_3)
	v_cmpx_ne_u32_e32 0, v26
	s_xor_b32 s3, exec_lo, s3
; %bb.227:                              ;   in Loop: Header=BB12_203 Depth=2
	s_delay_alu instid0(VALU_DEP_2) | instskip(SKIP_2) | instid1(VALU_DEP_2)
	v_cmp_lt_u64_e32 vcc_lo, 0xffffff, v[24:25]
	v_add_nc_u32_e32 v5, 7, v8
	v_cndmask_b32_e64 v8, 0, 1, vcc_lo
	v_cndmask_b32_e32 v5, v26, v5, vcc_lo
	s_delay_alu instid0(VALU_DEP_2)
	v_lshrrev_b64 v[24:25], v8, v[24:25]
; %bb.228:                              ;   in Loop: Header=BB12_203 Depth=2
	s_and_not1_saveexec_b32 s3, s3
; %bb.229:                              ;   in Loop: Header=BB12_203 Depth=2
	s_delay_alu instid0(VALU_DEP_1)
	v_bfe_u32 v5, v24, 23, 1
; %bb.230:                              ;   in Loop: Header=BB12_203 Depth=2
	s_or_b32 exec_lo, exec_lo, s3
	s_delay_alu instid0(VALU_DEP_2) | instskip(NEXT) | instid1(VALU_DEP_2)
	v_lshrrev_b64 v[24:25], 20, v[24:25]
	v_cmp_gt_i32_e32 vcc_lo, 16, v5
	v_cmp_ne_u32_e64 s3, 0, v5
	s_delay_alu instid0(VALU_DEP_3) | instskip(NEXT) | instid1(VALU_DEP_1)
	v_dual_cndmask_b32 v27, 0, v25 :: v_dual_cndmask_b32 v26, 7, v24
                                        ; implicit-def: $vgpr24_vgpr25
	v_cmp_ne_u64_e32 vcc_lo, 0, v[26:27]
	s_delay_alu instid0(VALU_DEP_3) | instskip(NEXT) | instid1(SALU_CYCLE_1)
	s_or_b32 s3, s3, vcc_lo
	s_and_saveexec_b32 s56, s3
	s_delay_alu instid0(SALU_CYCLE_1)
	s_xor_b32 s3, exec_lo, s56
; %bb.231:                              ;   in Loop: Header=BB12_203 Depth=2
	v_min_i32_e32 v5, 15, v5
	s_delay_alu instid0(VALU_DEP_1) | instskip(NEXT) | instid1(VALU_DEP_1)
	v_lshl_or_b32 v1, v5, 3, v1
	v_and_or_b32 v24, v26, 7, v1
                                        ; implicit-def: $vgpr1
; %bb.232:                              ;   in Loop: Header=BB12_203 Depth=2
	s_and_not1_saveexec_b32 s3, s3
; %bb.233:                              ;   in Loop: Header=BB12_203 Depth=2
	v_dual_mov_b32 v25, v2 :: v_dual_mov_b32 v24, v1
; %bb.234:                              ;   in Loop: Header=BB12_203 Depth=2
	s_or_b32 exec_lo, exec_lo, s3
.LBB12_235:                             ;   in Loop: Header=BB12_203 Depth=2
	s_delay_alu instid0(SALU_CYCLE_1)
	s_or_b32 exec_lo, exec_lo, s55
.LBB12_236:                             ;   in Loop: Header=BB12_203 Depth=2
	s_and_not1_saveexec_b32 s3, s54
	s_delay_alu instid0(SALU_CYCLE_1)
	s_or_b32 exec_lo, exec_lo, s3
                                        ; implicit-def: $vgpr25
.LBB12_237:                             ;   in Loop: Header=BB12_203 Depth=2
	s_and_not1_saveexec_b32 s3, s53
; %bb.238:                              ;   in Loop: Header=BB12_203 Depth=2
	v_cmp_eq_u64_e32 vcc_lo, 0, v[5:6]
	v_or_b32_e32 v1, 0x7f, v25
	s_delay_alu instid0(VALU_DEP_1)
	v_cndmask_b32_e32 v24, v1, v24, vcc_lo
; %bb.239:                              ;   in Loop: Header=BB12_203 Depth=2
	s_or_b32 exec_lo, exec_lo, s3
	v_lshlrev_b32_e32 v1, 16, v2
	s_mov_b32 s3, exec_lo
	v_mov_b32_e32 v28, v6
	s_delay_alu instid0(VALU_DEP_2) | instskip(NEXT) | instid1(VALU_DEP_1)
	v_div_scale_f32 v5, null, v48, v48, v1
	v_rcp_f32_e32 v8, v5
	s_waitcnt_depctr 0xfff
	v_fma_f32 v25, -v5, v8, 1.0
	s_delay_alu instid0(VALU_DEP_1) | instskip(SKIP_1) | instid1(VALU_DEP_1)
	v_fmac_f32_e32 v8, v25, v8
	v_div_scale_f32 v25, vcc_lo, v1, v48, v1
	v_mul_f32_e32 v26, v25, v8
	s_delay_alu instid0(VALU_DEP_1) | instskip(NEXT) | instid1(VALU_DEP_1)
	v_fma_f32 v27, -v5, v26, v25
	v_fmac_f32_e32 v26, v27, v8
	s_delay_alu instid0(VALU_DEP_1) | instskip(NEXT) | instid1(VALU_DEP_1)
	v_fma_f32 v5, -v5, v26, v25
	v_div_fmas_f32 v5, v5, v8, v26
	s_delay_alu instid0(VALU_DEP_1) | instskip(NEXT) | instid1(VALU_DEP_1)
	v_div_fixup_f32 v8, v5, v48, v1
	v_lshrrev_b32_e32 v26, 24, v8
	v_and_b32_e32 v27, 0x7f800000, v8
	v_and_b32_e32 v5, 0x7fffff, v8
	s_delay_alu instid0(VALU_DEP_3) | instskip(NEXT) | instid1(VALU_DEP_1)
	v_and_b32_e32 v1, 0x80, v26
	v_or_b32_e32 v25, 0x7e, v1
	s_delay_alu instid0(VALU_DEP_4)
	v_cmpx_ne_u64_e32 0x7f800000, v[27:28]
	s_xor_b32 s53, exec_lo, s3
	s_cbranch_execz .LBB12_255
; %bb.240:                              ;   in Loop: Header=BB12_203 Depth=2
	v_dual_mov_b32 v27, v6 :: v_dual_and_b32 v26, 0x7fffffff, v8
	s_mov_b32 s3, exec_lo
	s_delay_alu instid0(VALU_DEP_1)
	v_cmpx_gt_u64_e32 0x43e00001, v[26:27]
	s_xor_b32 s54, exec_lo, s3
	s_cbranch_execz .LBB12_254
; %bb.241:                              ;   in Loop: Header=BB12_203 Depth=2
	s_mov_b32 s55, exec_lo
	v_mov_b32_e32 v25, 0
	v_mov_b32_e32 v26, 0
	v_cmpx_ne_u32_e32 0, v8
	s_cbranch_execz .LBB12_253
; %bb.242:                              ;   in Loop: Header=BB12_203 Depth=2
	v_bfe_u32 v8, v8, 23, 8
	v_or_b32_e32 v27, 0x800000, v5
	s_delay_alu instid0(VALU_DEP_2) | instskip(SKIP_1) | instid1(VALU_DEP_2)
	v_sub_nc_u32_e32 v25, 0x79, v8
	v_cmp_gt_u32_e32 vcc_lo, 0x7a, v8
	v_cndmask_b32_e32 v25, 0, v25, vcc_lo
	v_cmp_eq_u32_e32 vcc_lo, 0, v8
	s_delay_alu instid0(VALU_DEP_2) | instskip(SKIP_1) | instid1(VALU_DEP_2)
	v_cndmask_b32_e64 v29, v25, 0x78, vcc_lo
	v_cndmask_b32_e32 v5, v27, v5, vcc_lo
	v_add_nc_u32_e32 v25, 20, v29
	v_add_nc_u32_e32 v27, 19, v29
	s_delay_alu instid0(VALU_DEP_2) | instskip(NEXT) | instid1(VALU_DEP_2)
	v_lshlrev_b64 v[25:26], v25, -1
	v_lshlrev_b64 v[27:28], v27, 1
	s_delay_alu instid0(VALU_DEP_2) | instskip(NEXT) | instid1(VALU_DEP_3)
	v_not_b32_e32 v26, v26
	v_not_b32_e32 v25, v25
	s_delay_alu instid0(VALU_DEP_2) | instskip(NEXT) | instid1(VALU_DEP_2)
	v_and_b32_e32 v31, 0, v26
	v_and_b32_e32 v30, v5, v25
	v_lshrrev_b64 v[25:26], v29, v[5:6]
	s_delay_alu instid0(VALU_DEP_2) | instskip(NEXT) | instid1(VALU_DEP_2)
	v_cmp_eq_u64_e64 s3, v[30:31], v[27:28]
	v_dual_mov_b32 v28, v26 :: v_dual_mov_b32 v27, v25
	s_delay_alu instid0(VALU_DEP_2)
	s_and_saveexec_b32 s56, s3
; %bb.243:                              ;   in Loop: Header=BB12_203 Depth=2
	v_bfe_u32 v5, v25, 20, 1
	s_delay_alu instid0(VALU_DEP_1) | instskip(NEXT) | instid1(VALU_DEP_1)
	v_add_co_u32 v5, s3, v25, v5
	v_add_co_u32 v27, s3, v5, -1
; %bb.244:                              ;   in Loop: Header=BB12_203 Depth=2
	s_or_b32 exec_lo, exec_lo, s56
	v_add_nc_u32_e32 v5, 0xffffff81, v8
	v_lshrrev_b32_e32 v8, 23, v25
	s_mov_b32 s3, exec_lo
	s_delay_alu instid0(VALU_DEP_2) | instskip(NEXT) | instid1(VALU_DEP_1)
	v_cndmask_b32_e64 v5, v5, 0xffffff82, vcc_lo
	v_add3_u32 v8, v29, v5, v8
	v_and_b32_e32 v5, 0xfffff, v27
	s_delay_alu instid0(VALU_DEP_2) | instskip(NEXT) | instid1(VALU_DEP_2)
	v_add_nc_u32_e32 v27, 6, v8
	v_add_co_u32 v25, vcc_lo, v5, v25
	v_add_co_ci_u32_e32 v26, vcc_lo, 0, v26, vcc_lo
                                        ; implicit-def: $vgpr5
	s_delay_alu instid0(VALU_DEP_3)
	v_cmpx_ne_u32_e32 0, v27
	s_xor_b32 s3, exec_lo, s3
; %bb.245:                              ;   in Loop: Header=BB12_203 Depth=2
	s_delay_alu instid0(VALU_DEP_2) | instskip(SKIP_2) | instid1(VALU_DEP_2)
	v_cmp_lt_u64_e32 vcc_lo, 0xffffff, v[25:26]
	v_add_nc_u32_e32 v5, 7, v8
	v_cndmask_b32_e64 v8, 0, 1, vcc_lo
	v_cndmask_b32_e32 v5, v27, v5, vcc_lo
	s_delay_alu instid0(VALU_DEP_2)
	v_lshrrev_b64 v[25:26], v8, v[25:26]
; %bb.246:                              ;   in Loop: Header=BB12_203 Depth=2
	s_and_not1_saveexec_b32 s3, s3
; %bb.247:                              ;   in Loop: Header=BB12_203 Depth=2
	s_delay_alu instid0(VALU_DEP_1)
	v_bfe_u32 v5, v25, 23, 1
; %bb.248:                              ;   in Loop: Header=BB12_203 Depth=2
	s_or_b32 exec_lo, exec_lo, s3
	s_delay_alu instid0(VALU_DEP_2) | instskip(NEXT) | instid1(VALU_DEP_2)
	v_lshrrev_b64 v[25:26], 20, v[25:26]
	v_cmp_gt_i32_e32 vcc_lo, 16, v5
	v_cmp_ne_u32_e64 s3, 0, v5
	s_delay_alu instid0(VALU_DEP_3) | instskip(NEXT) | instid1(VALU_DEP_1)
	v_dual_cndmask_b32 v28, 0, v26 :: v_dual_cndmask_b32 v27, 7, v25
                                        ; implicit-def: $vgpr25_vgpr26
	v_cmp_ne_u64_e32 vcc_lo, 0, v[27:28]
	s_delay_alu instid0(VALU_DEP_3) | instskip(NEXT) | instid1(SALU_CYCLE_1)
	s_or_b32 s3, s3, vcc_lo
	s_and_saveexec_b32 s56, s3
	s_delay_alu instid0(SALU_CYCLE_1)
	s_xor_b32 s3, exec_lo, s56
; %bb.249:                              ;   in Loop: Header=BB12_203 Depth=2
	v_min_i32_e32 v5, 15, v5
	s_delay_alu instid0(VALU_DEP_1) | instskip(NEXT) | instid1(VALU_DEP_1)
	v_lshl_or_b32 v1, v5, 3, v1
	v_and_or_b32 v25, v27, 7, v1
                                        ; implicit-def: $vgpr1
; %bb.250:                              ;   in Loop: Header=BB12_203 Depth=2
	s_and_not1_saveexec_b32 s3, s3
; %bb.251:                              ;   in Loop: Header=BB12_203 Depth=2
	v_dual_mov_b32 v26, v2 :: v_dual_mov_b32 v25, v1
; %bb.252:                              ;   in Loop: Header=BB12_203 Depth=2
	s_or_b32 exec_lo, exec_lo, s3
.LBB12_253:                             ;   in Loop: Header=BB12_203 Depth=2
	s_delay_alu instid0(SALU_CYCLE_1)
	s_or_b32 exec_lo, exec_lo, s55
.LBB12_254:                             ;   in Loop: Header=BB12_203 Depth=2
	s_and_not1_saveexec_b32 s3, s54
	s_delay_alu instid0(SALU_CYCLE_1)
	s_or_b32 exec_lo, exec_lo, s3
                                        ; implicit-def: $vgpr26
.LBB12_255:                             ;   in Loop: Header=BB12_203 Depth=2
	s_and_not1_saveexec_b32 s3, s53
; %bb.256:                              ;   in Loop: Header=BB12_203 Depth=2
	v_cmp_eq_u64_e32 vcc_lo, 0, v[5:6]
	v_or_b32_e32 v1, 0x7f, v26
	s_delay_alu instid0(VALU_DEP_1)
	v_cndmask_b32_e32 v25, v1, v25, vcc_lo
; %bb.257:                              ;   in Loop: Header=BB12_203 Depth=2
	s_or_b32 exec_lo, exec_lo, s3
	v_and_b32_e32 v1, 0xffff0000, v2
	s_mov_b32 s3, exec_lo
	v_mov_b32_e32 v28, v6
	s_delay_alu instid0(VALU_DEP_2) | instskip(NEXT) | instid1(VALU_DEP_1)
	v_div_scale_f32 v2, null, v48, v48, v1
	v_rcp_f32_e32 v5, v2
	s_waitcnt_depctr 0xfff
	v_fma_f32 v8, -v2, v5, 1.0
	s_delay_alu instid0(VALU_DEP_1) | instskip(SKIP_1) | instid1(VALU_DEP_1)
	v_fmac_f32_e32 v5, v8, v5
	v_div_scale_f32 v8, vcc_lo, v1, v48, v1
	v_mul_f32_e32 v26, v8, v5
	s_delay_alu instid0(VALU_DEP_1) | instskip(NEXT) | instid1(VALU_DEP_1)
	v_fma_f32 v27, -v2, v26, v8
	v_fmac_f32_e32 v26, v27, v5
	s_delay_alu instid0(VALU_DEP_1) | instskip(NEXT) | instid1(VALU_DEP_1)
	v_fma_f32 v2, -v2, v26, v8
	v_div_fmas_f32 v2, v2, v5, v26
	s_delay_alu instid0(VALU_DEP_1) | instskip(NEXT) | instid1(VALU_DEP_1)
	v_div_fixup_f32 v26, v2, v48, v1
	v_lshrrev_b32_e32 v2, 24, v26
	v_and_b32_e32 v27, 0x7f800000, v26
	v_and_b32_e32 v5, 0x7fffff, v26
	s_delay_alu instid0(VALU_DEP_3) | instskip(NEXT) | instid1(VALU_DEP_1)
	v_and_b32_e32 v8, 0x80, v2
	v_or_b32_e32 v1, 0x7e, v8
	s_delay_alu instid0(VALU_DEP_4)
	v_cmpx_ne_u64_e32 0x7f800000, v[27:28]
	s_xor_b32 s53, exec_lo, s3
	s_cbranch_execz .LBB12_273
; %bb.258:                              ;   in Loop: Header=BB12_203 Depth=2
	v_dual_mov_b32 v28, v6 :: v_dual_and_b32 v27, 0x7fffffff, v26
	s_mov_b32 s3, exec_lo
	s_delay_alu instid0(VALU_DEP_1)
	v_cmpx_gt_u64_e32 0x43e00001, v[27:28]
	s_xor_b32 s54, exec_lo, s3
	s_cbranch_execz .LBB12_272
; %bb.259:                              ;   in Loop: Header=BB12_203 Depth=2
	s_mov_b32 s55, exec_lo
	v_mov_b32_e32 v1, 0
	v_mov_b32_e32 v2, 0
	v_cmpx_ne_u32_e32 0, v26
	s_cbranch_execz .LBB12_271
; %bb.260:                              ;   in Loop: Header=BB12_203 Depth=2
	v_bfe_u32 v28, v26, 23, 8
	v_or_b32_e32 v26, 0x800000, v5
	s_delay_alu instid0(VALU_DEP_2) | instskip(SKIP_1) | instid1(VALU_DEP_2)
	v_sub_nc_u32_e32 v1, 0x79, v28
	v_cmp_gt_u32_e32 vcc_lo, 0x7a, v28
	v_cndmask_b32_e32 v1, 0, v1, vcc_lo
	v_cmp_eq_u32_e32 vcc_lo, 0, v28
	s_delay_alu instid0(VALU_DEP_2) | instskip(SKIP_1) | instid1(VALU_DEP_2)
	v_cndmask_b32_e64 v29, v1, 0x78, vcc_lo
	v_cndmask_b32_e32 v5, v26, v5, vcc_lo
	v_add_nc_u32_e32 v1, 20, v29
	v_add_nc_u32_e32 v26, 19, v29
	s_delay_alu instid0(VALU_DEP_2) | instskip(NEXT) | instid1(VALU_DEP_2)
	v_lshlrev_b64 v[1:2], v1, -1
	v_lshlrev_b64 v[26:27], v26, 1
	s_delay_alu instid0(VALU_DEP_2) | instskip(NEXT) | instid1(VALU_DEP_3)
	v_not_b32_e32 v2, v2
	v_not_b32_e32 v1, v1
	s_delay_alu instid0(VALU_DEP_2) | instskip(NEXT) | instid1(VALU_DEP_2)
	v_and_b32_e32 v31, 0, v2
	v_and_b32_e32 v30, v5, v1
	v_lshrrev_b64 v[1:2], v29, v[5:6]
	s_delay_alu instid0(VALU_DEP_2) | instskip(NEXT) | instid1(VALU_DEP_2)
	v_cmp_eq_u64_e64 s3, v[30:31], v[26:27]
	v_dual_mov_b32 v27, v2 :: v_dual_mov_b32 v26, v1
	s_delay_alu instid0(VALU_DEP_2)
	s_and_saveexec_b32 s56, s3
; %bb.261:                              ;   in Loop: Header=BB12_203 Depth=2
	v_bfe_u32 v5, v1, 20, 1
	s_delay_alu instid0(VALU_DEP_1) | instskip(NEXT) | instid1(VALU_DEP_1)
	v_add_co_u32 v5, s3, v1, v5
	v_add_co_u32 v26, s3, v5, -1
; %bb.262:                              ;   in Loop: Header=BB12_203 Depth=2
	s_or_b32 exec_lo, exec_lo, s56
	v_add_nc_u32_e32 v5, 0xffffff81, v28
	v_lshrrev_b32_e32 v27, 23, v1
	s_mov_b32 s3, exec_lo
	s_delay_alu instid0(VALU_DEP_2) | instskip(NEXT) | instid1(VALU_DEP_1)
	v_cndmask_b32_e64 v5, v5, 0xffffff82, vcc_lo
	v_add3_u32 v27, v29, v5, v27
	v_and_b32_e32 v5, 0xfffff, v26
	s_delay_alu instid0(VALU_DEP_2) | instskip(NEXT) | instid1(VALU_DEP_2)
	v_add_nc_u32_e32 v26, 6, v27
	v_add_co_u32 v1, vcc_lo, v5, v1
	v_add_co_ci_u32_e32 v2, vcc_lo, 0, v2, vcc_lo
                                        ; implicit-def: $vgpr5
	s_delay_alu instid0(VALU_DEP_3)
	v_cmpx_ne_u32_e32 0, v26
	s_xor_b32 s3, exec_lo, s3
; %bb.263:                              ;   in Loop: Header=BB12_203 Depth=2
	s_delay_alu instid0(VALU_DEP_2) | instskip(SKIP_1) | instid1(VALU_DEP_1)
	v_cmp_lt_u64_e32 vcc_lo, 0xffffff, v[1:2]
	v_add_nc_u32_e32 v5, 7, v27
	v_cndmask_b32_e32 v5, v26, v5, vcc_lo
	v_cndmask_b32_e64 v26, 0, 1, vcc_lo
	s_delay_alu instid0(VALU_DEP_1)
	v_lshrrev_b64 v[1:2], v26, v[1:2]
; %bb.264:                              ;   in Loop: Header=BB12_203 Depth=2
	s_and_not1_saveexec_b32 s3, s3
; %bb.265:                              ;   in Loop: Header=BB12_203 Depth=2
	s_delay_alu instid0(VALU_DEP_1)
	v_bfe_u32 v5, v1, 23, 1
; %bb.266:                              ;   in Loop: Header=BB12_203 Depth=2
	s_or_b32 exec_lo, exec_lo, s3
	s_delay_alu instid0(VALU_DEP_2) | instskip(NEXT) | instid1(VALU_DEP_2)
	v_lshrrev_b64 v[1:2], 20, v[1:2]
	v_cmp_gt_i32_e32 vcc_lo, 16, v5
	v_cmp_ne_u32_e64 s3, 0, v5
	s_delay_alu instid0(VALU_DEP_3) | instskip(NEXT) | instid1(VALU_DEP_1)
	v_dual_cndmask_b32 v27, 0, v2 :: v_dual_cndmask_b32 v26, 7, v1
                                        ; implicit-def: $vgpr1_vgpr2
	v_cmp_ne_u64_e32 vcc_lo, 0, v[26:27]
	s_delay_alu instid0(VALU_DEP_3) | instskip(NEXT) | instid1(SALU_CYCLE_1)
	s_or_b32 s3, s3, vcc_lo
	s_and_saveexec_b32 s56, s3
	s_delay_alu instid0(SALU_CYCLE_1)
	s_xor_b32 s3, exec_lo, s56
; %bb.267:                              ;   in Loop: Header=BB12_203 Depth=2
	v_min_i32_e32 v1, 15, v5
	s_delay_alu instid0(VALU_DEP_1) | instskip(NEXT) | instid1(VALU_DEP_1)
	v_lshl_or_b32 v1, v1, 3, v8
                                        ; implicit-def: $vgpr8
	v_and_or_b32 v1, v26, 7, v1
; %bb.268:                              ;   in Loop: Header=BB12_203 Depth=2
	s_and_not1_saveexec_b32 s3, s3
; %bb.269:                              ;   in Loop: Header=BB12_203 Depth=2
	v_dual_mov_b32 v1, v8 :: v_dual_mov_b32 v2, v9
; %bb.270:                              ;   in Loop: Header=BB12_203 Depth=2
	s_or_b32 exec_lo, exec_lo, s3
.LBB12_271:                             ;   in Loop: Header=BB12_203 Depth=2
	s_delay_alu instid0(SALU_CYCLE_1)
	s_or_b32 exec_lo, exec_lo, s55
.LBB12_272:                             ;   in Loop: Header=BB12_203 Depth=2
	s_and_not1_saveexec_b32 s3, s54
	s_delay_alu instid0(SALU_CYCLE_1)
	s_or_b32 exec_lo, exec_lo, s3
                                        ; implicit-def: $vgpr2
.LBB12_273:                             ;   in Loop: Header=BB12_203 Depth=2
	s_and_not1_saveexec_b32 s3, s53
; %bb.274:                              ;   in Loop: Header=BB12_203 Depth=2
	v_cmp_eq_u64_e32 vcc_lo, 0, v[5:6]
	v_or_b32_e32 v2, 0x7f, v2
	s_delay_alu instid0(VALU_DEP_1)
	v_cndmask_b32_e32 v1, v2, v1, vcc_lo
; %bb.275:                              ;   in Loop: Header=BB12_203 Depth=2
	s_or_b32 exec_lo, exec_lo, s3
	v_lshlrev_b32_e32 v2, 16, v3
	s_mov_b32 s3, exec_lo
	v_mov_b32_e32 v29, v6
	s_delay_alu instid0(VALU_DEP_2) | instskip(NEXT) | instid1(VALU_DEP_1)
	v_div_scale_f32 v5, null, v48, v48, v2
	v_rcp_f32_e32 v8, v5
	s_waitcnt_depctr 0xfff
	v_fma_f32 v26, -v5, v8, 1.0
	s_delay_alu instid0(VALU_DEP_1) | instskip(SKIP_1) | instid1(VALU_DEP_1)
	v_fmac_f32_e32 v8, v26, v8
	v_div_scale_f32 v26, vcc_lo, v2, v48, v2
	v_mul_f32_e32 v27, v26, v8
	s_delay_alu instid0(VALU_DEP_1) | instskip(NEXT) | instid1(VALU_DEP_1)
	v_fma_f32 v28, -v5, v27, v26
	v_fmac_f32_e32 v27, v28, v8
	s_delay_alu instid0(VALU_DEP_1) | instskip(NEXT) | instid1(VALU_DEP_1)
	v_fma_f32 v5, -v5, v27, v26
	v_div_fmas_f32 v5, v5, v8, v27
	s_delay_alu instid0(VALU_DEP_1) | instskip(NEXT) | instid1(VALU_DEP_1)
	v_div_fixup_f32 v8, v5, v48, v2
	v_lshrrev_b32_e32 v27, 24, v8
	v_and_b32_e32 v28, 0x7f800000, v8
	v_and_b32_e32 v5, 0x7fffff, v8
	s_delay_alu instid0(VALU_DEP_3) | instskip(NEXT) | instid1(VALU_DEP_1)
	v_and_b32_e32 v2, 0x80, v27
	v_or_b32_e32 v26, 0x7e, v2
	s_delay_alu instid0(VALU_DEP_4)
	v_cmpx_ne_u64_e32 0x7f800000, v[28:29]
	s_xor_b32 s53, exec_lo, s3
	s_cbranch_execz .LBB12_291
; %bb.276:                              ;   in Loop: Header=BB12_203 Depth=2
	v_dual_mov_b32 v28, v6 :: v_dual_and_b32 v27, 0x7fffffff, v8
	s_mov_b32 s3, exec_lo
	s_delay_alu instid0(VALU_DEP_1)
	v_cmpx_gt_u64_e32 0x43e00001, v[27:28]
	s_xor_b32 s54, exec_lo, s3
	s_cbranch_execz .LBB12_290
; %bb.277:                              ;   in Loop: Header=BB12_203 Depth=2
	s_mov_b32 s55, exec_lo
	v_mov_b32_e32 v26, 0
	v_mov_b32_e32 v27, 0
	v_cmpx_ne_u32_e32 0, v8
	s_cbranch_execz .LBB12_289
; %bb.278:                              ;   in Loop: Header=BB12_203 Depth=2
	v_bfe_u32 v8, v8, 23, 8
	v_or_b32_e32 v28, 0x800000, v5
	s_delay_alu instid0(VALU_DEP_2) | instskip(SKIP_1) | instid1(VALU_DEP_2)
	v_sub_nc_u32_e32 v26, 0x79, v8
	v_cmp_gt_u32_e32 vcc_lo, 0x7a, v8
	v_cndmask_b32_e32 v26, 0, v26, vcc_lo
	v_cmp_eq_u32_e32 vcc_lo, 0, v8
	v_cndmask_b32_e32 v5, v28, v5, vcc_lo
	s_delay_alu instid0(VALU_DEP_3) | instskip(NEXT) | instid1(VALU_DEP_1)
	v_cndmask_b32_e64 v30, v26, 0x78, vcc_lo
	v_add_nc_u32_e32 v26, 20, v30
	v_add_nc_u32_e32 v28, 19, v30
	s_delay_alu instid0(VALU_DEP_2) | instskip(NEXT) | instid1(VALU_DEP_2)
	v_lshlrev_b64 v[26:27], v26, -1
	v_lshlrev_b64 v[28:29], v28, 1
	s_delay_alu instid0(VALU_DEP_2) | instskip(NEXT) | instid1(VALU_DEP_3)
	v_not_b32_e32 v27, v27
	v_not_b32_e32 v26, v26
	s_delay_alu instid0(VALU_DEP_2) | instskip(NEXT) | instid1(VALU_DEP_2)
	v_and_b32_e32 v32, 0, v27
	v_and_b32_e32 v31, v5, v26
	v_lshrrev_b64 v[26:27], v30, v[5:6]
	s_delay_alu instid0(VALU_DEP_2) | instskip(NEXT) | instid1(VALU_DEP_2)
	v_cmp_eq_u64_e64 s3, v[31:32], v[28:29]
	v_dual_mov_b32 v29, v27 :: v_dual_mov_b32 v28, v26
	s_delay_alu instid0(VALU_DEP_2)
	s_and_saveexec_b32 s56, s3
; %bb.279:                              ;   in Loop: Header=BB12_203 Depth=2
	v_bfe_u32 v5, v26, 20, 1
	s_delay_alu instid0(VALU_DEP_1) | instskip(NEXT) | instid1(VALU_DEP_1)
	v_add_co_u32 v5, s3, v26, v5
	v_add_co_u32 v28, s3, v5, -1
; %bb.280:                              ;   in Loop: Header=BB12_203 Depth=2
	s_or_b32 exec_lo, exec_lo, s56
	v_add_nc_u32_e32 v5, 0xffffff81, v8
	v_lshrrev_b32_e32 v8, 23, v26
	s_mov_b32 s3, exec_lo
	s_delay_alu instid0(VALU_DEP_2) | instskip(NEXT) | instid1(VALU_DEP_1)
	v_cndmask_b32_e64 v5, v5, 0xffffff82, vcc_lo
	v_add3_u32 v8, v30, v5, v8
	v_and_b32_e32 v5, 0xfffff, v28
	s_delay_alu instid0(VALU_DEP_2) | instskip(NEXT) | instid1(VALU_DEP_2)
	v_add_nc_u32_e32 v28, 6, v8
	v_add_co_u32 v26, vcc_lo, v5, v26
	v_add_co_ci_u32_e32 v27, vcc_lo, 0, v27, vcc_lo
                                        ; implicit-def: $vgpr5
	s_delay_alu instid0(VALU_DEP_3)
	v_cmpx_ne_u32_e32 0, v28
	s_xor_b32 s3, exec_lo, s3
; %bb.281:                              ;   in Loop: Header=BB12_203 Depth=2
	s_delay_alu instid0(VALU_DEP_2) | instskip(SKIP_2) | instid1(VALU_DEP_2)
	v_cmp_lt_u64_e32 vcc_lo, 0xffffff, v[26:27]
	v_add_nc_u32_e32 v5, 7, v8
	v_cndmask_b32_e64 v8, 0, 1, vcc_lo
	v_cndmask_b32_e32 v5, v28, v5, vcc_lo
	s_delay_alu instid0(VALU_DEP_2)
	v_lshrrev_b64 v[26:27], v8, v[26:27]
; %bb.282:                              ;   in Loop: Header=BB12_203 Depth=2
	s_and_not1_saveexec_b32 s3, s3
; %bb.283:                              ;   in Loop: Header=BB12_203 Depth=2
	s_delay_alu instid0(VALU_DEP_1)
	v_bfe_u32 v5, v26, 23, 1
; %bb.284:                              ;   in Loop: Header=BB12_203 Depth=2
	s_or_b32 exec_lo, exec_lo, s3
	s_delay_alu instid0(VALU_DEP_2) | instskip(NEXT) | instid1(VALU_DEP_2)
	v_lshrrev_b64 v[26:27], 20, v[26:27]
	v_cmp_gt_i32_e32 vcc_lo, 16, v5
	v_cmp_ne_u32_e64 s3, 0, v5
	s_delay_alu instid0(VALU_DEP_3) | instskip(NEXT) | instid1(VALU_DEP_1)
	v_dual_cndmask_b32 v29, 0, v27 :: v_dual_cndmask_b32 v28, 7, v26
                                        ; implicit-def: $vgpr26_vgpr27
	v_cmp_ne_u64_e32 vcc_lo, 0, v[28:29]
	s_delay_alu instid0(VALU_DEP_3) | instskip(NEXT) | instid1(SALU_CYCLE_1)
	s_or_b32 s3, s3, vcc_lo
	s_and_saveexec_b32 s56, s3
	s_delay_alu instid0(SALU_CYCLE_1)
	s_xor_b32 s3, exec_lo, s56
; %bb.285:                              ;   in Loop: Header=BB12_203 Depth=2
	v_min_i32_e32 v5, 15, v5
	s_delay_alu instid0(VALU_DEP_1) | instskip(NEXT) | instid1(VALU_DEP_1)
	v_lshl_or_b32 v2, v5, 3, v2
	v_and_or_b32 v26, v28, 7, v2
                                        ; implicit-def: $vgpr2
; %bb.286:                              ;   in Loop: Header=BB12_203 Depth=2
	s_and_not1_saveexec_b32 s3, s3
; %bb.287:                              ;   in Loop: Header=BB12_203 Depth=2
	v_dual_mov_b32 v27, v3 :: v_dual_mov_b32 v26, v2
; %bb.288:                              ;   in Loop: Header=BB12_203 Depth=2
	s_or_b32 exec_lo, exec_lo, s3
.LBB12_289:                             ;   in Loop: Header=BB12_203 Depth=2
	s_delay_alu instid0(SALU_CYCLE_1)
	s_or_b32 exec_lo, exec_lo, s55
.LBB12_290:                             ;   in Loop: Header=BB12_203 Depth=2
	s_and_not1_saveexec_b32 s3, s54
	s_delay_alu instid0(SALU_CYCLE_1)
	s_or_b32 exec_lo, exec_lo, s3
                                        ; implicit-def: $vgpr27
.LBB12_291:                             ;   in Loop: Header=BB12_203 Depth=2
	s_and_not1_saveexec_b32 s3, s53
; %bb.292:                              ;   in Loop: Header=BB12_203 Depth=2
	v_cmp_eq_u64_e32 vcc_lo, 0, v[5:6]
	v_or_b32_e32 v2, 0x7f, v27
	s_delay_alu instid0(VALU_DEP_1)
	v_cndmask_b32_e32 v26, v2, v26, vcc_lo
; %bb.293:                              ;   in Loop: Header=BB12_203 Depth=2
	s_or_b32 exec_lo, exec_lo, s3
	v_and_b32_e32 v2, 0xffff0000, v3
	s_mov_b32 s3, exec_lo
	v_mov_b32_e32 v29, v6
	s_delay_alu instid0(VALU_DEP_2) | instskip(NEXT) | instid1(VALU_DEP_1)
	v_div_scale_f32 v3, null, v48, v48, v2
	v_rcp_f32_e32 v5, v3
	s_waitcnt_depctr 0xfff
	v_fma_f32 v8, -v3, v5, 1.0
	s_delay_alu instid0(VALU_DEP_1) | instskip(SKIP_1) | instid1(VALU_DEP_1)
	v_fmac_f32_e32 v5, v8, v5
	v_div_scale_f32 v8, vcc_lo, v2, v48, v2
	v_mul_f32_e32 v27, v8, v5
	s_delay_alu instid0(VALU_DEP_1) | instskip(NEXT) | instid1(VALU_DEP_1)
	v_fma_f32 v28, -v3, v27, v8
	v_fmac_f32_e32 v27, v28, v5
	s_delay_alu instid0(VALU_DEP_1) | instskip(NEXT) | instid1(VALU_DEP_1)
	v_fma_f32 v3, -v3, v27, v8
	v_div_fmas_f32 v3, v3, v5, v27
	s_delay_alu instid0(VALU_DEP_1) | instskip(NEXT) | instid1(VALU_DEP_1)
	v_div_fixup_f32 v27, v3, v48, v2
	v_lshrrev_b32_e32 v3, 24, v27
	v_and_b32_e32 v28, 0x7f800000, v27
	v_and_b32_e32 v5, 0x7fffff, v27
	s_delay_alu instid0(VALU_DEP_3) | instskip(NEXT) | instid1(VALU_DEP_1)
	v_and_b32_e32 v8, 0x80, v3
	v_or_b32_e32 v2, 0x7e, v8
	s_delay_alu instid0(VALU_DEP_4)
	v_cmpx_ne_u64_e32 0x7f800000, v[28:29]
	s_xor_b32 s53, exec_lo, s3
	s_cbranch_execz .LBB12_309
; %bb.294:                              ;   in Loop: Header=BB12_203 Depth=2
	v_dual_mov_b32 v29, v6 :: v_dual_and_b32 v28, 0x7fffffff, v27
	s_mov_b32 s3, exec_lo
	s_delay_alu instid0(VALU_DEP_1)
	v_cmpx_gt_u64_e32 0x43e00001, v[28:29]
	s_xor_b32 s54, exec_lo, s3
	s_cbranch_execz .LBB12_308
; %bb.295:                              ;   in Loop: Header=BB12_203 Depth=2
	s_mov_b32 s55, exec_lo
	v_mov_b32_e32 v2, 0
	v_mov_b32_e32 v3, 0
	v_cmpx_ne_u32_e32 0, v27
	s_cbranch_execz .LBB12_307
; %bb.296:                              ;   in Loop: Header=BB12_203 Depth=2
	v_bfe_u32 v29, v27, 23, 8
	v_or_b32_e32 v27, 0x800000, v5
	s_delay_alu instid0(VALU_DEP_2) | instskip(SKIP_1) | instid1(VALU_DEP_2)
	v_sub_nc_u32_e32 v2, 0x79, v29
	v_cmp_gt_u32_e32 vcc_lo, 0x7a, v29
	v_cndmask_b32_e32 v2, 0, v2, vcc_lo
	v_cmp_eq_u32_e32 vcc_lo, 0, v29
	v_cndmask_b32_e32 v5, v27, v5, vcc_lo
	s_delay_alu instid0(VALU_DEP_3) | instskip(NEXT) | instid1(VALU_DEP_1)
	v_cndmask_b32_e64 v30, v2, 0x78, vcc_lo
	v_add_nc_u32_e32 v2, 20, v30
	v_add_nc_u32_e32 v27, 19, v30
	s_delay_alu instid0(VALU_DEP_2) | instskip(NEXT) | instid1(VALU_DEP_2)
	v_lshlrev_b64 v[2:3], v2, -1
	v_lshlrev_b64 v[27:28], v27, 1
	s_delay_alu instid0(VALU_DEP_2) | instskip(NEXT) | instid1(VALU_DEP_3)
	v_not_b32_e32 v3, v3
	v_not_b32_e32 v2, v2
	s_delay_alu instid0(VALU_DEP_2) | instskip(NEXT) | instid1(VALU_DEP_2)
	v_and_b32_e32 v32, 0, v3
	v_and_b32_e32 v31, v5, v2
	v_lshrrev_b64 v[2:3], v30, v[5:6]
	s_delay_alu instid0(VALU_DEP_2) | instskip(NEXT) | instid1(VALU_DEP_2)
	v_cmp_eq_u64_e64 s3, v[31:32], v[27:28]
	v_dual_mov_b32 v28, v3 :: v_dual_mov_b32 v27, v2
	s_delay_alu instid0(VALU_DEP_2)
	s_and_saveexec_b32 s56, s3
; %bb.297:                              ;   in Loop: Header=BB12_203 Depth=2
	v_bfe_u32 v5, v2, 20, 1
	s_delay_alu instid0(VALU_DEP_1) | instskip(NEXT) | instid1(VALU_DEP_1)
	v_add_co_u32 v5, s3, v2, v5
	v_add_co_u32 v27, s3, v5, -1
; %bb.298:                              ;   in Loop: Header=BB12_203 Depth=2
	s_or_b32 exec_lo, exec_lo, s56
	v_add_nc_u32_e32 v5, 0xffffff81, v29
	v_lshrrev_b32_e32 v28, 23, v2
	s_mov_b32 s3, exec_lo
	s_delay_alu instid0(VALU_DEP_2) | instskip(NEXT) | instid1(VALU_DEP_1)
	v_cndmask_b32_e64 v5, v5, 0xffffff82, vcc_lo
	v_add3_u32 v28, v30, v5, v28
	v_and_b32_e32 v5, 0xfffff, v27
	s_delay_alu instid0(VALU_DEP_2) | instskip(NEXT) | instid1(VALU_DEP_2)
	v_add_nc_u32_e32 v27, 6, v28
	v_add_co_u32 v2, vcc_lo, v5, v2
	v_add_co_ci_u32_e32 v3, vcc_lo, 0, v3, vcc_lo
                                        ; implicit-def: $vgpr5
	s_delay_alu instid0(VALU_DEP_3)
	v_cmpx_ne_u32_e32 0, v27
	s_xor_b32 s3, exec_lo, s3
; %bb.299:                              ;   in Loop: Header=BB12_203 Depth=2
	s_delay_alu instid0(VALU_DEP_2) | instskip(SKIP_1) | instid1(VALU_DEP_1)
	v_cmp_lt_u64_e32 vcc_lo, 0xffffff, v[2:3]
	v_add_nc_u32_e32 v5, 7, v28
	v_cndmask_b32_e32 v5, v27, v5, vcc_lo
	v_cndmask_b32_e64 v27, 0, 1, vcc_lo
	s_delay_alu instid0(VALU_DEP_1)
	v_lshrrev_b64 v[2:3], v27, v[2:3]
; %bb.300:                              ;   in Loop: Header=BB12_203 Depth=2
	s_and_not1_saveexec_b32 s3, s3
; %bb.301:                              ;   in Loop: Header=BB12_203 Depth=2
	s_delay_alu instid0(VALU_DEP_1)
	v_bfe_u32 v5, v2, 23, 1
; %bb.302:                              ;   in Loop: Header=BB12_203 Depth=2
	s_or_b32 exec_lo, exec_lo, s3
	s_delay_alu instid0(VALU_DEP_2) | instskip(NEXT) | instid1(VALU_DEP_2)
	v_lshrrev_b64 v[2:3], 20, v[2:3]
	v_cmp_gt_i32_e32 vcc_lo, 16, v5
	v_cmp_ne_u32_e64 s3, 0, v5
	s_delay_alu instid0(VALU_DEP_3) | instskip(NEXT) | instid1(VALU_DEP_1)
	v_dual_cndmask_b32 v28, 0, v3 :: v_dual_cndmask_b32 v27, 7, v2
                                        ; implicit-def: $vgpr2_vgpr3
	v_cmp_ne_u64_e32 vcc_lo, 0, v[27:28]
	s_delay_alu instid0(VALU_DEP_3) | instskip(NEXT) | instid1(SALU_CYCLE_1)
	s_or_b32 s3, s3, vcc_lo
	s_and_saveexec_b32 s56, s3
	s_delay_alu instid0(SALU_CYCLE_1)
	s_xor_b32 s3, exec_lo, s56
; %bb.303:                              ;   in Loop: Header=BB12_203 Depth=2
	v_min_i32_e32 v2, 15, v5
	s_delay_alu instid0(VALU_DEP_1) | instskip(NEXT) | instid1(VALU_DEP_1)
	v_lshl_or_b32 v2, v2, 3, v8
                                        ; implicit-def: $vgpr8
	v_and_or_b32 v2, v27, 7, v2
; %bb.304:                              ;   in Loop: Header=BB12_203 Depth=2
	s_and_not1_saveexec_b32 s3, s3
; %bb.305:                              ;   in Loop: Header=BB12_203 Depth=2
	v_dual_mov_b32 v2, v8 :: v_dual_mov_b32 v3, v9
; %bb.306:                              ;   in Loop: Header=BB12_203 Depth=2
	s_or_b32 exec_lo, exec_lo, s3
.LBB12_307:                             ;   in Loop: Header=BB12_203 Depth=2
	s_delay_alu instid0(SALU_CYCLE_1)
	s_or_b32 exec_lo, exec_lo, s55
.LBB12_308:                             ;   in Loop: Header=BB12_203 Depth=2
	s_and_not1_saveexec_b32 s3, s54
	s_delay_alu instid0(SALU_CYCLE_1)
	s_or_b32 exec_lo, exec_lo, s3
                                        ; implicit-def: $vgpr3
.LBB12_309:                             ;   in Loop: Header=BB12_203 Depth=2
	s_and_not1_saveexec_b32 s3, s53
; %bb.310:                              ;   in Loop: Header=BB12_203 Depth=2
	v_cmp_eq_u64_e32 vcc_lo, 0, v[5:6]
	v_or_b32_e32 v3, 0x7f, v3
	s_delay_alu instid0(VALU_DEP_1)
	v_cndmask_b32_e32 v2, v3, v2, vcc_lo
; %bb.311:                              ;   in Loop: Header=BB12_203 Depth=2
	s_or_b32 exec_lo, exec_lo, s3
	v_dual_mov_b32 v30, v6 :: v_dual_lshlrev_b32 v3, 16, v4
	s_mov_b32 s3, exec_lo
	s_delay_alu instid0(VALU_DEP_1) | instskip(NEXT) | instid1(VALU_DEP_1)
	v_div_scale_f32 v5, null, v48, v48, v3
	v_rcp_f32_e32 v8, v5
	s_waitcnt_depctr 0xfff
	v_fma_f32 v27, -v5, v8, 1.0
	s_delay_alu instid0(VALU_DEP_1) | instskip(SKIP_1) | instid1(VALU_DEP_1)
	v_fmac_f32_e32 v8, v27, v8
	v_div_scale_f32 v27, vcc_lo, v3, v48, v3
	v_mul_f32_e32 v28, v27, v8
	s_delay_alu instid0(VALU_DEP_1) | instskip(NEXT) | instid1(VALU_DEP_1)
	v_fma_f32 v29, -v5, v28, v27
	v_fmac_f32_e32 v28, v29, v8
	s_delay_alu instid0(VALU_DEP_1) | instskip(NEXT) | instid1(VALU_DEP_1)
	v_fma_f32 v5, -v5, v28, v27
	v_div_fmas_f32 v5, v5, v8, v28
	s_delay_alu instid0(VALU_DEP_1) | instskip(NEXT) | instid1(VALU_DEP_1)
	v_div_fixup_f32 v8, v5, v48, v3
	v_lshrrev_b32_e32 v28, 24, v8
	v_and_b32_e32 v29, 0x7f800000, v8
	v_and_b32_e32 v5, 0x7fffff, v8
	s_delay_alu instid0(VALU_DEP_3) | instskip(NEXT) | instid1(VALU_DEP_1)
	v_and_b32_e32 v3, 0x80, v28
	v_or_b32_e32 v27, 0x7e, v3
	s_delay_alu instid0(VALU_DEP_4)
	v_cmpx_ne_u64_e32 0x7f800000, v[29:30]
	s_xor_b32 s53, exec_lo, s3
	s_cbranch_execz .LBB12_327
; %bb.312:                              ;   in Loop: Header=BB12_203 Depth=2
	v_dual_mov_b32 v29, v6 :: v_dual_and_b32 v28, 0x7fffffff, v8
	s_mov_b32 s3, exec_lo
	s_delay_alu instid0(VALU_DEP_1)
	v_cmpx_gt_u64_e32 0x43e00001, v[28:29]
	s_xor_b32 s54, exec_lo, s3
	s_cbranch_execz .LBB12_326
; %bb.313:                              ;   in Loop: Header=BB12_203 Depth=2
	s_mov_b32 s55, exec_lo
	v_mov_b32_e32 v27, 0
	v_mov_b32_e32 v28, 0
	v_cmpx_ne_u32_e32 0, v8
	s_cbranch_execz .LBB12_325
; %bb.314:                              ;   in Loop: Header=BB12_203 Depth=2
	v_bfe_u32 v8, v8, 23, 8
	v_or_b32_e32 v29, 0x800000, v5
	s_delay_alu instid0(VALU_DEP_2) | instskip(SKIP_1) | instid1(VALU_DEP_2)
	v_sub_nc_u32_e32 v27, 0x79, v8
	v_cmp_gt_u32_e32 vcc_lo, 0x7a, v8
	v_cndmask_b32_e32 v27, 0, v27, vcc_lo
	v_cmp_eq_u32_e32 vcc_lo, 0, v8
	s_delay_alu instid0(VALU_DEP_2) | instskip(SKIP_1) | instid1(VALU_DEP_2)
	v_cndmask_b32_e64 v31, v27, 0x78, vcc_lo
	v_cndmask_b32_e32 v5, v29, v5, vcc_lo
	v_add_nc_u32_e32 v27, 20, v31
	v_add_nc_u32_e32 v29, 19, v31
	s_delay_alu instid0(VALU_DEP_2) | instskip(NEXT) | instid1(VALU_DEP_2)
	v_lshlrev_b64 v[27:28], v27, -1
	v_lshlrev_b64 v[29:30], v29, 1
	s_delay_alu instid0(VALU_DEP_2) | instskip(NEXT) | instid1(VALU_DEP_3)
	v_not_b32_e32 v28, v28
	v_not_b32_e32 v27, v27
	s_delay_alu instid0(VALU_DEP_2) | instskip(NEXT) | instid1(VALU_DEP_2)
	v_and_b32_e32 v33, 0, v28
	v_and_b32_e32 v32, v5, v27
	v_lshrrev_b64 v[27:28], v31, v[5:6]
	s_delay_alu instid0(VALU_DEP_2) | instskip(NEXT) | instid1(VALU_DEP_2)
	v_cmp_eq_u64_e64 s3, v[32:33], v[29:30]
	v_dual_mov_b32 v30, v28 :: v_dual_mov_b32 v29, v27
	s_delay_alu instid0(VALU_DEP_2)
	s_and_saveexec_b32 s56, s3
; %bb.315:                              ;   in Loop: Header=BB12_203 Depth=2
	v_bfe_u32 v5, v27, 20, 1
	s_delay_alu instid0(VALU_DEP_1) | instskip(NEXT) | instid1(VALU_DEP_1)
	v_add_co_u32 v5, s3, v27, v5
	v_add_co_u32 v29, s3, v5, -1
; %bb.316:                              ;   in Loop: Header=BB12_203 Depth=2
	s_or_b32 exec_lo, exec_lo, s56
	v_add_nc_u32_e32 v5, 0xffffff81, v8
	v_lshrrev_b32_e32 v8, 23, v27
	s_mov_b32 s3, exec_lo
	s_delay_alu instid0(VALU_DEP_2) | instskip(NEXT) | instid1(VALU_DEP_1)
	v_cndmask_b32_e64 v5, v5, 0xffffff82, vcc_lo
	v_add3_u32 v8, v31, v5, v8
	v_and_b32_e32 v5, 0xfffff, v29
	s_delay_alu instid0(VALU_DEP_2) | instskip(NEXT) | instid1(VALU_DEP_2)
	v_add_nc_u32_e32 v29, 6, v8
	v_add_co_u32 v27, vcc_lo, v5, v27
	v_add_co_ci_u32_e32 v28, vcc_lo, 0, v28, vcc_lo
                                        ; implicit-def: $vgpr5
	s_delay_alu instid0(VALU_DEP_3)
	v_cmpx_ne_u32_e32 0, v29
	s_xor_b32 s3, exec_lo, s3
; %bb.317:                              ;   in Loop: Header=BB12_203 Depth=2
	s_delay_alu instid0(VALU_DEP_2) | instskip(SKIP_2) | instid1(VALU_DEP_2)
	v_cmp_lt_u64_e32 vcc_lo, 0xffffff, v[27:28]
	v_add_nc_u32_e32 v5, 7, v8
	v_cndmask_b32_e64 v8, 0, 1, vcc_lo
	v_cndmask_b32_e32 v5, v29, v5, vcc_lo
	s_delay_alu instid0(VALU_DEP_2)
	v_lshrrev_b64 v[27:28], v8, v[27:28]
; %bb.318:                              ;   in Loop: Header=BB12_203 Depth=2
	s_and_not1_saveexec_b32 s3, s3
; %bb.319:                              ;   in Loop: Header=BB12_203 Depth=2
	s_delay_alu instid0(VALU_DEP_1)
	v_bfe_u32 v5, v27, 23, 1
; %bb.320:                              ;   in Loop: Header=BB12_203 Depth=2
	s_or_b32 exec_lo, exec_lo, s3
	s_delay_alu instid0(VALU_DEP_2) | instskip(NEXT) | instid1(VALU_DEP_2)
	v_lshrrev_b64 v[27:28], 20, v[27:28]
	v_cmp_gt_i32_e32 vcc_lo, 16, v5
	v_cmp_ne_u32_e64 s3, 0, v5
	s_delay_alu instid0(VALU_DEP_3) | instskip(NEXT) | instid1(VALU_DEP_1)
	v_dual_cndmask_b32 v30, 0, v28 :: v_dual_cndmask_b32 v29, 7, v27
                                        ; implicit-def: $vgpr27_vgpr28
	v_cmp_ne_u64_e32 vcc_lo, 0, v[29:30]
	s_delay_alu instid0(VALU_DEP_3) | instskip(NEXT) | instid1(SALU_CYCLE_1)
	s_or_b32 s3, s3, vcc_lo
	s_and_saveexec_b32 s56, s3
	s_delay_alu instid0(SALU_CYCLE_1)
	s_xor_b32 s3, exec_lo, s56
; %bb.321:                              ;   in Loop: Header=BB12_203 Depth=2
	v_min_i32_e32 v5, 15, v5
	s_delay_alu instid0(VALU_DEP_1) | instskip(NEXT) | instid1(VALU_DEP_1)
	v_lshl_or_b32 v3, v5, 3, v3
	v_and_or_b32 v27, v29, 7, v3
                                        ; implicit-def: $vgpr3
; %bb.322:                              ;   in Loop: Header=BB12_203 Depth=2
	s_and_not1_saveexec_b32 s3, s3
; %bb.323:                              ;   in Loop: Header=BB12_203 Depth=2
	v_dual_mov_b32 v28, v4 :: v_dual_mov_b32 v27, v3
; %bb.324:                              ;   in Loop: Header=BB12_203 Depth=2
	s_or_b32 exec_lo, exec_lo, s3
.LBB12_325:                             ;   in Loop: Header=BB12_203 Depth=2
	s_delay_alu instid0(SALU_CYCLE_1)
	s_or_b32 exec_lo, exec_lo, s55
.LBB12_326:                             ;   in Loop: Header=BB12_203 Depth=2
	s_and_not1_saveexec_b32 s3, s54
	s_delay_alu instid0(SALU_CYCLE_1)
	s_or_b32 exec_lo, exec_lo, s3
                                        ; implicit-def: $vgpr28
.LBB12_327:                             ;   in Loop: Header=BB12_203 Depth=2
	s_and_not1_saveexec_b32 s3, s53
; %bb.328:                              ;   in Loop: Header=BB12_203 Depth=2
	v_cmp_eq_u64_e32 vcc_lo, 0, v[5:6]
	v_or_b32_e32 v3, 0x7f, v28
	s_delay_alu instid0(VALU_DEP_1)
	v_cndmask_b32_e32 v27, v3, v27, vcc_lo
; %bb.329:                              ;   in Loop: Header=BB12_203 Depth=2
	s_or_b32 exec_lo, exec_lo, s3
	v_and_b32_e32 v3, 0xffff0000, v4
	s_delay_alu instid0(VALU_DEP_1) | instskip(NEXT) | instid1(VALU_DEP_1)
	v_div_scale_f32 v4, null, v48, v48, v3
	v_rcp_f32_e32 v5, v4
	s_waitcnt_depctr 0xfff
	v_fma_f32 v8, -v4, v5, 1.0
	s_delay_alu instid0(VALU_DEP_1) | instskip(SKIP_1) | instid1(VALU_DEP_1)
	v_fmac_f32_e32 v5, v8, v5
	v_div_scale_f32 v8, vcc_lo, v3, v48, v3
	v_mul_f32_e32 v28, v8, v5
	s_delay_alu instid0(VALU_DEP_1) | instskip(NEXT) | instid1(VALU_DEP_1)
	v_fma_f32 v29, -v4, v28, v8
	v_dual_fmac_f32 v28, v29, v5 :: v_dual_mov_b32 v29, v6
	s_delay_alu instid0(VALU_DEP_1) | instskip(NEXT) | instid1(VALU_DEP_1)
	v_fma_f32 v4, -v4, v28, v8
	v_div_fmas_f32 v4, v4, v5, v28
	s_delay_alu instid0(VALU_DEP_1) | instskip(NEXT) | instid1(VALU_DEP_1)
	v_div_fixup_f32 v4, v4, v48, v3
	v_lshrrev_b32_e32 v8, 24, v4
	v_and_b32_e32 v28, 0x7f800000, v4
	v_and_b32_e32 v5, 0x7fffff, v4
	s_delay_alu instid0(VALU_DEP_3) | instskip(NEXT) | instid1(VALU_DEP_3)
	v_and_b32_e32 v3, 0x80, v8
	v_cmp_ne_u64_e32 vcc_lo, 0x7f800000, v[28:29]
	s_delay_alu instid0(VALU_DEP_2) | instskip(SKIP_1) | instid1(SALU_CYCLE_1)
	v_or_b32_e32 v28, 0x7e, v3
	s_and_saveexec_b32 s3, vcc_lo
	s_xor_b32 s53, exec_lo, s3
	s_cbranch_execz .LBB12_345
; %bb.330:                              ;   in Loop: Header=BB12_203 Depth=2
	v_dual_mov_b32 v30, v6 :: v_dual_and_b32 v29, 0x7fffffff, v4
	s_mov_b32 s3, exec_lo
	s_delay_alu instid0(VALU_DEP_1)
	v_cmpx_gt_u64_e32 0x43e00001, v[29:30]
	s_xor_b32 s54, exec_lo, s3
	s_cbranch_execz .LBB12_344
; %bb.331:                              ;   in Loop: Header=BB12_203 Depth=2
	s_mov_b32 s55, exec_lo
	v_mov_b32_e32 v28, 0
	v_mov_b32_e32 v29, 0
	v_cmpx_ne_u32_e32 0, v4
	s_cbranch_execz .LBB12_343
; %bb.332:                              ;   in Loop: Header=BB12_203 Depth=2
	v_bfe_u32 v8, v4, 23, 8
	v_or_b32_e32 v31, 0x800000, v5
	s_delay_alu instid0(VALU_DEP_2) | instskip(SKIP_1) | instid1(VALU_DEP_2)
	v_sub_nc_u32_e32 v4, 0x79, v8
	v_cmp_gt_u32_e32 vcc_lo, 0x7a, v8
	v_cndmask_b32_e32 v4, 0, v4, vcc_lo
	v_cmp_eq_u32_e32 vcc_lo, 0, v8
	v_cndmask_b32_e32 v5, v31, v5, vcc_lo
	s_delay_alu instid0(VALU_DEP_3) | instskip(NEXT) | instid1(VALU_DEP_1)
	v_cndmask_b32_e64 v30, v4, 0x78, vcc_lo
	v_add_nc_u32_e32 v4, 20, v30
	s_delay_alu instid0(VALU_DEP_1) | instskip(SKIP_1) | instid1(VALU_DEP_2)
	v_lshlrev_b64 v[28:29], v4, -1
	v_add_nc_u32_e32 v4, 19, v30
	v_not_b32_e32 v31, v29
	s_delay_alu instid0(VALU_DEP_3) | instskip(NEXT) | instid1(VALU_DEP_3)
	v_not_b32_e32 v33, v28
	v_lshlrev_b64 v[28:29], v4, 1
	s_delay_alu instid0(VALU_DEP_3) | instskip(NEXT) | instid1(VALU_DEP_3)
	v_and_b32_e32 v32, 0, v31
	v_and_b32_e32 v31, v5, v33
	v_lshrrev_b64 v[4:5], v30, v[5:6]
	s_delay_alu instid0(VALU_DEP_2) | instskip(NEXT) | instid1(VALU_DEP_2)
	v_cmp_eq_u64_e64 s3, v[31:32], v[28:29]
	v_dual_mov_b32 v29, v5 :: v_dual_mov_b32 v28, v4
	s_delay_alu instid0(VALU_DEP_2)
	s_and_saveexec_b32 s56, s3
; %bb.333:                              ;   in Loop: Header=BB12_203 Depth=2
	v_bfe_u32 v28, v4, 20, 1
	s_delay_alu instid0(VALU_DEP_1) | instskip(NEXT) | instid1(VALU_DEP_1)
	v_add_co_u32 v28, s3, v4, v28
	v_add_co_u32 v28, s3, v28, -1
; %bb.334:                              ;   in Loop: Header=BB12_203 Depth=2
	s_or_b32 exec_lo, exec_lo, s56
	v_add_nc_u32_e32 v8, 0xffffff81, v8
	v_lshrrev_b32_e32 v29, 23, v4
	s_mov_b32 s3, exec_lo
	s_delay_alu instid0(VALU_DEP_2) | instskip(NEXT) | instid1(VALU_DEP_1)
	v_cndmask_b32_e64 v8, v8, 0xffffff82, vcc_lo
	v_add3_u32 v29, v30, v8, v29
	v_and_b32_e32 v8, 0xfffff, v28
	s_delay_alu instid0(VALU_DEP_2) | instskip(NEXT) | instid1(VALU_DEP_2)
	v_add_nc_u32_e32 v28, 6, v29
	v_add_co_u32 v4, vcc_lo, v8, v4
	v_add_co_ci_u32_e32 v5, vcc_lo, 0, v5, vcc_lo
                                        ; implicit-def: $vgpr8
	s_delay_alu instid0(VALU_DEP_3)
	v_cmpx_ne_u32_e32 0, v28
	s_xor_b32 s3, exec_lo, s3
; %bb.335:                              ;   in Loop: Header=BB12_203 Depth=2
	s_delay_alu instid0(VALU_DEP_2) | instskip(SKIP_1) | instid1(VALU_DEP_1)
	v_cmp_lt_u64_e32 vcc_lo, 0xffffff, v[4:5]
	v_add_nc_u32_e32 v8, 7, v29
	v_cndmask_b32_e32 v8, v28, v8, vcc_lo
	v_cndmask_b32_e64 v28, 0, 1, vcc_lo
	s_delay_alu instid0(VALU_DEP_1)
	v_lshrrev_b64 v[4:5], v28, v[4:5]
; %bb.336:                              ;   in Loop: Header=BB12_203 Depth=2
	s_and_not1_saveexec_b32 s3, s3
; %bb.337:                              ;   in Loop: Header=BB12_203 Depth=2
	s_delay_alu instid0(VALU_DEP_1)
	v_bfe_u32 v8, v4, 23, 1
; %bb.338:                              ;   in Loop: Header=BB12_203 Depth=2
	s_or_b32 exec_lo, exec_lo, s3
	s_delay_alu instid0(VALU_DEP_2) | instskip(NEXT) | instid1(VALU_DEP_2)
	v_lshrrev_b64 v[4:5], 20, v[4:5]
	v_cmp_gt_i32_e32 vcc_lo, 16, v8
	v_cmp_ne_u32_e64 s3, 0, v8
                                        ; implicit-def: $vgpr28_vgpr29
	s_delay_alu instid0(VALU_DEP_3) | instskip(NEXT) | instid1(VALU_DEP_1)
	v_dual_cndmask_b32 v5, 0, v5 :: v_dual_cndmask_b32 v4, 7, v4
	v_cmp_ne_u64_e32 vcc_lo, 0, v[4:5]
	s_delay_alu instid0(VALU_DEP_3) | instskip(NEXT) | instid1(SALU_CYCLE_1)
	s_or_b32 s3, s3, vcc_lo
	s_and_saveexec_b32 s56, s3
	s_delay_alu instid0(SALU_CYCLE_1)
	s_xor_b32 s3, exec_lo, s56
; %bb.339:                              ;   in Loop: Header=BB12_203 Depth=2
	v_min_i32_e32 v5, 15, v8
	s_delay_alu instid0(VALU_DEP_1) | instskip(NEXT) | instid1(VALU_DEP_1)
	v_lshl_or_b32 v3, v5, 3, v3
	v_and_or_b32 v28, v4, 7, v3
                                        ; implicit-def: $vgpr3
; %bb.340:                              ;   in Loop: Header=BB12_203 Depth=2
	s_and_not1_saveexec_b32 s3, s3
; %bb.341:                              ;   in Loop: Header=BB12_203 Depth=2
	v_dual_mov_b32 v29, v4 :: v_dual_mov_b32 v28, v3
; %bb.342:                              ;   in Loop: Header=BB12_203 Depth=2
	s_or_b32 exec_lo, exec_lo, s3
.LBB12_343:                             ;   in Loop: Header=BB12_203 Depth=2
	s_delay_alu instid0(SALU_CYCLE_1)
	s_or_b32 exec_lo, exec_lo, s55
.LBB12_344:                             ;   in Loop: Header=BB12_203 Depth=2
	s_and_not1_saveexec_b32 s3, s54
	s_delay_alu instid0(SALU_CYCLE_1)
	s_or_b32 exec_lo, exec_lo, s3
                                        ; implicit-def: $vgpr8
.LBB12_345:                             ;   in Loop: Header=BB12_203 Depth=2
	s_and_not1_saveexec_b32 s3, s53
	s_cbranch_execz .LBB12_202
; %bb.346:                              ;   in Loop: Header=BB12_203 Depth=2
	v_cmp_eq_u64_e32 vcc_lo, 0, v[5:6]
	v_or_b32_e32 v3, 0x7f, v8
	s_delay_alu instid0(VALU_DEP_1)
	v_cndmask_b32_e32 v28, v3, v28, vcc_lo
	s_branch .LBB12_202
.LBB12_347:                             ;   in Loop: Header=BB12_9 Depth=1
	s_or_b32 exec_lo, exec_lo, s51
.LBB12_348:                             ;   in Loop: Header=BB12_9 Depth=1
	s_delay_alu instid0(SALU_CYCLE_1) | instskip(SKIP_2) | instid1(VALU_DEP_2)
	s_or_b32 exec_lo, exec_lo, s50
	v_add_co_u32 v1, vcc_lo, s35, v17
	v_add_co_ci_u32_e32 v2, vcc_lo, s36, v18, vcc_lo
	v_and_b32_e32 v5, 15, v1
	s_delay_alu instid0(VALU_DEP_1) | instskip(SKIP_1) | instid1(SALU_CYCLE_1)
	v_cmp_ne_u64_e32 vcc_lo, 0, v[5:6]
	s_or_b32 s3, s49, vcc_lo
	s_and_saveexec_b32 s50, s3
	s_delay_alu instid0(SALU_CYCLE_1)
	s_xor_b32 s50, exec_lo, s50
	s_cbranch_execz .LBB12_538
; %bb.349:                              ;   in Loop: Header=BB12_9 Depth=1
	v_sub_nc_u32_e32 v3, 0, v1
	s_mov_b32 s51, exec_lo
	s_delay_alu instid0(VALU_DEP_1) | instskip(NEXT) | instid1(VALU_DEP_1)
	v_bfe_u32 v3, v3, 1, 3
	v_min_i32_e32 v16, s13, v3
	s_delay_alu instid0(VALU_DEP_1)
	v_cmpx_gt_i32_e64 v16, v36
	s_cbranch_execz .LBB12_369
; %bb.350:                              ;   in Loop: Header=BB12_9 Depth=1
	v_add_co_u32 v1, vcc_lo, v1, v45
	v_add_co_ci_u32_e32 v2, vcc_lo, 0, v2, vcc_lo
	s_mov_b32 s3, exec_lo
	v_mov_b32_e32 v18, v6
	global_load_u16 v1, v[1:2], off
	s_waitcnt vmcnt(0)
	v_lshlrev_b32_e32 v1, 16, v1
	s_delay_alu instid0(VALU_DEP_1) | instskip(NEXT) | instid1(VALU_DEP_1)
	v_div_scale_f32 v2, null, v46, v46, v1
	v_rcp_f32_e32 v3, v2
	s_waitcnt_depctr 0xfff
	v_fma_f32 v4, -v2, v3, 1.0
	s_delay_alu instid0(VALU_DEP_1) | instskip(SKIP_1) | instid1(VALU_DEP_1)
	v_fmac_f32_e32 v3, v4, v3
	v_div_scale_f32 v4, vcc_lo, v1, v46, v1
	v_mul_f32_e32 v5, v4, v3
	s_delay_alu instid0(VALU_DEP_1) | instskip(NEXT) | instid1(VALU_DEP_1)
	v_fma_f32 v8, -v2, v5, v4
	v_fmac_f32_e32 v5, v8, v3
	s_delay_alu instid0(VALU_DEP_1) | instskip(NEXT) | instid1(VALU_DEP_1)
	v_fma_f32 v2, -v2, v5, v4
	v_div_fmas_f32 v2, v2, v3, v5
	s_delay_alu instid0(VALU_DEP_1) | instskip(NEXT) | instid1(VALU_DEP_1)
	v_div_fixup_f32 v1, v2, v46, v1
	v_lshrrev_b32_e32 v3, 24, v1
	v_and_b32_e32 v17, 0x7f800000, v1
	v_and_b32_e32 v5, 0x7fffff, v1
	s_delay_alu instid0(VALU_DEP_3) | instskip(NEXT) | instid1(VALU_DEP_1)
	v_and_b32_e32 v8, 0x80, v3
	v_or_b32_e32 v2, 0x7e, v8
	s_delay_alu instid0(VALU_DEP_4)
	v_cmpx_ne_u64_e32 0x7f800000, v[17:18]
	s_xor_b32 s52, exec_lo, s3
	s_cbranch_execz .LBB12_366
; %bb.351:                              ;   in Loop: Header=BB12_9 Depth=1
	v_dual_mov_b32 v4, v6 :: v_dual_and_b32 v3, 0x7fffffff, v1
	s_mov_b32 s3, exec_lo
	s_delay_alu instid0(VALU_DEP_1)
	v_cmpx_gt_u64_e32 0x43e00001, v[3:4]
	s_xor_b32 s53, exec_lo, s3
	s_cbranch_execz .LBB12_365
; %bb.352:                              ;   in Loop: Header=BB12_9 Depth=1
	v_mov_b32_e32 v2, 0
	s_mov_b32 s54, exec_lo
	v_cmpx_ne_u32_e32 0, v1
	s_cbranch_execz .LBB12_364
; %bb.353:                              ;   in Loop: Header=BB12_9 Depth=1
	v_bfe_u32 v17, v1, 23, 8
	v_or_b32_e32 v3, 0x800000, v5
	s_delay_alu instid0(VALU_DEP_2) | instskip(SKIP_1) | instid1(VALU_DEP_2)
	v_sub_nc_u32_e32 v1, 0x79, v17
	v_cmp_gt_u32_e32 vcc_lo, 0x7a, v17
	v_cndmask_b32_e32 v1, 0, v1, vcc_lo
	v_cmp_eq_u32_e32 vcc_lo, 0, v17
	s_delay_alu instid0(VALU_DEP_2) | instskip(SKIP_1) | instid1(VALU_DEP_2)
	v_cndmask_b32_e64 v18, v1, 0x78, vcc_lo
	v_cndmask_b32_e32 v5, v3, v5, vcc_lo
	v_add_nc_u32_e32 v1, 20, v18
	v_add_nc_u32_e32 v3, 19, v18
	s_delay_alu instid0(VALU_DEP_2) | instskip(NEXT) | instid1(VALU_DEP_2)
	v_lshlrev_b64 v[1:2], v1, -1
	v_lshlrev_b64 v[3:4], v3, 1
	s_delay_alu instid0(VALU_DEP_2) | instskip(NEXT) | instid1(VALU_DEP_3)
	v_not_b32_e32 v2, v2
	v_not_b32_e32 v1, v1
	s_delay_alu instid0(VALU_DEP_2) | instskip(NEXT) | instid1(VALU_DEP_2)
	v_and_b32_e32 v20, 0, v2
	v_and_b32_e32 v19, v5, v1
	v_lshrrev_b64 v[1:2], v18, v[5:6]
	s_delay_alu instid0(VALU_DEP_2) | instskip(NEXT) | instid1(VALU_DEP_2)
	v_cmp_eq_u64_e64 s3, v[19:20], v[3:4]
	v_dual_mov_b32 v4, v2 :: v_dual_mov_b32 v3, v1
	s_delay_alu instid0(VALU_DEP_2)
	s_and_saveexec_b32 s55, s3
; %bb.354:                              ;   in Loop: Header=BB12_9 Depth=1
	v_bfe_u32 v3, v1, 20, 1
	s_delay_alu instid0(VALU_DEP_1) | instskip(NEXT) | instid1(VALU_DEP_1)
	v_add_co_u32 v3, s3, v1, v3
	v_add_co_u32 v3, s3, v3, -1
; %bb.355:                              ;   in Loop: Header=BB12_9 Depth=1
	s_or_b32 exec_lo, exec_lo, s55
	v_add_nc_u32_e32 v4, 0xffffff81, v17
	v_lshrrev_b32_e32 v5, 23, v1
	s_delay_alu instid0(VALU_DEP_3) | instskip(SKIP_1) | instid1(VALU_DEP_3)
	v_and_b32_e32 v3, 0xfffff, v3
	s_mov_b32 s3, exec_lo
	v_cndmask_b32_e64 v4, v4, 0xffffff82, vcc_lo
	s_delay_alu instid0(VALU_DEP_2) | instskip(SKIP_1) | instid1(VALU_DEP_3)
	v_add_co_u32 v1, vcc_lo, v3, v1
	v_add_co_ci_u32_e32 v2, vcc_lo, 0, v2, vcc_lo
	v_add3_u32 v4, v18, v4, v5
                                        ; implicit-def: $vgpr3
	s_delay_alu instid0(VALU_DEP_1) | instskip(NEXT) | instid1(VALU_DEP_1)
	v_add_nc_u32_e32 v5, 6, v4
	v_cmpx_ne_u32_e32 0, v5
	s_xor_b32 s3, exec_lo, s3
; %bb.356:                              ;   in Loop: Header=BB12_9 Depth=1
	v_cmp_lt_u64_e32 vcc_lo, 0xffffff, v[1:2]
	v_add_nc_u32_e32 v3, 7, v4
	v_cndmask_b32_e64 v4, 0, 1, vcc_lo
	s_delay_alu instid0(VALU_DEP_2) | instskip(NEXT) | instid1(VALU_DEP_2)
	v_cndmask_b32_e32 v3, v5, v3, vcc_lo
	v_lshrrev_b64 v[1:2], v4, v[1:2]
; %bb.357:                              ;   in Loop: Header=BB12_9 Depth=1
	s_and_not1_saveexec_b32 s3, s3
; %bb.358:                              ;   in Loop: Header=BB12_9 Depth=1
	s_delay_alu instid0(VALU_DEP_1)
	v_bfe_u32 v3, v1, 23, 1
; %bb.359:                              ;   in Loop: Header=BB12_9 Depth=1
	s_or_b32 exec_lo, exec_lo, s3
	s_delay_alu instid0(VALU_DEP_2) | instskip(NEXT) | instid1(VALU_DEP_2)
	v_lshrrev_b64 v[1:2], 20, v[1:2]
	v_cmp_gt_i32_e32 vcc_lo, 16, v3
	v_cmp_ne_u32_e64 s3, 0, v3
	s_delay_alu instid0(VALU_DEP_3) | instskip(NEXT) | instid1(VALU_DEP_1)
	v_dual_cndmask_b32 v2, 0, v2 :: v_dual_cndmask_b32 v1, 7, v1
	v_cmp_ne_u64_e32 vcc_lo, 0, v[1:2]
                                        ; implicit-def: $vgpr2
	s_delay_alu instid0(VALU_DEP_3) | instskip(NEXT) | instid1(SALU_CYCLE_1)
	s_or_b32 s3, s3, vcc_lo
	s_and_saveexec_b32 s55, s3
	s_delay_alu instid0(SALU_CYCLE_1)
	s_xor_b32 s3, exec_lo, s55
; %bb.360:                              ;   in Loop: Header=BB12_9 Depth=1
	v_min_i32_e32 v2, 15, v3
	s_delay_alu instid0(VALU_DEP_1) | instskip(NEXT) | instid1(VALU_DEP_1)
	v_lshl_or_b32 v2, v2, 3, v8
                                        ; implicit-def: $vgpr8
	v_and_or_b32 v2, v1, 7, v2
; %bb.361:                              ;   in Loop: Header=BB12_9 Depth=1
	s_and_not1_saveexec_b32 s3, s3
; %bb.362:                              ;   in Loop: Header=BB12_9 Depth=1
	v_mov_b32_e32 v2, v8
; %bb.363:                              ;   in Loop: Header=BB12_9 Depth=1
	s_or_b32 exec_lo, exec_lo, s3
.LBB12_364:                             ;   in Loop: Header=BB12_9 Depth=1
	s_delay_alu instid0(SALU_CYCLE_1)
	s_or_b32 exec_lo, exec_lo, s54
.LBB12_365:                             ;   in Loop: Header=BB12_9 Depth=1
	s_and_not1_saveexec_b32 s3, s53
	s_delay_alu instid0(SALU_CYCLE_1)
	s_or_b32 exec_lo, exec_lo, s3
                                        ; implicit-def: $vgpr3
.LBB12_366:                             ;   in Loop: Header=BB12_9 Depth=1
	s_and_not1_saveexec_b32 s3, s52
; %bb.367:                              ;   in Loop: Header=BB12_9 Depth=1
	v_cmp_eq_u64_e32 vcc_lo, 0, v[5:6]
	v_or_b32_e32 v1, 0x7f, v3
	s_delay_alu instid0(VALU_DEP_1)
	v_cndmask_b32_e32 v2, v1, v2, vcc_lo
; %bb.368:                              ;   in Loop: Header=BB12_9 Depth=1
	s_or_b32 exec_lo, exec_lo, s3
	v_add_co_u32 v1, vcc_lo, s37, v15
	v_add_co_ci_u32_e32 v4, vcc_lo, s38, v47, vcc_lo
	s_delay_alu instid0(VALU_DEP_2) | instskip(NEXT) | instid1(VALU_DEP_2)
	v_add_co_u32 v3, vcc_lo, v1, v36
	v_add_co_ci_u32_e32 v4, vcc_lo, 0, v4, vcc_lo
	global_store_b8 v[3:4], v2, off
.LBB12_369:                             ;   in Loop: Header=BB12_9 Depth=1
	s_or_b32 exec_lo, exec_lo, s51
	v_sub_nc_u32_e32 v32, s13, v16
	v_ashrrev_i32_e32 v17, 31, v16
	s_mov_b32 s51, exec_lo
	s_delay_alu instid0(VALU_DEP_2) | instskip(NEXT) | instid1(VALU_DEP_2)
	v_ashrrev_i32_e32 v1, 31, v32
	v_lshlrev_b64 v[18:19], 1, v[16:17]
	s_delay_alu instid0(VALU_DEP_2) | instskip(NEXT) | instid1(VALU_DEP_1)
	v_lshrrev_b32_e32 v1, 29, v1
	v_add_nc_u32_e32 v1, v32, v1
	s_delay_alu instid0(VALU_DEP_1) | instskip(NEXT) | instid1(VALU_DEP_1)
	v_ashrrev_i32_e32 v15, 3, v1
	v_cmpx_gt_i32_e64 v15, v36
	s_cbranch_execz .LBB12_516
; %bb.370:                              ;   in Loop: Header=BB12_9 Depth=1
	v_add_co_u32 v1, vcc_lo, v18, v13
	v_add_co_ci_u32_e32 v2, vcc_lo, v19, v14, vcc_lo
	v_add_co_u32 v20, vcc_lo, v11, v16
	v_add_co_ci_u32_e32 v21, vcc_lo, v12, v17, vcc_lo
	s_delay_alu instid0(VALU_DEP_4) | instskip(NEXT) | instid1(VALU_DEP_4)
	v_add_co_u32 v22, vcc_lo, v39, v1
	v_add_co_ci_u32_e32 v23, vcc_lo, v40, v2, vcc_lo
	v_mov_b32_e32 v33, v36
	s_mov_b32 s52, 0
	s_branch .LBB12_372
.LBB12_371:                             ;   in Loop: Header=BB12_372 Depth=2
	s_or_b32 exec_lo, exec_lo, s3
	v_lshlrev_b32_e32 v3, 16, v28
	v_lshlrev_b32_e32 v4, 16, v26
	v_lshlrev_b32_e32 v5, 24, v29
	v_lshlrev_b32_e32 v2, 8, v2
	v_lshlrev_b32_e32 v8, 8, v25
	v_and_b32_e32 v3, 0xff0000, v3
	v_perm_b32 v1, v1, v4, 0x4020c0c
	v_and_b32_e32 v4, 0xff, v27
	v_and_b32_e32 v24, 0xff, v24
	;; [unrolled: 1-line block ×3, first 2 shown]
	v_or_b32_e32 v3, v5, v3
	v_and_or_b32 v1, 0xff00, v8, v1
	v_add_nc_u32_e32 v33, 32, v33
	s_delay_alu instid0(VALU_DEP_3) | instskip(NEXT) | instid1(VALU_DEP_3)
	v_or3_b32 v2, v3, v2, v4
	v_or_b32_e32 v1, v1, v24
	s_delay_alu instid0(VALU_DEP_3) | instskip(SKIP_2) | instid1(VALU_DEP_1)
	v_cmp_ge_i32_e32 vcc_lo, v33, v15
	global_store_b64 v[20:21], v[1:2], off
	v_add_co_u32 v20, s3, 0x100, v20
	v_add_co_ci_u32_e64 v21, s3, 0, v21, s3
	v_add_co_u32 v22, s3, 0x200, v22
	s_delay_alu instid0(VALU_DEP_1) | instskip(SKIP_1) | instid1(SALU_CYCLE_1)
	v_add_co_ci_u32_e64 v23, s3, 0, v23, s3
	s_or_b32 s52, vcc_lo, s52
	s_and_not1_b32 exec_lo, exec_lo, s52
	s_cbranch_execz .LBB12_516
.LBB12_372:                             ;   Parent Loop BB12_9 Depth=1
                                        ; =>  This Inner Loop Header: Depth=2
	global_load_b128 v[1:4], v[22:23], off
	s_mov_b32 s3, exec_lo
	s_waitcnt vmcnt(0)
	v_dual_mov_b32 v28, v6 :: v_dual_lshlrev_b32 v5, 16, v1
	s_delay_alu instid0(VALU_DEP_1) | instskip(NEXT) | instid1(VALU_DEP_1)
	v_div_scale_f32 v8, null, v46, v46, v5
	v_rcp_f32_e32 v24, v8
	s_waitcnt_depctr 0xfff
	v_fma_f32 v25, -v8, v24, 1.0
	s_delay_alu instid0(VALU_DEP_1) | instskip(SKIP_1) | instid1(VALU_DEP_1)
	v_fmac_f32_e32 v24, v25, v24
	v_div_scale_f32 v25, vcc_lo, v5, v46, v5
	v_mul_f32_e32 v26, v25, v24
	s_delay_alu instid0(VALU_DEP_1) | instskip(NEXT) | instid1(VALU_DEP_1)
	v_fma_f32 v27, -v8, v26, v25
	v_fmac_f32_e32 v26, v27, v24
	s_delay_alu instid0(VALU_DEP_1) | instskip(NEXT) | instid1(VALU_DEP_1)
	v_fma_f32 v8, -v8, v26, v25
	v_div_fmas_f32 v8, v8, v24, v26
	s_delay_alu instid0(VALU_DEP_1) | instskip(NEXT) | instid1(VALU_DEP_1)
	v_div_fixup_f32 v26, v8, v46, v5
	v_lshrrev_b32_e32 v25, 24, v26
	v_and_b32_e32 v27, 0x7f800000, v26
	v_and_b32_e32 v5, 0x7fffff, v26
	s_delay_alu instid0(VALU_DEP_3) | instskip(NEXT) | instid1(VALU_DEP_1)
	v_and_b32_e32 v8, 0x80, v25
	v_or_b32_e32 v24, 0x7e, v8
	s_delay_alu instid0(VALU_DEP_4)
	v_cmpx_ne_u64_e32 0x7f800000, v[27:28]
	s_xor_b32 s53, exec_lo, s3
	s_cbranch_execz .LBB12_388
; %bb.373:                              ;   in Loop: Header=BB12_372 Depth=2
	v_dual_mov_b32 v28, v6 :: v_dual_and_b32 v27, 0x7fffffff, v26
	s_mov_b32 s3, exec_lo
	s_delay_alu instid0(VALU_DEP_1)
	v_cmpx_gt_u64_e32 0x43e00001, v[27:28]
	s_xor_b32 s54, exec_lo, s3
	s_cbranch_execz .LBB12_387
; %bb.374:                              ;   in Loop: Header=BB12_372 Depth=2
	s_mov_b32 s55, exec_lo
	v_mov_b32_e32 v24, 0
	v_mov_b32_e32 v25, 0
	v_cmpx_ne_u32_e32 0, v26
	s_cbranch_execz .LBB12_386
; %bb.375:                              ;   in Loop: Header=BB12_372 Depth=2
	v_bfe_u32 v28, v26, 23, 8
	v_or_b32_e32 v26, 0x800000, v5
	s_delay_alu instid0(VALU_DEP_2) | instskip(SKIP_1) | instid1(VALU_DEP_2)
	v_sub_nc_u32_e32 v24, 0x79, v28
	v_cmp_gt_u32_e32 vcc_lo, 0x7a, v28
	v_cndmask_b32_e32 v24, 0, v24, vcc_lo
	v_cmp_eq_u32_e32 vcc_lo, 0, v28
	v_cndmask_b32_e32 v5, v26, v5, vcc_lo
	s_delay_alu instid0(VALU_DEP_3) | instskip(NEXT) | instid1(VALU_DEP_1)
	v_cndmask_b32_e64 v29, v24, 0x78, vcc_lo
	v_add_nc_u32_e32 v24, 20, v29
	v_add_nc_u32_e32 v26, 19, v29
	s_delay_alu instid0(VALU_DEP_2) | instskip(NEXT) | instid1(VALU_DEP_2)
	v_lshlrev_b64 v[24:25], v24, -1
	v_lshlrev_b64 v[26:27], v26, 1
	s_delay_alu instid0(VALU_DEP_2) | instskip(NEXT) | instid1(VALU_DEP_3)
	v_not_b32_e32 v25, v25
	v_not_b32_e32 v24, v24
	s_delay_alu instid0(VALU_DEP_2) | instskip(NEXT) | instid1(VALU_DEP_2)
	v_and_b32_e32 v31, 0, v25
	v_and_b32_e32 v30, v5, v24
	v_lshrrev_b64 v[24:25], v29, v[5:6]
	s_delay_alu instid0(VALU_DEP_2) | instskip(NEXT) | instid1(VALU_DEP_2)
	v_cmp_eq_u64_e64 s3, v[30:31], v[26:27]
	v_dual_mov_b32 v27, v25 :: v_dual_mov_b32 v26, v24
	s_delay_alu instid0(VALU_DEP_2)
	s_and_saveexec_b32 s56, s3
; %bb.376:                              ;   in Loop: Header=BB12_372 Depth=2
	v_bfe_u32 v5, v24, 20, 1
	s_delay_alu instid0(VALU_DEP_1) | instskip(NEXT) | instid1(VALU_DEP_1)
	v_add_co_u32 v5, s3, v24, v5
	v_add_co_u32 v26, s3, v5, -1
; %bb.377:                              ;   in Loop: Header=BB12_372 Depth=2
	s_or_b32 exec_lo, exec_lo, s56
	v_add_nc_u32_e32 v5, 0xffffff81, v28
	v_lshrrev_b32_e32 v27, 23, v24
	s_mov_b32 s3, exec_lo
	s_delay_alu instid0(VALU_DEP_2) | instskip(NEXT) | instid1(VALU_DEP_1)
	v_cndmask_b32_e64 v5, v5, 0xffffff82, vcc_lo
	v_add3_u32 v27, v29, v5, v27
	v_and_b32_e32 v5, 0xfffff, v26
	s_delay_alu instid0(VALU_DEP_2) | instskip(NEXT) | instid1(VALU_DEP_2)
	v_add_nc_u32_e32 v26, 6, v27
	v_add_co_u32 v24, vcc_lo, v5, v24
	v_add_co_ci_u32_e32 v25, vcc_lo, 0, v25, vcc_lo
                                        ; implicit-def: $vgpr5
	s_delay_alu instid0(VALU_DEP_3)
	v_cmpx_ne_u32_e32 0, v26
	s_xor_b32 s3, exec_lo, s3
; %bb.378:                              ;   in Loop: Header=BB12_372 Depth=2
	s_delay_alu instid0(VALU_DEP_2) | instskip(SKIP_1) | instid1(VALU_DEP_1)
	v_cmp_lt_u64_e32 vcc_lo, 0xffffff, v[24:25]
	v_add_nc_u32_e32 v5, 7, v27
	v_cndmask_b32_e32 v5, v26, v5, vcc_lo
	v_cndmask_b32_e64 v26, 0, 1, vcc_lo
	s_delay_alu instid0(VALU_DEP_1)
	v_lshrrev_b64 v[24:25], v26, v[24:25]
; %bb.379:                              ;   in Loop: Header=BB12_372 Depth=2
	s_and_not1_saveexec_b32 s3, s3
; %bb.380:                              ;   in Loop: Header=BB12_372 Depth=2
	s_delay_alu instid0(VALU_DEP_1)
	v_bfe_u32 v5, v24, 23, 1
; %bb.381:                              ;   in Loop: Header=BB12_372 Depth=2
	s_or_b32 exec_lo, exec_lo, s3
	s_delay_alu instid0(VALU_DEP_2) | instskip(NEXT) | instid1(VALU_DEP_2)
	v_lshrrev_b64 v[24:25], 20, v[24:25]
	v_cmp_gt_i32_e32 vcc_lo, 16, v5
	v_cmp_ne_u32_e64 s3, 0, v5
	s_delay_alu instid0(VALU_DEP_3) | instskip(NEXT) | instid1(VALU_DEP_1)
	v_dual_cndmask_b32 v27, 0, v25 :: v_dual_cndmask_b32 v26, 7, v24
                                        ; implicit-def: $vgpr24_vgpr25
	v_cmp_ne_u64_e32 vcc_lo, 0, v[26:27]
	s_delay_alu instid0(VALU_DEP_3) | instskip(NEXT) | instid1(SALU_CYCLE_1)
	s_or_b32 s3, s3, vcc_lo
	s_and_saveexec_b32 s56, s3
	s_delay_alu instid0(SALU_CYCLE_1)
	s_xor_b32 s3, exec_lo, s56
; %bb.382:                              ;   in Loop: Header=BB12_372 Depth=2
	v_min_i32_e32 v5, 15, v5
	s_delay_alu instid0(VALU_DEP_1) | instskip(NEXT) | instid1(VALU_DEP_1)
	v_lshl_or_b32 v5, v5, 3, v8
                                        ; implicit-def: $vgpr8
	v_and_or_b32 v24, v26, 7, v5
; %bb.383:                              ;   in Loop: Header=BB12_372 Depth=2
	s_and_not1_saveexec_b32 s3, s3
; %bb.384:                              ;   in Loop: Header=BB12_372 Depth=2
	v_dual_mov_b32 v25, v9 :: v_dual_mov_b32 v24, v8
; %bb.385:                              ;   in Loop: Header=BB12_372 Depth=2
	s_or_b32 exec_lo, exec_lo, s3
.LBB12_386:                             ;   in Loop: Header=BB12_372 Depth=2
	s_delay_alu instid0(SALU_CYCLE_1)
	s_or_b32 exec_lo, exec_lo, s55
.LBB12_387:                             ;   in Loop: Header=BB12_372 Depth=2
	s_and_not1_saveexec_b32 s3, s54
	s_delay_alu instid0(SALU_CYCLE_1)
	s_or_b32 exec_lo, exec_lo, s3
                                        ; implicit-def: $vgpr25
.LBB12_388:                             ;   in Loop: Header=BB12_372 Depth=2
	s_and_not1_saveexec_b32 s3, s53
; %bb.389:                              ;   in Loop: Header=BB12_372 Depth=2
	v_cmp_eq_u64_e32 vcc_lo, 0, v[5:6]
	v_or_b32_e32 v8, 0x7f, v25
	s_delay_alu instid0(VALU_DEP_1)
	v_cndmask_b32_e32 v24, v8, v24, vcc_lo
; %bb.390:                              ;   in Loop: Header=BB12_372 Depth=2
	s_or_b32 exec_lo, exec_lo, s3
	v_and_b32_e32 v1, 0xffff0000, v1
	s_mov_b32 s3, exec_lo
	v_mov_b32_e32 v28, v6
	s_delay_alu instid0(VALU_DEP_2) | instskip(NEXT) | instid1(VALU_DEP_1)
	v_div_scale_f32 v5, null, v46, v46, v1
	v_rcp_f32_e32 v8, v5
	s_waitcnt_depctr 0xfff
	v_fma_f32 v25, -v5, v8, 1.0
	s_delay_alu instid0(VALU_DEP_1) | instskip(SKIP_1) | instid1(VALU_DEP_1)
	v_fmac_f32_e32 v8, v25, v8
	v_div_scale_f32 v25, vcc_lo, v1, v46, v1
	v_mul_f32_e32 v26, v25, v8
	s_delay_alu instid0(VALU_DEP_1) | instskip(NEXT) | instid1(VALU_DEP_1)
	v_fma_f32 v27, -v5, v26, v25
	v_fmac_f32_e32 v26, v27, v8
	s_delay_alu instid0(VALU_DEP_1) | instskip(NEXT) | instid1(VALU_DEP_1)
	v_fma_f32 v5, -v5, v26, v25
	v_div_fmas_f32 v5, v5, v8, v26
	s_delay_alu instid0(VALU_DEP_1) | instskip(NEXT) | instid1(VALU_DEP_1)
	v_div_fixup_f32 v8, v5, v46, v1
	v_lshrrev_b32_e32 v26, 24, v8
	v_and_b32_e32 v27, 0x7f800000, v8
	v_and_b32_e32 v5, 0x7fffff, v8
	s_delay_alu instid0(VALU_DEP_3) | instskip(NEXT) | instid1(VALU_DEP_1)
	v_and_b32_e32 v1, 0x80, v26
	v_or_b32_e32 v25, 0x7e, v1
	s_delay_alu instid0(VALU_DEP_4)
	v_cmpx_ne_u64_e32 0x7f800000, v[27:28]
	s_xor_b32 s53, exec_lo, s3
	s_cbranch_execz .LBB12_406
; %bb.391:                              ;   in Loop: Header=BB12_372 Depth=2
	v_dual_mov_b32 v27, v6 :: v_dual_and_b32 v26, 0x7fffffff, v8
	s_mov_b32 s3, exec_lo
	s_delay_alu instid0(VALU_DEP_1)
	v_cmpx_gt_u64_e32 0x43e00001, v[26:27]
	s_xor_b32 s54, exec_lo, s3
	s_cbranch_execz .LBB12_405
; %bb.392:                              ;   in Loop: Header=BB12_372 Depth=2
	s_mov_b32 s55, exec_lo
	v_mov_b32_e32 v25, 0
	v_mov_b32_e32 v26, 0
	v_cmpx_ne_u32_e32 0, v8
	s_cbranch_execz .LBB12_404
; %bb.393:                              ;   in Loop: Header=BB12_372 Depth=2
	v_bfe_u32 v8, v8, 23, 8
	v_or_b32_e32 v27, 0x800000, v5
	s_delay_alu instid0(VALU_DEP_2) | instskip(SKIP_1) | instid1(VALU_DEP_2)
	v_sub_nc_u32_e32 v25, 0x79, v8
	v_cmp_gt_u32_e32 vcc_lo, 0x7a, v8
	v_cndmask_b32_e32 v25, 0, v25, vcc_lo
	v_cmp_eq_u32_e32 vcc_lo, 0, v8
	s_delay_alu instid0(VALU_DEP_2) | instskip(SKIP_1) | instid1(VALU_DEP_2)
	v_cndmask_b32_e64 v29, v25, 0x78, vcc_lo
	v_cndmask_b32_e32 v5, v27, v5, vcc_lo
	v_add_nc_u32_e32 v25, 20, v29
	v_add_nc_u32_e32 v27, 19, v29
	s_delay_alu instid0(VALU_DEP_2) | instskip(NEXT) | instid1(VALU_DEP_2)
	v_lshlrev_b64 v[25:26], v25, -1
	v_lshlrev_b64 v[27:28], v27, 1
	s_delay_alu instid0(VALU_DEP_2) | instskip(NEXT) | instid1(VALU_DEP_3)
	v_not_b32_e32 v26, v26
	v_not_b32_e32 v25, v25
	s_delay_alu instid0(VALU_DEP_2) | instskip(NEXT) | instid1(VALU_DEP_2)
	v_and_b32_e32 v31, 0, v26
	v_and_b32_e32 v30, v5, v25
	v_lshrrev_b64 v[25:26], v29, v[5:6]
	s_delay_alu instid0(VALU_DEP_2) | instskip(NEXT) | instid1(VALU_DEP_2)
	v_cmp_eq_u64_e64 s3, v[30:31], v[27:28]
	v_dual_mov_b32 v28, v26 :: v_dual_mov_b32 v27, v25
	s_delay_alu instid0(VALU_DEP_2)
	s_and_saveexec_b32 s56, s3
; %bb.394:                              ;   in Loop: Header=BB12_372 Depth=2
	v_bfe_u32 v5, v25, 20, 1
	s_delay_alu instid0(VALU_DEP_1) | instskip(NEXT) | instid1(VALU_DEP_1)
	v_add_co_u32 v5, s3, v25, v5
	v_add_co_u32 v27, s3, v5, -1
; %bb.395:                              ;   in Loop: Header=BB12_372 Depth=2
	s_or_b32 exec_lo, exec_lo, s56
	v_add_nc_u32_e32 v5, 0xffffff81, v8
	v_lshrrev_b32_e32 v8, 23, v25
	s_mov_b32 s3, exec_lo
	s_delay_alu instid0(VALU_DEP_2) | instskip(NEXT) | instid1(VALU_DEP_1)
	v_cndmask_b32_e64 v5, v5, 0xffffff82, vcc_lo
	v_add3_u32 v8, v29, v5, v8
	v_and_b32_e32 v5, 0xfffff, v27
	s_delay_alu instid0(VALU_DEP_2) | instskip(NEXT) | instid1(VALU_DEP_2)
	v_add_nc_u32_e32 v27, 6, v8
	v_add_co_u32 v25, vcc_lo, v5, v25
	v_add_co_ci_u32_e32 v26, vcc_lo, 0, v26, vcc_lo
                                        ; implicit-def: $vgpr5
	s_delay_alu instid0(VALU_DEP_3)
	v_cmpx_ne_u32_e32 0, v27
	s_xor_b32 s3, exec_lo, s3
; %bb.396:                              ;   in Loop: Header=BB12_372 Depth=2
	s_delay_alu instid0(VALU_DEP_2) | instskip(SKIP_2) | instid1(VALU_DEP_2)
	v_cmp_lt_u64_e32 vcc_lo, 0xffffff, v[25:26]
	v_add_nc_u32_e32 v5, 7, v8
	v_cndmask_b32_e64 v8, 0, 1, vcc_lo
	v_cndmask_b32_e32 v5, v27, v5, vcc_lo
	s_delay_alu instid0(VALU_DEP_2)
	v_lshrrev_b64 v[25:26], v8, v[25:26]
; %bb.397:                              ;   in Loop: Header=BB12_372 Depth=2
	s_and_not1_saveexec_b32 s3, s3
; %bb.398:                              ;   in Loop: Header=BB12_372 Depth=2
	s_delay_alu instid0(VALU_DEP_1)
	v_bfe_u32 v5, v25, 23, 1
; %bb.399:                              ;   in Loop: Header=BB12_372 Depth=2
	s_or_b32 exec_lo, exec_lo, s3
	s_delay_alu instid0(VALU_DEP_2) | instskip(NEXT) | instid1(VALU_DEP_2)
	v_lshrrev_b64 v[25:26], 20, v[25:26]
	v_cmp_gt_i32_e32 vcc_lo, 16, v5
	v_cmp_ne_u32_e64 s3, 0, v5
	s_delay_alu instid0(VALU_DEP_3) | instskip(NEXT) | instid1(VALU_DEP_1)
	v_dual_cndmask_b32 v28, 0, v26 :: v_dual_cndmask_b32 v27, 7, v25
                                        ; implicit-def: $vgpr25_vgpr26
	v_cmp_ne_u64_e32 vcc_lo, 0, v[27:28]
	s_delay_alu instid0(VALU_DEP_3) | instskip(NEXT) | instid1(SALU_CYCLE_1)
	s_or_b32 s3, s3, vcc_lo
	s_and_saveexec_b32 s56, s3
	s_delay_alu instid0(SALU_CYCLE_1)
	s_xor_b32 s3, exec_lo, s56
; %bb.400:                              ;   in Loop: Header=BB12_372 Depth=2
	v_min_i32_e32 v5, 15, v5
	s_delay_alu instid0(VALU_DEP_1) | instskip(NEXT) | instid1(VALU_DEP_1)
	v_lshl_or_b32 v1, v5, 3, v1
	v_and_or_b32 v25, v27, 7, v1
                                        ; implicit-def: $vgpr1
; %bb.401:                              ;   in Loop: Header=BB12_372 Depth=2
	s_and_not1_saveexec_b32 s3, s3
; %bb.402:                              ;   in Loop: Header=BB12_372 Depth=2
	v_dual_mov_b32 v26, v2 :: v_dual_mov_b32 v25, v1
; %bb.403:                              ;   in Loop: Header=BB12_372 Depth=2
	s_or_b32 exec_lo, exec_lo, s3
.LBB12_404:                             ;   in Loop: Header=BB12_372 Depth=2
	s_delay_alu instid0(SALU_CYCLE_1)
	s_or_b32 exec_lo, exec_lo, s55
.LBB12_405:                             ;   in Loop: Header=BB12_372 Depth=2
	s_and_not1_saveexec_b32 s3, s54
	s_delay_alu instid0(SALU_CYCLE_1)
	s_or_b32 exec_lo, exec_lo, s3
                                        ; implicit-def: $vgpr26
.LBB12_406:                             ;   in Loop: Header=BB12_372 Depth=2
	s_and_not1_saveexec_b32 s3, s53
; %bb.407:                              ;   in Loop: Header=BB12_372 Depth=2
	v_cmp_eq_u64_e32 vcc_lo, 0, v[5:6]
	v_or_b32_e32 v1, 0x7f, v26
	s_delay_alu instid0(VALU_DEP_1)
	v_cndmask_b32_e32 v25, v1, v25, vcc_lo
; %bb.408:                              ;   in Loop: Header=BB12_372 Depth=2
	s_or_b32 exec_lo, exec_lo, s3
	v_lshlrev_b32_e32 v1, 16, v2
	s_mov_b32 s3, exec_lo
	v_mov_b32_e32 v29, v6
	s_delay_alu instid0(VALU_DEP_2) | instskip(NEXT) | instid1(VALU_DEP_1)
	v_div_scale_f32 v5, null, v46, v46, v1
	v_rcp_f32_e32 v8, v5
	s_waitcnt_depctr 0xfff
	v_fma_f32 v26, -v5, v8, 1.0
	s_delay_alu instid0(VALU_DEP_1) | instskip(SKIP_1) | instid1(VALU_DEP_1)
	v_fmac_f32_e32 v8, v26, v8
	v_div_scale_f32 v26, vcc_lo, v1, v46, v1
	v_mul_f32_e32 v27, v26, v8
	s_delay_alu instid0(VALU_DEP_1) | instskip(NEXT) | instid1(VALU_DEP_1)
	v_fma_f32 v28, -v5, v27, v26
	v_fmac_f32_e32 v27, v28, v8
	s_delay_alu instid0(VALU_DEP_1) | instskip(NEXT) | instid1(VALU_DEP_1)
	v_fma_f32 v5, -v5, v27, v26
	v_div_fmas_f32 v5, v5, v8, v27
	s_delay_alu instid0(VALU_DEP_1) | instskip(NEXT) | instid1(VALU_DEP_1)
	v_div_fixup_f32 v8, v5, v46, v1
	v_lshrrev_b32_e32 v27, 24, v8
	v_and_b32_e32 v28, 0x7f800000, v8
	v_and_b32_e32 v5, 0x7fffff, v8
	s_delay_alu instid0(VALU_DEP_3) | instskip(NEXT) | instid1(VALU_DEP_1)
	v_and_b32_e32 v1, 0x80, v27
	v_or_b32_e32 v26, 0x7e, v1
	s_delay_alu instid0(VALU_DEP_4)
	v_cmpx_ne_u64_e32 0x7f800000, v[28:29]
	s_xor_b32 s53, exec_lo, s3
	s_cbranch_execz .LBB12_424
; %bb.409:                              ;   in Loop: Header=BB12_372 Depth=2
	v_dual_mov_b32 v28, v6 :: v_dual_and_b32 v27, 0x7fffffff, v8
	s_mov_b32 s3, exec_lo
	s_delay_alu instid0(VALU_DEP_1)
	v_cmpx_gt_u64_e32 0x43e00001, v[27:28]
	s_xor_b32 s54, exec_lo, s3
	s_cbranch_execz .LBB12_423
; %bb.410:                              ;   in Loop: Header=BB12_372 Depth=2
	s_mov_b32 s55, exec_lo
	v_mov_b32_e32 v26, 0
	v_mov_b32_e32 v27, 0
	v_cmpx_ne_u32_e32 0, v8
	s_cbranch_execz .LBB12_422
; %bb.411:                              ;   in Loop: Header=BB12_372 Depth=2
	v_bfe_u32 v8, v8, 23, 8
	v_or_b32_e32 v28, 0x800000, v5
	s_delay_alu instid0(VALU_DEP_2) | instskip(SKIP_1) | instid1(VALU_DEP_2)
	v_sub_nc_u32_e32 v26, 0x79, v8
	v_cmp_gt_u32_e32 vcc_lo, 0x7a, v8
	v_cndmask_b32_e32 v26, 0, v26, vcc_lo
	v_cmp_eq_u32_e32 vcc_lo, 0, v8
	v_cndmask_b32_e32 v5, v28, v5, vcc_lo
	s_delay_alu instid0(VALU_DEP_3) | instskip(NEXT) | instid1(VALU_DEP_1)
	v_cndmask_b32_e64 v30, v26, 0x78, vcc_lo
	v_add_nc_u32_e32 v26, 20, v30
	v_add_nc_u32_e32 v28, 19, v30
	s_delay_alu instid0(VALU_DEP_2) | instskip(NEXT) | instid1(VALU_DEP_2)
	v_lshlrev_b64 v[26:27], v26, -1
	v_lshlrev_b64 v[28:29], v28, 1
	s_delay_alu instid0(VALU_DEP_2) | instskip(NEXT) | instid1(VALU_DEP_3)
	v_not_b32_e32 v27, v27
	v_not_b32_e32 v26, v26
	s_delay_alu instid0(VALU_DEP_2) | instskip(NEXT) | instid1(VALU_DEP_2)
	v_and_b32_e32 v48, 0, v27
	v_and_b32_e32 v47, v5, v26
	v_lshrrev_b64 v[26:27], v30, v[5:6]
	s_delay_alu instid0(VALU_DEP_2) | instskip(NEXT) | instid1(VALU_DEP_2)
	v_cmp_eq_u64_e64 s3, v[47:48], v[28:29]
	v_dual_mov_b32 v29, v27 :: v_dual_mov_b32 v28, v26
	s_delay_alu instid0(VALU_DEP_2)
	s_and_saveexec_b32 s56, s3
; %bb.412:                              ;   in Loop: Header=BB12_372 Depth=2
	v_bfe_u32 v5, v26, 20, 1
	s_delay_alu instid0(VALU_DEP_1) | instskip(NEXT) | instid1(VALU_DEP_1)
	v_add_co_u32 v5, s3, v26, v5
	v_add_co_u32 v28, s3, v5, -1
; %bb.413:                              ;   in Loop: Header=BB12_372 Depth=2
	s_or_b32 exec_lo, exec_lo, s56
	v_add_nc_u32_e32 v5, 0xffffff81, v8
	v_lshrrev_b32_e32 v8, 23, v26
	s_mov_b32 s3, exec_lo
	s_delay_alu instid0(VALU_DEP_2) | instskip(NEXT) | instid1(VALU_DEP_1)
	v_cndmask_b32_e64 v5, v5, 0xffffff82, vcc_lo
	v_add3_u32 v8, v30, v5, v8
	v_and_b32_e32 v5, 0xfffff, v28
	s_delay_alu instid0(VALU_DEP_2) | instskip(NEXT) | instid1(VALU_DEP_2)
	v_add_nc_u32_e32 v28, 6, v8
	v_add_co_u32 v26, vcc_lo, v5, v26
	v_add_co_ci_u32_e32 v27, vcc_lo, 0, v27, vcc_lo
                                        ; implicit-def: $vgpr5
	s_delay_alu instid0(VALU_DEP_3)
	v_cmpx_ne_u32_e32 0, v28
	s_xor_b32 s3, exec_lo, s3
; %bb.414:                              ;   in Loop: Header=BB12_372 Depth=2
	s_delay_alu instid0(VALU_DEP_2) | instskip(SKIP_2) | instid1(VALU_DEP_2)
	v_cmp_lt_u64_e32 vcc_lo, 0xffffff, v[26:27]
	v_add_nc_u32_e32 v5, 7, v8
	v_cndmask_b32_e64 v8, 0, 1, vcc_lo
	v_cndmask_b32_e32 v5, v28, v5, vcc_lo
	s_delay_alu instid0(VALU_DEP_2)
	v_lshrrev_b64 v[26:27], v8, v[26:27]
; %bb.415:                              ;   in Loop: Header=BB12_372 Depth=2
	s_and_not1_saveexec_b32 s3, s3
; %bb.416:                              ;   in Loop: Header=BB12_372 Depth=2
	s_delay_alu instid0(VALU_DEP_1)
	v_bfe_u32 v5, v26, 23, 1
; %bb.417:                              ;   in Loop: Header=BB12_372 Depth=2
	s_or_b32 exec_lo, exec_lo, s3
	s_delay_alu instid0(VALU_DEP_2) | instskip(NEXT) | instid1(VALU_DEP_2)
	v_lshrrev_b64 v[26:27], 20, v[26:27]
	v_cmp_gt_i32_e32 vcc_lo, 16, v5
	v_cmp_ne_u32_e64 s3, 0, v5
	s_delay_alu instid0(VALU_DEP_3) | instskip(NEXT) | instid1(VALU_DEP_1)
	v_dual_cndmask_b32 v29, 0, v27 :: v_dual_cndmask_b32 v28, 7, v26
                                        ; implicit-def: $vgpr26_vgpr27
	v_cmp_ne_u64_e32 vcc_lo, 0, v[28:29]
	s_delay_alu instid0(VALU_DEP_3) | instskip(NEXT) | instid1(SALU_CYCLE_1)
	s_or_b32 s3, s3, vcc_lo
	s_and_saveexec_b32 s56, s3
	s_delay_alu instid0(SALU_CYCLE_1)
	s_xor_b32 s3, exec_lo, s56
; %bb.418:                              ;   in Loop: Header=BB12_372 Depth=2
	v_min_i32_e32 v5, 15, v5
	s_delay_alu instid0(VALU_DEP_1) | instskip(NEXT) | instid1(VALU_DEP_1)
	v_lshl_or_b32 v1, v5, 3, v1
	v_and_or_b32 v26, v28, 7, v1
                                        ; implicit-def: $vgpr1
; %bb.419:                              ;   in Loop: Header=BB12_372 Depth=2
	s_and_not1_saveexec_b32 s3, s3
; %bb.420:                              ;   in Loop: Header=BB12_372 Depth=2
	v_dual_mov_b32 v27, v2 :: v_dual_mov_b32 v26, v1
; %bb.421:                              ;   in Loop: Header=BB12_372 Depth=2
	s_or_b32 exec_lo, exec_lo, s3
.LBB12_422:                             ;   in Loop: Header=BB12_372 Depth=2
	s_delay_alu instid0(SALU_CYCLE_1)
	s_or_b32 exec_lo, exec_lo, s55
.LBB12_423:                             ;   in Loop: Header=BB12_372 Depth=2
	s_and_not1_saveexec_b32 s3, s54
	s_delay_alu instid0(SALU_CYCLE_1)
	s_or_b32 exec_lo, exec_lo, s3
                                        ; implicit-def: $vgpr27
.LBB12_424:                             ;   in Loop: Header=BB12_372 Depth=2
	s_and_not1_saveexec_b32 s3, s53
; %bb.425:                              ;   in Loop: Header=BB12_372 Depth=2
	v_cmp_eq_u64_e32 vcc_lo, 0, v[5:6]
	v_or_b32_e32 v1, 0x7f, v27
	s_delay_alu instid0(VALU_DEP_1)
	v_cndmask_b32_e32 v26, v1, v26, vcc_lo
; %bb.426:                              ;   in Loop: Header=BB12_372 Depth=2
	s_or_b32 exec_lo, exec_lo, s3
	v_and_b32_e32 v1, 0xffff0000, v2
	v_mov_b32_e32 v29, v6
	s_mov_b32 s3, exec_lo
	s_delay_alu instid0(VALU_DEP_2) | instskip(NEXT) | instid1(VALU_DEP_1)
	v_div_scale_f32 v2, null, v46, v46, v1
	v_rcp_f32_e32 v5, v2
	s_waitcnt_depctr 0xfff
	v_fma_f32 v8, -v2, v5, 1.0
	s_delay_alu instid0(VALU_DEP_1) | instskip(SKIP_1) | instid1(VALU_DEP_1)
	v_fmac_f32_e32 v5, v8, v5
	v_div_scale_f32 v8, vcc_lo, v1, v46, v1
	v_mul_f32_e32 v27, v8, v5
	s_delay_alu instid0(VALU_DEP_1) | instskip(NEXT) | instid1(VALU_DEP_1)
	v_fma_f32 v28, -v2, v27, v8
	v_fmac_f32_e32 v27, v28, v5
	s_delay_alu instid0(VALU_DEP_1) | instskip(NEXT) | instid1(VALU_DEP_1)
	v_fma_f32 v2, -v2, v27, v8
	v_div_fmas_f32 v2, v2, v5, v27
	s_delay_alu instid0(VALU_DEP_1) | instskip(NEXT) | instid1(VALU_DEP_1)
	v_div_fixup_f32 v27, v2, v46, v1
	v_lshrrev_b32_e32 v2, 24, v27
	v_and_b32_e32 v28, 0x7f800000, v27
	v_and_b32_e32 v5, 0x7fffff, v27
	s_delay_alu instid0(VALU_DEP_3) | instskip(NEXT) | instid1(VALU_DEP_1)
	v_and_b32_e32 v8, 0x80, v2
	v_or_b32_e32 v1, 0x7e, v8
	s_delay_alu instid0(VALU_DEP_4)
	v_cmpx_ne_u64_e32 0x7f800000, v[28:29]
	s_xor_b32 s53, exec_lo, s3
	s_cbranch_execz .LBB12_442
; %bb.427:                              ;   in Loop: Header=BB12_372 Depth=2
	v_dual_mov_b32 v29, v6 :: v_dual_and_b32 v28, 0x7fffffff, v27
	s_mov_b32 s3, exec_lo
	s_delay_alu instid0(VALU_DEP_1)
	v_cmpx_gt_u64_e32 0x43e00001, v[28:29]
	s_xor_b32 s54, exec_lo, s3
	s_cbranch_execz .LBB12_441
; %bb.428:                              ;   in Loop: Header=BB12_372 Depth=2
	s_mov_b32 s55, exec_lo
	v_mov_b32_e32 v1, 0
	v_mov_b32_e32 v2, 0
	v_cmpx_ne_u32_e32 0, v27
	s_cbranch_execz .LBB12_440
; %bb.429:                              ;   in Loop: Header=BB12_372 Depth=2
	v_bfe_u32 v29, v27, 23, 8
	v_or_b32_e32 v27, 0x800000, v5
	s_delay_alu instid0(VALU_DEP_2) | instskip(SKIP_1) | instid1(VALU_DEP_2)
	v_sub_nc_u32_e32 v1, 0x79, v29
	v_cmp_gt_u32_e32 vcc_lo, 0x7a, v29
	v_cndmask_b32_e32 v1, 0, v1, vcc_lo
	v_cmp_eq_u32_e32 vcc_lo, 0, v29
	s_delay_alu instid0(VALU_DEP_2) | instskip(SKIP_1) | instid1(VALU_DEP_2)
	v_cndmask_b32_e64 v30, v1, 0x78, vcc_lo
	v_cndmask_b32_e32 v5, v27, v5, vcc_lo
	v_add_nc_u32_e32 v1, 20, v30
	v_add_nc_u32_e32 v27, 19, v30
	s_delay_alu instid0(VALU_DEP_2) | instskip(NEXT) | instid1(VALU_DEP_2)
	v_lshlrev_b64 v[1:2], v1, -1
	v_lshlrev_b64 v[27:28], v27, 1
	s_delay_alu instid0(VALU_DEP_2) | instskip(NEXT) | instid1(VALU_DEP_3)
	v_not_b32_e32 v2, v2
	v_not_b32_e32 v1, v1
	s_delay_alu instid0(VALU_DEP_2) | instskip(NEXT) | instid1(VALU_DEP_2)
	v_and_b32_e32 v48, 0, v2
	v_and_b32_e32 v47, v5, v1
	v_lshrrev_b64 v[1:2], v30, v[5:6]
	s_delay_alu instid0(VALU_DEP_2) | instskip(NEXT) | instid1(VALU_DEP_2)
	v_cmp_eq_u64_e64 s3, v[47:48], v[27:28]
	v_dual_mov_b32 v28, v2 :: v_dual_mov_b32 v27, v1
	s_delay_alu instid0(VALU_DEP_2)
	s_and_saveexec_b32 s56, s3
; %bb.430:                              ;   in Loop: Header=BB12_372 Depth=2
	v_bfe_u32 v5, v1, 20, 1
	s_delay_alu instid0(VALU_DEP_1) | instskip(NEXT) | instid1(VALU_DEP_1)
	v_add_co_u32 v5, s3, v1, v5
	v_add_co_u32 v27, s3, v5, -1
; %bb.431:                              ;   in Loop: Header=BB12_372 Depth=2
	s_or_b32 exec_lo, exec_lo, s56
	v_add_nc_u32_e32 v5, 0xffffff81, v29
	v_lshrrev_b32_e32 v28, 23, v1
	s_mov_b32 s3, exec_lo
	s_delay_alu instid0(VALU_DEP_2) | instskip(NEXT) | instid1(VALU_DEP_1)
	v_cndmask_b32_e64 v5, v5, 0xffffff82, vcc_lo
	v_add3_u32 v28, v30, v5, v28
	v_and_b32_e32 v5, 0xfffff, v27
	s_delay_alu instid0(VALU_DEP_2) | instskip(NEXT) | instid1(VALU_DEP_2)
	v_add_nc_u32_e32 v27, 6, v28
	v_add_co_u32 v1, vcc_lo, v5, v1
	v_add_co_ci_u32_e32 v2, vcc_lo, 0, v2, vcc_lo
                                        ; implicit-def: $vgpr5
	s_delay_alu instid0(VALU_DEP_3)
	v_cmpx_ne_u32_e32 0, v27
	s_xor_b32 s3, exec_lo, s3
; %bb.432:                              ;   in Loop: Header=BB12_372 Depth=2
	s_delay_alu instid0(VALU_DEP_2) | instskip(SKIP_1) | instid1(VALU_DEP_1)
	v_cmp_lt_u64_e32 vcc_lo, 0xffffff, v[1:2]
	v_add_nc_u32_e32 v5, 7, v28
	v_cndmask_b32_e32 v5, v27, v5, vcc_lo
	v_cndmask_b32_e64 v27, 0, 1, vcc_lo
	s_delay_alu instid0(VALU_DEP_1)
	v_lshrrev_b64 v[1:2], v27, v[1:2]
; %bb.433:                              ;   in Loop: Header=BB12_372 Depth=2
	s_and_not1_saveexec_b32 s3, s3
; %bb.434:                              ;   in Loop: Header=BB12_372 Depth=2
	s_delay_alu instid0(VALU_DEP_1)
	v_bfe_u32 v5, v1, 23, 1
; %bb.435:                              ;   in Loop: Header=BB12_372 Depth=2
	s_or_b32 exec_lo, exec_lo, s3
	s_delay_alu instid0(VALU_DEP_2) | instskip(NEXT) | instid1(VALU_DEP_2)
	v_lshrrev_b64 v[1:2], 20, v[1:2]
	v_cmp_gt_i32_e32 vcc_lo, 16, v5
	v_cmp_ne_u32_e64 s3, 0, v5
	s_delay_alu instid0(VALU_DEP_3) | instskip(NEXT) | instid1(VALU_DEP_1)
	v_dual_cndmask_b32 v28, 0, v2 :: v_dual_cndmask_b32 v27, 7, v1
                                        ; implicit-def: $vgpr1_vgpr2
	v_cmp_ne_u64_e32 vcc_lo, 0, v[27:28]
	s_delay_alu instid0(VALU_DEP_3) | instskip(NEXT) | instid1(SALU_CYCLE_1)
	s_or_b32 s3, s3, vcc_lo
	s_and_saveexec_b32 s56, s3
	s_delay_alu instid0(SALU_CYCLE_1)
	s_xor_b32 s3, exec_lo, s56
; %bb.436:                              ;   in Loop: Header=BB12_372 Depth=2
	v_min_i32_e32 v1, 15, v5
	s_delay_alu instid0(VALU_DEP_1) | instskip(NEXT) | instid1(VALU_DEP_1)
	v_lshl_or_b32 v1, v1, 3, v8
                                        ; implicit-def: $vgpr8
	v_and_or_b32 v1, v27, 7, v1
; %bb.437:                              ;   in Loop: Header=BB12_372 Depth=2
	s_and_not1_saveexec_b32 s3, s3
; %bb.438:                              ;   in Loop: Header=BB12_372 Depth=2
	v_dual_mov_b32 v1, v8 :: v_dual_mov_b32 v2, v9
; %bb.439:                              ;   in Loop: Header=BB12_372 Depth=2
	s_or_b32 exec_lo, exec_lo, s3
.LBB12_440:                             ;   in Loop: Header=BB12_372 Depth=2
	s_delay_alu instid0(SALU_CYCLE_1)
	s_or_b32 exec_lo, exec_lo, s55
.LBB12_441:                             ;   in Loop: Header=BB12_372 Depth=2
	s_and_not1_saveexec_b32 s3, s54
	s_delay_alu instid0(SALU_CYCLE_1)
	s_or_b32 exec_lo, exec_lo, s3
                                        ; implicit-def: $vgpr2
.LBB12_442:                             ;   in Loop: Header=BB12_372 Depth=2
	s_and_not1_saveexec_b32 s3, s53
; %bb.443:                              ;   in Loop: Header=BB12_372 Depth=2
	v_cmp_eq_u64_e32 vcc_lo, 0, v[5:6]
	v_or_b32_e32 v2, 0x7f, v2
	s_delay_alu instid0(VALU_DEP_1)
	v_cndmask_b32_e32 v1, v2, v1, vcc_lo
; %bb.444:                              ;   in Loop: Header=BB12_372 Depth=2
	s_or_b32 exec_lo, exec_lo, s3
	v_lshlrev_b32_e32 v2, 16, v3
	s_mov_b32 s3, exec_lo
	v_mov_b32_e32 v30, v6
	s_delay_alu instid0(VALU_DEP_2) | instskip(NEXT) | instid1(VALU_DEP_1)
	v_div_scale_f32 v5, null, v46, v46, v2
	v_rcp_f32_e32 v8, v5
	s_waitcnt_depctr 0xfff
	v_fma_f32 v27, -v5, v8, 1.0
	s_delay_alu instid0(VALU_DEP_1) | instskip(SKIP_1) | instid1(VALU_DEP_1)
	v_fmac_f32_e32 v8, v27, v8
	v_div_scale_f32 v27, vcc_lo, v2, v46, v2
	v_mul_f32_e32 v28, v27, v8
	s_delay_alu instid0(VALU_DEP_1) | instskip(NEXT) | instid1(VALU_DEP_1)
	v_fma_f32 v29, -v5, v28, v27
	v_fmac_f32_e32 v28, v29, v8
	s_delay_alu instid0(VALU_DEP_1) | instskip(NEXT) | instid1(VALU_DEP_1)
	v_fma_f32 v5, -v5, v28, v27
	v_div_fmas_f32 v5, v5, v8, v28
	s_delay_alu instid0(VALU_DEP_1) | instskip(NEXT) | instid1(VALU_DEP_1)
	v_div_fixup_f32 v8, v5, v46, v2
	v_lshrrev_b32_e32 v28, 24, v8
	v_and_b32_e32 v29, 0x7f800000, v8
	v_and_b32_e32 v5, 0x7fffff, v8
	s_delay_alu instid0(VALU_DEP_3) | instskip(NEXT) | instid1(VALU_DEP_1)
	v_and_b32_e32 v2, 0x80, v28
	v_or_b32_e32 v27, 0x7e, v2
	s_delay_alu instid0(VALU_DEP_4)
	v_cmpx_ne_u64_e32 0x7f800000, v[29:30]
	s_xor_b32 s53, exec_lo, s3
	s_cbranch_execz .LBB12_460
; %bb.445:                              ;   in Loop: Header=BB12_372 Depth=2
	v_dual_mov_b32 v29, v6 :: v_dual_and_b32 v28, 0x7fffffff, v8
	s_mov_b32 s3, exec_lo
	s_delay_alu instid0(VALU_DEP_1)
	v_cmpx_gt_u64_e32 0x43e00001, v[28:29]
	s_xor_b32 s54, exec_lo, s3
	s_cbranch_execz .LBB12_459
; %bb.446:                              ;   in Loop: Header=BB12_372 Depth=2
	s_mov_b32 s55, exec_lo
	v_mov_b32_e32 v27, 0
	v_mov_b32_e32 v28, 0
	v_cmpx_ne_u32_e32 0, v8
	s_cbranch_execz .LBB12_458
; %bb.447:                              ;   in Loop: Header=BB12_372 Depth=2
	v_bfe_u32 v8, v8, 23, 8
	v_or_b32_e32 v29, 0x800000, v5
	s_delay_alu instid0(VALU_DEP_2) | instskip(SKIP_1) | instid1(VALU_DEP_2)
	v_sub_nc_u32_e32 v27, 0x79, v8
	v_cmp_gt_u32_e32 vcc_lo, 0x7a, v8
	v_cndmask_b32_e32 v27, 0, v27, vcc_lo
	v_cmp_eq_u32_e32 vcc_lo, 0, v8
	s_delay_alu instid0(VALU_DEP_2) | instskip(SKIP_1) | instid1(VALU_DEP_2)
	v_cndmask_b32_e64 v31, v27, 0x78, vcc_lo
	v_cndmask_b32_e32 v5, v29, v5, vcc_lo
	v_add_nc_u32_e32 v27, 20, v31
	v_add_nc_u32_e32 v29, 19, v31
	s_delay_alu instid0(VALU_DEP_2) | instskip(NEXT) | instid1(VALU_DEP_2)
	v_lshlrev_b64 v[27:28], v27, -1
	v_lshlrev_b64 v[29:30], v29, 1
	s_delay_alu instid0(VALU_DEP_2) | instskip(NEXT) | instid1(VALU_DEP_3)
	v_not_b32_e32 v28, v28
	v_not_b32_e32 v27, v27
	s_delay_alu instid0(VALU_DEP_2) | instskip(NEXT) | instid1(VALU_DEP_2)
	v_and_b32_e32 v48, 0, v28
	v_and_b32_e32 v47, v5, v27
	v_lshrrev_b64 v[27:28], v31, v[5:6]
	s_delay_alu instid0(VALU_DEP_2) | instskip(NEXT) | instid1(VALU_DEP_2)
	v_cmp_eq_u64_e64 s3, v[47:48], v[29:30]
	v_dual_mov_b32 v30, v28 :: v_dual_mov_b32 v29, v27
	s_delay_alu instid0(VALU_DEP_2)
	s_and_saveexec_b32 s56, s3
; %bb.448:                              ;   in Loop: Header=BB12_372 Depth=2
	v_bfe_u32 v5, v27, 20, 1
	s_delay_alu instid0(VALU_DEP_1) | instskip(NEXT) | instid1(VALU_DEP_1)
	v_add_co_u32 v5, s3, v27, v5
	v_add_co_u32 v29, s3, v5, -1
; %bb.449:                              ;   in Loop: Header=BB12_372 Depth=2
	s_or_b32 exec_lo, exec_lo, s56
	v_add_nc_u32_e32 v5, 0xffffff81, v8
	v_lshrrev_b32_e32 v8, 23, v27
	s_mov_b32 s3, exec_lo
	s_delay_alu instid0(VALU_DEP_2) | instskip(NEXT) | instid1(VALU_DEP_1)
	v_cndmask_b32_e64 v5, v5, 0xffffff82, vcc_lo
	v_add3_u32 v8, v31, v5, v8
	v_and_b32_e32 v5, 0xfffff, v29
	s_delay_alu instid0(VALU_DEP_2) | instskip(NEXT) | instid1(VALU_DEP_2)
	v_add_nc_u32_e32 v29, 6, v8
	v_add_co_u32 v27, vcc_lo, v5, v27
	v_add_co_ci_u32_e32 v28, vcc_lo, 0, v28, vcc_lo
                                        ; implicit-def: $vgpr5
	s_delay_alu instid0(VALU_DEP_3)
	v_cmpx_ne_u32_e32 0, v29
	s_xor_b32 s3, exec_lo, s3
; %bb.450:                              ;   in Loop: Header=BB12_372 Depth=2
	s_delay_alu instid0(VALU_DEP_2) | instskip(SKIP_2) | instid1(VALU_DEP_2)
	v_cmp_lt_u64_e32 vcc_lo, 0xffffff, v[27:28]
	v_add_nc_u32_e32 v5, 7, v8
	v_cndmask_b32_e64 v8, 0, 1, vcc_lo
	v_cndmask_b32_e32 v5, v29, v5, vcc_lo
	s_delay_alu instid0(VALU_DEP_2)
	v_lshrrev_b64 v[27:28], v8, v[27:28]
; %bb.451:                              ;   in Loop: Header=BB12_372 Depth=2
	s_and_not1_saveexec_b32 s3, s3
; %bb.452:                              ;   in Loop: Header=BB12_372 Depth=2
	s_delay_alu instid0(VALU_DEP_1)
	v_bfe_u32 v5, v27, 23, 1
; %bb.453:                              ;   in Loop: Header=BB12_372 Depth=2
	s_or_b32 exec_lo, exec_lo, s3
	s_delay_alu instid0(VALU_DEP_2) | instskip(NEXT) | instid1(VALU_DEP_2)
	v_lshrrev_b64 v[27:28], 20, v[27:28]
	v_cmp_gt_i32_e32 vcc_lo, 16, v5
	v_cmp_ne_u32_e64 s3, 0, v5
	s_delay_alu instid0(VALU_DEP_3) | instskip(NEXT) | instid1(VALU_DEP_1)
	v_dual_cndmask_b32 v30, 0, v28 :: v_dual_cndmask_b32 v29, 7, v27
                                        ; implicit-def: $vgpr27_vgpr28
	v_cmp_ne_u64_e32 vcc_lo, 0, v[29:30]
	s_delay_alu instid0(VALU_DEP_3) | instskip(NEXT) | instid1(SALU_CYCLE_1)
	s_or_b32 s3, s3, vcc_lo
	s_and_saveexec_b32 s56, s3
	s_delay_alu instid0(SALU_CYCLE_1)
	s_xor_b32 s3, exec_lo, s56
; %bb.454:                              ;   in Loop: Header=BB12_372 Depth=2
	v_min_i32_e32 v5, 15, v5
	s_delay_alu instid0(VALU_DEP_1) | instskip(NEXT) | instid1(VALU_DEP_1)
	v_lshl_or_b32 v2, v5, 3, v2
	v_and_or_b32 v27, v29, 7, v2
                                        ; implicit-def: $vgpr2
; %bb.455:                              ;   in Loop: Header=BB12_372 Depth=2
	s_and_not1_saveexec_b32 s3, s3
; %bb.456:                              ;   in Loop: Header=BB12_372 Depth=2
	v_dual_mov_b32 v28, v3 :: v_dual_mov_b32 v27, v2
; %bb.457:                              ;   in Loop: Header=BB12_372 Depth=2
	s_or_b32 exec_lo, exec_lo, s3
.LBB12_458:                             ;   in Loop: Header=BB12_372 Depth=2
	s_delay_alu instid0(SALU_CYCLE_1)
	s_or_b32 exec_lo, exec_lo, s55
.LBB12_459:                             ;   in Loop: Header=BB12_372 Depth=2
	s_and_not1_saveexec_b32 s3, s54
	s_delay_alu instid0(SALU_CYCLE_1)
	s_or_b32 exec_lo, exec_lo, s3
                                        ; implicit-def: $vgpr28
.LBB12_460:                             ;   in Loop: Header=BB12_372 Depth=2
	s_and_not1_saveexec_b32 s3, s53
; %bb.461:                              ;   in Loop: Header=BB12_372 Depth=2
	v_cmp_eq_u64_e32 vcc_lo, 0, v[5:6]
	v_or_b32_e32 v2, 0x7f, v28
	s_delay_alu instid0(VALU_DEP_1)
	v_cndmask_b32_e32 v27, v2, v27, vcc_lo
; %bb.462:                              ;   in Loop: Header=BB12_372 Depth=2
	s_or_b32 exec_lo, exec_lo, s3
	v_and_b32_e32 v2, 0xffff0000, v3
	s_mov_b32 s3, exec_lo
	v_mov_b32_e32 v30, v6
	s_delay_alu instid0(VALU_DEP_2) | instskip(NEXT) | instid1(VALU_DEP_1)
	v_div_scale_f32 v3, null, v46, v46, v2
	v_rcp_f32_e32 v5, v3
	s_waitcnt_depctr 0xfff
	v_fma_f32 v8, -v3, v5, 1.0
	s_delay_alu instid0(VALU_DEP_1) | instskip(SKIP_1) | instid1(VALU_DEP_1)
	v_fmac_f32_e32 v5, v8, v5
	v_div_scale_f32 v8, vcc_lo, v2, v46, v2
	v_mul_f32_e32 v28, v8, v5
	s_delay_alu instid0(VALU_DEP_1) | instskip(NEXT) | instid1(VALU_DEP_1)
	v_fma_f32 v29, -v3, v28, v8
	v_fmac_f32_e32 v28, v29, v5
	s_delay_alu instid0(VALU_DEP_1) | instskip(NEXT) | instid1(VALU_DEP_1)
	v_fma_f32 v3, -v3, v28, v8
	v_div_fmas_f32 v3, v3, v5, v28
	s_delay_alu instid0(VALU_DEP_1) | instskip(NEXT) | instid1(VALU_DEP_1)
	v_div_fixup_f32 v28, v3, v46, v2
	v_lshrrev_b32_e32 v3, 24, v28
	v_and_b32_e32 v29, 0x7f800000, v28
	v_and_b32_e32 v5, 0x7fffff, v28
	s_delay_alu instid0(VALU_DEP_3) | instskip(NEXT) | instid1(VALU_DEP_1)
	v_and_b32_e32 v8, 0x80, v3
	v_or_b32_e32 v2, 0x7e, v8
	s_delay_alu instid0(VALU_DEP_4)
	v_cmpx_ne_u64_e32 0x7f800000, v[29:30]
	s_xor_b32 s53, exec_lo, s3
	s_cbranch_execz .LBB12_478
; %bb.463:                              ;   in Loop: Header=BB12_372 Depth=2
	v_dual_mov_b32 v30, v6 :: v_dual_and_b32 v29, 0x7fffffff, v28
	s_mov_b32 s3, exec_lo
	s_delay_alu instid0(VALU_DEP_1)
	v_cmpx_gt_u64_e32 0x43e00001, v[29:30]
	s_xor_b32 s54, exec_lo, s3
	s_cbranch_execz .LBB12_477
; %bb.464:                              ;   in Loop: Header=BB12_372 Depth=2
	s_mov_b32 s55, exec_lo
	v_mov_b32_e32 v2, 0
	v_mov_b32_e32 v3, 0
	v_cmpx_ne_u32_e32 0, v28
	s_cbranch_execz .LBB12_476
; %bb.465:                              ;   in Loop: Header=BB12_372 Depth=2
	v_bfe_u32 v30, v28, 23, 8
	v_or_b32_e32 v28, 0x800000, v5
	s_delay_alu instid0(VALU_DEP_2) | instskip(SKIP_1) | instid1(VALU_DEP_2)
	v_sub_nc_u32_e32 v2, 0x79, v30
	v_cmp_gt_u32_e32 vcc_lo, 0x7a, v30
	v_cndmask_b32_e32 v2, 0, v2, vcc_lo
	v_cmp_eq_u32_e32 vcc_lo, 0, v30
	v_cndmask_b32_e32 v5, v28, v5, vcc_lo
	s_delay_alu instid0(VALU_DEP_3) | instskip(NEXT) | instid1(VALU_DEP_1)
	v_cndmask_b32_e64 v31, v2, 0x78, vcc_lo
	v_add_nc_u32_e32 v2, 20, v31
	v_add_nc_u32_e32 v28, 19, v31
	s_delay_alu instid0(VALU_DEP_2) | instskip(NEXT) | instid1(VALU_DEP_2)
	v_lshlrev_b64 v[2:3], v2, -1
	v_lshlrev_b64 v[28:29], v28, 1
	s_delay_alu instid0(VALU_DEP_2) | instskip(NEXT) | instid1(VALU_DEP_3)
	v_not_b32_e32 v3, v3
	v_not_b32_e32 v2, v2
	s_delay_alu instid0(VALU_DEP_2) | instskip(NEXT) | instid1(VALU_DEP_2)
	v_and_b32_e32 v48, 0, v3
	v_and_b32_e32 v47, v5, v2
	v_lshrrev_b64 v[2:3], v31, v[5:6]
	s_delay_alu instid0(VALU_DEP_2) | instskip(NEXT) | instid1(VALU_DEP_2)
	v_cmp_eq_u64_e64 s3, v[47:48], v[28:29]
	v_dual_mov_b32 v29, v3 :: v_dual_mov_b32 v28, v2
	s_delay_alu instid0(VALU_DEP_2)
	s_and_saveexec_b32 s56, s3
; %bb.466:                              ;   in Loop: Header=BB12_372 Depth=2
	v_bfe_u32 v5, v2, 20, 1
	s_delay_alu instid0(VALU_DEP_1) | instskip(NEXT) | instid1(VALU_DEP_1)
	v_add_co_u32 v5, s3, v2, v5
	v_add_co_u32 v28, s3, v5, -1
; %bb.467:                              ;   in Loop: Header=BB12_372 Depth=2
	s_or_b32 exec_lo, exec_lo, s56
	v_add_nc_u32_e32 v5, 0xffffff81, v30
	v_lshrrev_b32_e32 v29, 23, v2
	s_mov_b32 s3, exec_lo
	s_delay_alu instid0(VALU_DEP_2) | instskip(NEXT) | instid1(VALU_DEP_1)
	v_cndmask_b32_e64 v5, v5, 0xffffff82, vcc_lo
	v_add3_u32 v29, v31, v5, v29
	v_and_b32_e32 v5, 0xfffff, v28
	s_delay_alu instid0(VALU_DEP_2) | instskip(NEXT) | instid1(VALU_DEP_2)
	v_add_nc_u32_e32 v28, 6, v29
	v_add_co_u32 v2, vcc_lo, v5, v2
	v_add_co_ci_u32_e32 v3, vcc_lo, 0, v3, vcc_lo
                                        ; implicit-def: $vgpr5
	s_delay_alu instid0(VALU_DEP_3)
	v_cmpx_ne_u32_e32 0, v28
	s_xor_b32 s3, exec_lo, s3
; %bb.468:                              ;   in Loop: Header=BB12_372 Depth=2
	s_delay_alu instid0(VALU_DEP_2) | instskip(SKIP_1) | instid1(VALU_DEP_1)
	v_cmp_lt_u64_e32 vcc_lo, 0xffffff, v[2:3]
	v_add_nc_u32_e32 v5, 7, v29
	v_cndmask_b32_e32 v5, v28, v5, vcc_lo
	v_cndmask_b32_e64 v28, 0, 1, vcc_lo
	s_delay_alu instid0(VALU_DEP_1)
	v_lshrrev_b64 v[2:3], v28, v[2:3]
; %bb.469:                              ;   in Loop: Header=BB12_372 Depth=2
	s_and_not1_saveexec_b32 s3, s3
; %bb.470:                              ;   in Loop: Header=BB12_372 Depth=2
	s_delay_alu instid0(VALU_DEP_1)
	v_bfe_u32 v5, v2, 23, 1
; %bb.471:                              ;   in Loop: Header=BB12_372 Depth=2
	s_or_b32 exec_lo, exec_lo, s3
	s_delay_alu instid0(VALU_DEP_2) | instskip(NEXT) | instid1(VALU_DEP_2)
	v_lshrrev_b64 v[2:3], 20, v[2:3]
	v_cmp_gt_i32_e32 vcc_lo, 16, v5
	v_cmp_ne_u32_e64 s3, 0, v5
	s_delay_alu instid0(VALU_DEP_3) | instskip(NEXT) | instid1(VALU_DEP_1)
	v_dual_cndmask_b32 v29, 0, v3 :: v_dual_cndmask_b32 v28, 7, v2
                                        ; implicit-def: $vgpr2_vgpr3
	v_cmp_ne_u64_e32 vcc_lo, 0, v[28:29]
	s_delay_alu instid0(VALU_DEP_3) | instskip(NEXT) | instid1(SALU_CYCLE_1)
	s_or_b32 s3, s3, vcc_lo
	s_and_saveexec_b32 s56, s3
	s_delay_alu instid0(SALU_CYCLE_1)
	s_xor_b32 s3, exec_lo, s56
; %bb.472:                              ;   in Loop: Header=BB12_372 Depth=2
	v_min_i32_e32 v2, 15, v5
	s_delay_alu instid0(VALU_DEP_1) | instskip(NEXT) | instid1(VALU_DEP_1)
	v_lshl_or_b32 v2, v2, 3, v8
                                        ; implicit-def: $vgpr8
	v_and_or_b32 v2, v28, 7, v2
; %bb.473:                              ;   in Loop: Header=BB12_372 Depth=2
	s_and_not1_saveexec_b32 s3, s3
; %bb.474:                              ;   in Loop: Header=BB12_372 Depth=2
	v_dual_mov_b32 v2, v8 :: v_dual_mov_b32 v3, v9
; %bb.475:                              ;   in Loop: Header=BB12_372 Depth=2
	s_or_b32 exec_lo, exec_lo, s3
.LBB12_476:                             ;   in Loop: Header=BB12_372 Depth=2
	s_delay_alu instid0(SALU_CYCLE_1)
	s_or_b32 exec_lo, exec_lo, s55
.LBB12_477:                             ;   in Loop: Header=BB12_372 Depth=2
	s_and_not1_saveexec_b32 s3, s54
	s_delay_alu instid0(SALU_CYCLE_1)
	s_or_b32 exec_lo, exec_lo, s3
                                        ; implicit-def: $vgpr3
.LBB12_478:                             ;   in Loop: Header=BB12_372 Depth=2
	s_and_not1_saveexec_b32 s3, s53
; %bb.479:                              ;   in Loop: Header=BB12_372 Depth=2
	v_cmp_eq_u64_e32 vcc_lo, 0, v[5:6]
	v_or_b32_e32 v3, 0x7f, v3
	s_delay_alu instid0(VALU_DEP_1)
	v_cndmask_b32_e32 v2, v3, v2, vcc_lo
; %bb.480:                              ;   in Loop: Header=BB12_372 Depth=2
	s_or_b32 exec_lo, exec_lo, s3
	v_lshlrev_b32_e32 v3, 16, v4
	s_mov_b32 s3, exec_lo
	v_mov_b32_e32 v31, v6
	s_delay_alu instid0(VALU_DEP_2) | instskip(NEXT) | instid1(VALU_DEP_1)
	v_div_scale_f32 v5, null, v46, v46, v3
	v_rcp_f32_e32 v8, v5
	s_waitcnt_depctr 0xfff
	v_fma_f32 v28, -v5, v8, 1.0
	s_delay_alu instid0(VALU_DEP_1) | instskip(SKIP_1) | instid1(VALU_DEP_1)
	v_fmac_f32_e32 v8, v28, v8
	v_div_scale_f32 v28, vcc_lo, v3, v46, v3
	v_mul_f32_e32 v29, v28, v8
	s_delay_alu instid0(VALU_DEP_1) | instskip(NEXT) | instid1(VALU_DEP_1)
	v_fma_f32 v30, -v5, v29, v28
	v_fmac_f32_e32 v29, v30, v8
	s_delay_alu instid0(VALU_DEP_1) | instskip(NEXT) | instid1(VALU_DEP_1)
	v_fma_f32 v5, -v5, v29, v28
	v_div_fmas_f32 v5, v5, v8, v29
	s_delay_alu instid0(VALU_DEP_1) | instskip(NEXT) | instid1(VALU_DEP_1)
	v_div_fixup_f32 v8, v5, v46, v3
	v_lshrrev_b32_e32 v29, 24, v8
	v_and_b32_e32 v30, 0x7f800000, v8
	v_and_b32_e32 v5, 0x7fffff, v8
	s_delay_alu instid0(VALU_DEP_3) | instskip(NEXT) | instid1(VALU_DEP_1)
	v_and_b32_e32 v3, 0x80, v29
	v_or_b32_e32 v28, 0x7e, v3
	s_delay_alu instid0(VALU_DEP_4)
	v_cmpx_ne_u64_e32 0x7f800000, v[30:31]
	s_xor_b32 s53, exec_lo, s3
	s_cbranch_execz .LBB12_496
; %bb.481:                              ;   in Loop: Header=BB12_372 Depth=2
	v_dual_mov_b32 v30, v6 :: v_dual_and_b32 v29, 0x7fffffff, v8
	s_mov_b32 s3, exec_lo
	s_delay_alu instid0(VALU_DEP_1)
	v_cmpx_gt_u64_e32 0x43e00001, v[29:30]
	s_xor_b32 s54, exec_lo, s3
	s_cbranch_execz .LBB12_495
; %bb.482:                              ;   in Loop: Header=BB12_372 Depth=2
	s_mov_b32 s55, exec_lo
	v_mov_b32_e32 v28, 0
	v_mov_b32_e32 v29, 0
	v_cmpx_ne_u32_e32 0, v8
	s_cbranch_execz .LBB12_494
; %bb.483:                              ;   in Loop: Header=BB12_372 Depth=2
	v_bfe_u32 v8, v8, 23, 8
	v_or_b32_e32 v30, 0x800000, v5
	s_delay_alu instid0(VALU_DEP_2) | instskip(SKIP_1) | instid1(VALU_DEP_2)
	v_sub_nc_u32_e32 v28, 0x79, v8
	v_cmp_gt_u32_e32 vcc_lo, 0x7a, v8
	v_cndmask_b32_e32 v28, 0, v28, vcc_lo
	v_cmp_eq_u32_e32 vcc_lo, 0, v8
	v_cndmask_b32_e32 v5, v30, v5, vcc_lo
	s_delay_alu instid0(VALU_DEP_3) | instskip(NEXT) | instid1(VALU_DEP_1)
	v_cndmask_b32_e64 v34, v28, 0x78, vcc_lo
	v_add_nc_u32_e32 v28, 20, v34
	v_add_nc_u32_e32 v30, 19, v34
	s_delay_alu instid0(VALU_DEP_2) | instskip(NEXT) | instid1(VALU_DEP_2)
	v_lshlrev_b64 v[28:29], v28, -1
	v_lshlrev_b64 v[30:31], v30, 1
	s_delay_alu instid0(VALU_DEP_2) | instskip(NEXT) | instid1(VALU_DEP_3)
	v_not_b32_e32 v29, v29
	v_not_b32_e32 v28, v28
	s_delay_alu instid0(VALU_DEP_2) | instskip(NEXT) | instid1(VALU_DEP_2)
	v_and_b32_e32 v48, 0, v29
	v_and_b32_e32 v47, v5, v28
	v_lshrrev_b64 v[28:29], v34, v[5:6]
	s_delay_alu instid0(VALU_DEP_2) | instskip(NEXT) | instid1(VALU_DEP_2)
	v_cmp_eq_u64_e64 s3, v[47:48], v[30:31]
	v_dual_mov_b32 v31, v29 :: v_dual_mov_b32 v30, v28
	s_delay_alu instid0(VALU_DEP_2)
	s_and_saveexec_b32 s56, s3
; %bb.484:                              ;   in Loop: Header=BB12_372 Depth=2
	v_bfe_u32 v5, v28, 20, 1
	s_delay_alu instid0(VALU_DEP_1) | instskip(NEXT) | instid1(VALU_DEP_1)
	v_add_co_u32 v5, s3, v28, v5
	v_add_co_u32 v30, s3, v5, -1
; %bb.485:                              ;   in Loop: Header=BB12_372 Depth=2
	s_or_b32 exec_lo, exec_lo, s56
	v_add_nc_u32_e32 v5, 0xffffff81, v8
	v_lshrrev_b32_e32 v8, 23, v28
	s_mov_b32 s3, exec_lo
	s_delay_alu instid0(VALU_DEP_2) | instskip(NEXT) | instid1(VALU_DEP_1)
	v_cndmask_b32_e64 v5, v5, 0xffffff82, vcc_lo
	v_add3_u32 v8, v34, v5, v8
	v_and_b32_e32 v5, 0xfffff, v30
	s_delay_alu instid0(VALU_DEP_2) | instskip(NEXT) | instid1(VALU_DEP_2)
	v_add_nc_u32_e32 v30, 6, v8
	v_add_co_u32 v28, vcc_lo, v5, v28
	v_add_co_ci_u32_e32 v29, vcc_lo, 0, v29, vcc_lo
                                        ; implicit-def: $vgpr5
	s_delay_alu instid0(VALU_DEP_3)
	v_cmpx_ne_u32_e32 0, v30
	s_xor_b32 s3, exec_lo, s3
; %bb.486:                              ;   in Loop: Header=BB12_372 Depth=2
	s_delay_alu instid0(VALU_DEP_2) | instskip(SKIP_2) | instid1(VALU_DEP_2)
	v_cmp_lt_u64_e32 vcc_lo, 0xffffff, v[28:29]
	v_add_nc_u32_e32 v5, 7, v8
	v_cndmask_b32_e64 v8, 0, 1, vcc_lo
	v_cndmask_b32_e32 v5, v30, v5, vcc_lo
	s_delay_alu instid0(VALU_DEP_2)
	v_lshrrev_b64 v[28:29], v8, v[28:29]
; %bb.487:                              ;   in Loop: Header=BB12_372 Depth=2
	s_and_not1_saveexec_b32 s3, s3
; %bb.488:                              ;   in Loop: Header=BB12_372 Depth=2
	s_delay_alu instid0(VALU_DEP_1)
	v_bfe_u32 v5, v28, 23, 1
; %bb.489:                              ;   in Loop: Header=BB12_372 Depth=2
	s_or_b32 exec_lo, exec_lo, s3
	s_delay_alu instid0(VALU_DEP_2) | instskip(NEXT) | instid1(VALU_DEP_2)
	v_lshrrev_b64 v[28:29], 20, v[28:29]
	v_cmp_gt_i32_e32 vcc_lo, 16, v5
	v_cmp_ne_u32_e64 s3, 0, v5
	s_delay_alu instid0(VALU_DEP_3) | instskip(NEXT) | instid1(VALU_DEP_1)
	v_dual_cndmask_b32 v31, 0, v29 :: v_dual_cndmask_b32 v30, 7, v28
                                        ; implicit-def: $vgpr28_vgpr29
	v_cmp_ne_u64_e32 vcc_lo, 0, v[30:31]
	s_delay_alu instid0(VALU_DEP_3) | instskip(NEXT) | instid1(SALU_CYCLE_1)
	s_or_b32 s3, s3, vcc_lo
	s_and_saveexec_b32 s56, s3
	s_delay_alu instid0(SALU_CYCLE_1)
	s_xor_b32 s3, exec_lo, s56
; %bb.490:                              ;   in Loop: Header=BB12_372 Depth=2
	v_min_i32_e32 v5, 15, v5
	s_delay_alu instid0(VALU_DEP_1) | instskip(NEXT) | instid1(VALU_DEP_1)
	v_lshl_or_b32 v3, v5, 3, v3
	v_and_or_b32 v28, v30, 7, v3
                                        ; implicit-def: $vgpr3
; %bb.491:                              ;   in Loop: Header=BB12_372 Depth=2
	s_and_not1_saveexec_b32 s3, s3
; %bb.492:                              ;   in Loop: Header=BB12_372 Depth=2
	v_dual_mov_b32 v29, v4 :: v_dual_mov_b32 v28, v3
; %bb.493:                              ;   in Loop: Header=BB12_372 Depth=2
	s_or_b32 exec_lo, exec_lo, s3
.LBB12_494:                             ;   in Loop: Header=BB12_372 Depth=2
	s_delay_alu instid0(SALU_CYCLE_1)
	s_or_b32 exec_lo, exec_lo, s55
.LBB12_495:                             ;   in Loop: Header=BB12_372 Depth=2
	s_and_not1_saveexec_b32 s3, s54
	s_delay_alu instid0(SALU_CYCLE_1)
	s_or_b32 exec_lo, exec_lo, s3
                                        ; implicit-def: $vgpr29
.LBB12_496:                             ;   in Loop: Header=BB12_372 Depth=2
	s_and_not1_saveexec_b32 s3, s53
; %bb.497:                              ;   in Loop: Header=BB12_372 Depth=2
	v_cmp_eq_u64_e32 vcc_lo, 0, v[5:6]
	v_or_b32_e32 v3, 0x7f, v29
	s_delay_alu instid0(VALU_DEP_1)
	v_cndmask_b32_e32 v28, v3, v28, vcc_lo
; %bb.498:                              ;   in Loop: Header=BB12_372 Depth=2
	s_or_b32 exec_lo, exec_lo, s3
	v_and_b32_e32 v3, 0xffff0000, v4
	s_delay_alu instid0(VALU_DEP_1) | instskip(NEXT) | instid1(VALU_DEP_1)
	v_div_scale_f32 v4, null, v46, v46, v3
	v_rcp_f32_e32 v5, v4
	s_waitcnt_depctr 0xfff
	v_fma_f32 v8, -v4, v5, 1.0
	s_delay_alu instid0(VALU_DEP_1) | instskip(SKIP_1) | instid1(VALU_DEP_1)
	v_fmac_f32_e32 v5, v8, v5
	v_div_scale_f32 v8, vcc_lo, v3, v46, v3
	v_mul_f32_e32 v29, v8, v5
	s_delay_alu instid0(VALU_DEP_1) | instskip(NEXT) | instid1(VALU_DEP_1)
	v_fma_f32 v30, -v4, v29, v8
	v_fmac_f32_e32 v29, v30, v5
	v_mov_b32_e32 v30, v6
	s_delay_alu instid0(VALU_DEP_2) | instskip(NEXT) | instid1(VALU_DEP_1)
	v_fma_f32 v4, -v4, v29, v8
	v_div_fmas_f32 v4, v4, v5, v29
	s_delay_alu instid0(VALU_DEP_1) | instskip(NEXT) | instid1(VALU_DEP_1)
	v_div_fixup_f32 v4, v4, v46, v3
	v_lshrrev_b32_e32 v8, 24, v4
	v_and_b32_e32 v29, 0x7f800000, v4
	v_and_b32_e32 v5, 0x7fffff, v4
	s_delay_alu instid0(VALU_DEP_3) | instskip(NEXT) | instid1(VALU_DEP_3)
	v_and_b32_e32 v3, 0x80, v8
	v_cmp_ne_u64_e32 vcc_lo, 0x7f800000, v[29:30]
	s_delay_alu instid0(VALU_DEP_2) | instskip(SKIP_1) | instid1(SALU_CYCLE_1)
	v_or_b32_e32 v29, 0x7e, v3
	s_and_saveexec_b32 s3, vcc_lo
	s_xor_b32 s53, exec_lo, s3
	s_cbranch_execz .LBB12_514
; %bb.499:                              ;   in Loop: Header=BB12_372 Depth=2
	v_dual_mov_b32 v31, v6 :: v_dual_and_b32 v30, 0x7fffffff, v4
	s_mov_b32 s3, exec_lo
	s_delay_alu instid0(VALU_DEP_1)
	v_cmpx_gt_u64_e32 0x43e00001, v[30:31]
	s_xor_b32 s54, exec_lo, s3
	s_cbranch_execz .LBB12_513
; %bb.500:                              ;   in Loop: Header=BB12_372 Depth=2
	s_mov_b32 s55, exec_lo
	v_mov_b32_e32 v29, 0
	v_mov_b32_e32 v30, 0
	v_cmpx_ne_u32_e32 0, v4
	s_cbranch_execz .LBB12_512
; %bb.501:                              ;   in Loop: Header=BB12_372 Depth=2
	v_bfe_u32 v8, v4, 23, 8
	v_or_b32_e32 v34, 0x800000, v5
	s_delay_alu instid0(VALU_DEP_2) | instskip(SKIP_1) | instid1(VALU_DEP_2)
	v_sub_nc_u32_e32 v4, 0x79, v8
	v_cmp_gt_u32_e32 vcc_lo, 0x7a, v8
	v_cndmask_b32_e32 v4, 0, v4, vcc_lo
	v_cmp_eq_u32_e32 vcc_lo, 0, v8
	v_cndmask_b32_e32 v5, v34, v5, vcc_lo
	s_delay_alu instid0(VALU_DEP_3) | instskip(NEXT) | instid1(VALU_DEP_1)
	v_cndmask_b32_e64 v31, v4, 0x78, vcc_lo
	v_add_nc_u32_e32 v4, 20, v31
	s_delay_alu instid0(VALU_DEP_1) | instskip(SKIP_1) | instid1(VALU_DEP_2)
	v_lshlrev_b64 v[29:30], v4, -1
	v_add_nc_u32_e32 v4, 19, v31
	v_not_b32_e32 v47, v29
	s_delay_alu instid0(VALU_DEP_3) | instskip(NEXT) | instid1(VALU_DEP_3)
	v_not_b32_e32 v34, v30
	v_lshlrev_b64 v[29:30], v4, 1
	s_delay_alu instid0(VALU_DEP_3) | instskip(SKIP_1) | instid1(VALU_DEP_4)
	v_and_b32_e32 v47, v5, v47
	v_lshrrev_b64 v[4:5], v31, v[5:6]
	v_and_b32_e32 v48, 0, v34
	s_delay_alu instid0(VALU_DEP_1) | instskip(NEXT) | instid1(VALU_DEP_3)
	v_cmp_eq_u64_e64 s3, v[47:48], v[29:30]
	v_dual_mov_b32 v30, v5 :: v_dual_mov_b32 v29, v4
	s_delay_alu instid0(VALU_DEP_2)
	s_and_saveexec_b32 s56, s3
; %bb.502:                              ;   in Loop: Header=BB12_372 Depth=2
	v_bfe_u32 v29, v4, 20, 1
	s_delay_alu instid0(VALU_DEP_1) | instskip(NEXT) | instid1(VALU_DEP_1)
	v_add_co_u32 v29, s3, v4, v29
	v_add_co_u32 v29, s3, v29, -1
; %bb.503:                              ;   in Loop: Header=BB12_372 Depth=2
	s_or_b32 exec_lo, exec_lo, s56
	v_add_nc_u32_e32 v8, 0xffffff81, v8
	v_lshrrev_b32_e32 v30, 23, v4
	s_mov_b32 s3, exec_lo
	s_delay_alu instid0(VALU_DEP_2) | instskip(NEXT) | instid1(VALU_DEP_1)
	v_cndmask_b32_e64 v8, v8, 0xffffff82, vcc_lo
	v_add3_u32 v30, v31, v8, v30
	v_and_b32_e32 v8, 0xfffff, v29
	s_delay_alu instid0(VALU_DEP_2) | instskip(NEXT) | instid1(VALU_DEP_2)
	v_add_nc_u32_e32 v29, 6, v30
	v_add_co_u32 v4, vcc_lo, v8, v4
	v_add_co_ci_u32_e32 v5, vcc_lo, 0, v5, vcc_lo
                                        ; implicit-def: $vgpr8
	s_delay_alu instid0(VALU_DEP_3)
	v_cmpx_ne_u32_e32 0, v29
	s_xor_b32 s3, exec_lo, s3
; %bb.504:                              ;   in Loop: Header=BB12_372 Depth=2
	s_delay_alu instid0(VALU_DEP_2) | instskip(SKIP_1) | instid1(VALU_DEP_1)
	v_cmp_lt_u64_e32 vcc_lo, 0xffffff, v[4:5]
	v_add_nc_u32_e32 v8, 7, v30
	v_cndmask_b32_e32 v8, v29, v8, vcc_lo
	v_cndmask_b32_e64 v29, 0, 1, vcc_lo
	s_delay_alu instid0(VALU_DEP_1)
	v_lshrrev_b64 v[4:5], v29, v[4:5]
; %bb.505:                              ;   in Loop: Header=BB12_372 Depth=2
	s_and_not1_saveexec_b32 s3, s3
; %bb.506:                              ;   in Loop: Header=BB12_372 Depth=2
	s_delay_alu instid0(VALU_DEP_1)
	v_bfe_u32 v8, v4, 23, 1
; %bb.507:                              ;   in Loop: Header=BB12_372 Depth=2
	s_or_b32 exec_lo, exec_lo, s3
	s_delay_alu instid0(VALU_DEP_2) | instskip(NEXT) | instid1(VALU_DEP_2)
	v_lshrrev_b64 v[4:5], 20, v[4:5]
	v_cmp_gt_i32_e32 vcc_lo, 16, v8
	v_cmp_ne_u32_e64 s3, 0, v8
                                        ; implicit-def: $vgpr29_vgpr30
	s_delay_alu instid0(VALU_DEP_3) | instskip(NEXT) | instid1(VALU_DEP_1)
	v_dual_cndmask_b32 v5, 0, v5 :: v_dual_cndmask_b32 v4, 7, v4
	v_cmp_ne_u64_e32 vcc_lo, 0, v[4:5]
	s_delay_alu instid0(VALU_DEP_3) | instskip(NEXT) | instid1(SALU_CYCLE_1)
	s_or_b32 s3, s3, vcc_lo
	s_and_saveexec_b32 s56, s3
	s_delay_alu instid0(SALU_CYCLE_1)
	s_xor_b32 s3, exec_lo, s56
; %bb.508:                              ;   in Loop: Header=BB12_372 Depth=2
	v_min_i32_e32 v5, 15, v8
	s_delay_alu instid0(VALU_DEP_1) | instskip(NEXT) | instid1(VALU_DEP_1)
	v_lshl_or_b32 v3, v5, 3, v3
	v_and_or_b32 v29, v4, 7, v3
                                        ; implicit-def: $vgpr3
; %bb.509:                              ;   in Loop: Header=BB12_372 Depth=2
	s_and_not1_saveexec_b32 s3, s3
; %bb.510:                              ;   in Loop: Header=BB12_372 Depth=2
	v_dual_mov_b32 v30, v4 :: v_dual_mov_b32 v29, v3
; %bb.511:                              ;   in Loop: Header=BB12_372 Depth=2
	s_or_b32 exec_lo, exec_lo, s3
.LBB12_512:                             ;   in Loop: Header=BB12_372 Depth=2
	s_delay_alu instid0(SALU_CYCLE_1)
	s_or_b32 exec_lo, exec_lo, s55
.LBB12_513:                             ;   in Loop: Header=BB12_372 Depth=2
	s_and_not1_saveexec_b32 s3, s54
	s_delay_alu instid0(SALU_CYCLE_1)
	s_or_b32 exec_lo, exec_lo, s3
                                        ; implicit-def: $vgpr8
.LBB12_514:                             ;   in Loop: Header=BB12_372 Depth=2
	s_and_not1_saveexec_b32 s3, s53
	s_cbranch_execz .LBB12_371
; %bb.515:                              ;   in Loop: Header=BB12_372 Depth=2
	v_cmp_eq_u64_e32 vcc_lo, 0, v[5:6]
	v_or_b32_e32 v3, 0x7f, v8
	s_delay_alu instid0(VALU_DEP_1)
	v_cndmask_b32_e32 v29, v3, v29, vcc_lo
	s_branch .LBB12_371
.LBB12_516:                             ;   in Loop: Header=BB12_9 Depth=1
	s_or_b32 exec_lo, exec_lo, s51
	v_lshl_add_u32 v1, v15, 3, v36
	s_mov_b32 s51, exec_lo
	s_delay_alu instid0(VALU_DEP_1)
	v_cmpx_lt_i32_e64 v1, v32
	s_cbranch_execz .LBB12_537
; %bb.517:                              ;   in Loop: Header=BB12_9 Depth=1
	v_ashrrev_i32_e32 v2, 31, v1
	v_add_co_u32 v5, vcc_lo, v18, v13
	v_add_co_ci_u32_e32 v8, vcc_lo, v19, v14, vcc_lo
	s_delay_alu instid0(VALU_DEP_3) | instskip(SKIP_1) | instid1(VALU_DEP_1)
	v_lshlrev_b64 v[3:4], 1, v[1:2]
	s_mov_b32 s52, 0
	v_add_co_u32 v3, vcc_lo, v5, v3
	s_delay_alu instid0(VALU_DEP_2) | instskip(SKIP_2) | instid1(VALU_DEP_4)
	v_add_co_ci_u32_e32 v4, vcc_lo, v8, v4, vcc_lo
	v_add_co_u32 v5, vcc_lo, v16, v1
	v_add_co_ci_u32_e32 v8, vcc_lo, v17, v2, vcc_lo
	v_add_co_u32 v2, vcc_lo, s45, v3
	s_delay_alu instid0(VALU_DEP_4) | instskip(NEXT) | instid1(VALU_DEP_4)
	v_add_co_ci_u32_e32 v3, vcc_lo, s46, v4, vcc_lo
	v_add_co_u32 v13, vcc_lo, v43, v5
	s_delay_alu instid0(VALU_DEP_4)
	v_add_co_ci_u32_e32 v14, vcc_lo, v44, v8, vcc_lo
	s_branch .LBB12_519
.LBB12_518:                             ;   in Loop: Header=BB12_519 Depth=2
	s_or_b32 exec_lo, exec_lo, s3
	v_add_nc_u32_e32 v1, 32, v1
	v_add_co_u32 v2, vcc_lo, v2, 64
	v_add_co_ci_u32_e32 v3, vcc_lo, 0, v3, vcc_lo
	global_store_b8 v[13:14], v15, off
	v_cmp_ge_i32_e32 vcc_lo, v1, v32
	v_add_co_u32 v13, s3, v13, 32
	s_delay_alu instid0(VALU_DEP_1) | instskip(SKIP_1) | instid1(SALU_CYCLE_1)
	v_add_co_ci_u32_e64 v14, s3, 0, v14, s3
	s_or_b32 s52, vcc_lo, s52
	s_and_not1_b32 exec_lo, exec_lo, s52
	s_cbranch_execz .LBB12_537
.LBB12_519:                             ;   Parent Loop BB12_9 Depth=1
                                        ; =>  This Inner Loop Header: Depth=2
	global_load_u16 v4, v[2:3], off
	s_mov_b32 s3, exec_lo
	v_mov_b32_e32 v18, v6
	s_waitcnt vmcnt(0)
	v_lshlrev_b32_e32 v4, 16, v4
	s_delay_alu instid0(VALU_DEP_1) | instskip(NEXT) | instid1(VALU_DEP_1)
	v_div_scale_f32 v5, null, v46, v46, v4
	v_rcp_f32_e32 v8, v5
	s_waitcnt_depctr 0xfff
	v_fma_f32 v15, -v5, v8, 1.0
	s_delay_alu instid0(VALU_DEP_1) | instskip(SKIP_1) | instid1(VALU_DEP_1)
	v_fmac_f32_e32 v8, v15, v8
	v_div_scale_f32 v15, vcc_lo, v4, v46, v4
	v_mul_f32_e32 v16, v15, v8
	s_delay_alu instid0(VALU_DEP_1) | instskip(NEXT) | instid1(VALU_DEP_1)
	v_fma_f32 v17, -v5, v16, v15
	v_fmac_f32_e32 v16, v17, v8
	s_delay_alu instid0(VALU_DEP_1) | instskip(NEXT) | instid1(VALU_DEP_1)
	v_fma_f32 v5, -v5, v16, v15
	v_div_fmas_f32 v5, v5, v8, v16
	s_delay_alu instid0(VALU_DEP_1) | instskip(NEXT) | instid1(VALU_DEP_1)
	v_div_fixup_f32 v4, v5, v46, v4
	v_lshrrev_b32_e32 v16, 24, v4
	v_and_b32_e32 v17, 0x7f800000, v4
	v_and_b32_e32 v5, 0x7fffff, v4
	s_delay_alu instid0(VALU_DEP_3) | instskip(NEXT) | instid1(VALU_DEP_1)
	v_and_b32_e32 v8, 0x80, v16
	v_or_b32_e32 v15, 0x7e, v8
	s_delay_alu instid0(VALU_DEP_4)
	v_cmpx_ne_u64_e32 0x7f800000, v[17:18]
	s_xor_b32 s53, exec_lo, s3
	s_cbranch_execz .LBB12_535
; %bb.520:                              ;   in Loop: Header=BB12_519 Depth=2
	v_dual_mov_b32 v17, v6 :: v_dual_and_b32 v16, 0x7fffffff, v4
	s_mov_b32 s3, exec_lo
	s_delay_alu instid0(VALU_DEP_1)
	v_cmpx_gt_u64_e32 0x43e00001, v[16:17]
	s_xor_b32 s54, exec_lo, s3
	s_cbranch_execz .LBB12_534
; %bb.521:                              ;   in Loop: Header=BB12_519 Depth=2
	v_mov_b32_e32 v15, 0
	s_mov_b32 s55, exec_lo
	v_cmpx_ne_u32_e32 0, v4
	s_cbranch_execz .LBB12_533
; %bb.522:                              ;   in Loop: Header=BB12_519 Depth=2
	v_bfe_u32 v17, v4, 23, 8
	v_or_b32_e32 v19, 0x800000, v5
	s_delay_alu instid0(VALU_DEP_2) | instskip(SKIP_1) | instid1(VALU_DEP_2)
	v_sub_nc_u32_e32 v4, 0x79, v17
	v_cmp_gt_u32_e32 vcc_lo, 0x7a, v17
	v_cndmask_b32_e32 v4, 0, v4, vcc_lo
	v_cmp_eq_u32_e32 vcc_lo, 0, v17
	v_cndmask_b32_e32 v5, v19, v5, vcc_lo
	s_delay_alu instid0(VALU_DEP_3) | instskip(NEXT) | instid1(VALU_DEP_1)
	v_cndmask_b32_e64 v18, v4, 0x78, vcc_lo
	v_add_nc_u32_e32 v4, 20, v18
	s_delay_alu instid0(VALU_DEP_1) | instskip(SKIP_1) | instid1(VALU_DEP_2)
	v_lshlrev_b64 v[15:16], v4, -1
	v_add_nc_u32_e32 v4, 19, v18
	v_not_b32_e32 v19, v16
	s_delay_alu instid0(VALU_DEP_3) | instskip(NEXT) | instid1(VALU_DEP_3)
	v_not_b32_e32 v21, v15
	v_lshlrev_b64 v[15:16], v4, 1
	s_delay_alu instid0(VALU_DEP_3) | instskip(NEXT) | instid1(VALU_DEP_3)
	v_and_b32_e32 v20, 0, v19
	v_and_b32_e32 v19, v5, v21
	v_lshrrev_b64 v[4:5], v18, v[5:6]
	s_delay_alu instid0(VALU_DEP_2) | instskip(NEXT) | instid1(VALU_DEP_2)
	v_cmp_eq_u64_e64 s3, v[19:20], v[15:16]
	v_dual_mov_b32 v16, v5 :: v_dual_mov_b32 v15, v4
	s_delay_alu instid0(VALU_DEP_2)
	s_and_saveexec_b32 s56, s3
; %bb.523:                              ;   in Loop: Header=BB12_519 Depth=2
	v_bfe_u32 v15, v4, 20, 1
	s_delay_alu instid0(VALU_DEP_1) | instskip(NEXT) | instid1(VALU_DEP_1)
	v_add_co_u32 v15, s3, v4, v15
	v_add_co_u32 v15, s3, v15, -1
; %bb.524:                              ;   in Loop: Header=BB12_519 Depth=2
	s_or_b32 exec_lo, exec_lo, s56
	v_add_nc_u32_e32 v16, 0xffffff81, v17
	v_lshrrev_b32_e32 v17, 23, v4
	s_mov_b32 s3, exec_lo
	s_delay_alu instid0(VALU_DEP_2) | instskip(NEXT) | instid1(VALU_DEP_1)
	v_cndmask_b32_e64 v16, v16, 0xffffff82, vcc_lo
	v_add3_u32 v17, v18, v16, v17
	v_and_b32_e32 v16, 0xfffff, v15
	s_delay_alu instid0(VALU_DEP_2) | instskip(NEXT) | instid1(VALU_DEP_2)
	v_add_nc_u32_e32 v15, 6, v17
	v_add_co_u32 v4, vcc_lo, v16, v4
	v_add_co_ci_u32_e32 v5, vcc_lo, 0, v5, vcc_lo
                                        ; implicit-def: $vgpr16
	s_delay_alu instid0(VALU_DEP_3)
	v_cmpx_ne_u32_e32 0, v15
	s_xor_b32 s3, exec_lo, s3
; %bb.525:                              ;   in Loop: Header=BB12_519 Depth=2
	s_delay_alu instid0(VALU_DEP_2) | instskip(SKIP_1) | instid1(VALU_DEP_1)
	v_cmp_lt_u64_e32 vcc_lo, 0xffffff, v[4:5]
	v_add_nc_u32_e32 v16, 7, v17
	v_cndmask_b32_e32 v16, v15, v16, vcc_lo
	v_cndmask_b32_e64 v15, 0, 1, vcc_lo
	s_delay_alu instid0(VALU_DEP_1)
	v_lshrrev_b64 v[4:5], v15, v[4:5]
; %bb.526:                              ;   in Loop: Header=BB12_519 Depth=2
	s_and_not1_saveexec_b32 s3, s3
; %bb.527:                              ;   in Loop: Header=BB12_519 Depth=2
	s_delay_alu instid0(VALU_DEP_1)
	v_bfe_u32 v16, v4, 23, 1
; %bb.528:                              ;   in Loop: Header=BB12_519 Depth=2
	s_or_b32 exec_lo, exec_lo, s3
	s_delay_alu instid0(VALU_DEP_2) | instskip(NEXT) | instid1(VALU_DEP_2)
	v_lshrrev_b64 v[4:5], 20, v[4:5]
	v_cmp_gt_i32_e32 vcc_lo, 16, v16
	v_cmp_ne_u32_e64 s3, 0, v16
                                        ; implicit-def: $vgpr15
	s_delay_alu instid0(VALU_DEP_3) | instskip(NEXT) | instid1(VALU_DEP_1)
	v_dual_cndmask_b32 v5, 0, v5 :: v_dual_cndmask_b32 v4, 7, v4
	v_cmp_ne_u64_e32 vcc_lo, 0, v[4:5]
	s_delay_alu instid0(VALU_DEP_3) | instskip(NEXT) | instid1(SALU_CYCLE_1)
	s_or_b32 s3, s3, vcc_lo
	s_and_saveexec_b32 s56, s3
	s_delay_alu instid0(SALU_CYCLE_1)
	s_xor_b32 s3, exec_lo, s56
; %bb.529:                              ;   in Loop: Header=BB12_519 Depth=2
	v_min_i32_e32 v5, 15, v16
	s_delay_alu instid0(VALU_DEP_1) | instskip(NEXT) | instid1(VALU_DEP_1)
	v_lshl_or_b32 v5, v5, 3, v8
                                        ; implicit-def: $vgpr8
	v_and_or_b32 v15, v4, 7, v5
; %bb.530:                              ;   in Loop: Header=BB12_519 Depth=2
	s_and_not1_saveexec_b32 s3, s3
; %bb.531:                              ;   in Loop: Header=BB12_519 Depth=2
	v_mov_b32_e32 v15, v8
; %bb.532:                              ;   in Loop: Header=BB12_519 Depth=2
	s_or_b32 exec_lo, exec_lo, s3
.LBB12_533:                             ;   in Loop: Header=BB12_519 Depth=2
	s_delay_alu instid0(SALU_CYCLE_1)
	s_or_b32 exec_lo, exec_lo, s55
.LBB12_534:                             ;   in Loop: Header=BB12_519 Depth=2
	s_and_not1_saveexec_b32 s3, s54
	s_delay_alu instid0(SALU_CYCLE_1)
	s_or_b32 exec_lo, exec_lo, s3
                                        ; implicit-def: $vgpr16
.LBB12_535:                             ;   in Loop: Header=BB12_519 Depth=2
	s_and_not1_saveexec_b32 s3, s53
	s_cbranch_execz .LBB12_518
; %bb.536:                              ;   in Loop: Header=BB12_519 Depth=2
	v_cmp_eq_u64_e32 vcc_lo, 0, v[5:6]
	v_or_b32_e32 v4, 0x7f, v16
	s_delay_alu instid0(VALU_DEP_1)
	v_cndmask_b32_e32 v15, v4, v15, vcc_lo
	s_branch .LBB12_518
.LBB12_537:                             ;   in Loop: Header=BB12_9 Depth=1
	s_or_b32 exec_lo, exec_lo, s51
                                        ; implicit-def: $vgpr46
                                        ; implicit-def: $vgpr13_vgpr14
.LBB12_538:                             ;   in Loop: Header=BB12_9 Depth=1
	s_and_not1_saveexec_b32 s50, s50
	s_cbranch_execz .LBB12_8
; %bb.539:                              ;   in Loop: Header=BB12_9 Depth=1
	s_and_saveexec_b32 s51, s2
	s_cbranch_execz .LBB12_7
; %bb.540:                              ;   in Loop: Header=BB12_9 Depth=1
	v_add_co_u32 v13, vcc_lo, v39, v13
	v_add_co_ci_u32_e32 v14, vcc_lo, v40, v14, vcc_lo
	v_dual_mov_b32 v16, v12 :: v_dual_mov_b32 v15, v11
	v_mov_b32_e32 v25, v36
	s_mov_b32 s52, 0
	s_branch .LBB12_542
.LBB12_541:                             ;   in Loop: Header=BB12_542 Depth=2
	s_or_b32 exec_lo, exec_lo, s3
	v_lshlrev_b32_e32 v3, 16, v21
	v_lshlrev_b32_e32 v4, 16, v19
	v_lshlrev_b32_e32 v5, 24, v22
	v_lshlrev_b32_e32 v2, 8, v2
	v_lshlrev_b32_e32 v8, 8, v18
	v_and_b32_e32 v3, 0xff0000, v3
	v_perm_b32 v1, v1, v4, 0x4020c0c
	v_and_b32_e32 v4, 0xff, v20
	v_and_b32_e32 v17, 0xff, v17
	;; [unrolled: 1-line block ×3, first 2 shown]
	v_or_b32_e32 v3, v5, v3
	v_and_or_b32 v1, 0xff00, v8, v1
	v_add_nc_u32_e32 v25, 32, v25
	s_delay_alu instid0(VALU_DEP_3) | instskip(NEXT) | instid1(VALU_DEP_3)
	v_or3_b32 v2, v3, v2, v4
	v_or_b32_e32 v1, v1, v17
	s_delay_alu instid0(VALU_DEP_3) | instskip(SKIP_2) | instid1(VALU_DEP_1)
	v_cmp_le_i32_e32 vcc_lo, s40, v25
	global_store_b64 v[15:16], v[1:2], off
	v_add_co_u32 v15, s3, 0x100, v15
	v_add_co_ci_u32_e64 v16, s3, 0, v16, s3
	v_add_co_u32 v13, s3, 0x200, v13
	s_delay_alu instid0(VALU_DEP_1) | instskip(SKIP_1) | instid1(SALU_CYCLE_1)
	v_add_co_ci_u32_e64 v14, s3, 0, v14, s3
	s_or_b32 s52, vcc_lo, s52
	s_and_not1_b32 exec_lo, exec_lo, s52
	s_cbranch_execz .LBB12_7
.LBB12_542:                             ;   Parent Loop BB12_9 Depth=1
                                        ; =>  This Inner Loop Header: Depth=2
	global_load_b128 v[1:4], v[13:14], off
	v_mov_b32_e32 v21, v6
	s_mov_b32 s3, exec_lo
	s_waitcnt vmcnt(0)
	v_lshlrev_b32_e32 v5, 16, v1
	s_delay_alu instid0(VALU_DEP_1) | instskip(NEXT) | instid1(VALU_DEP_1)
	v_div_scale_f32 v8, null, v46, v46, v5
	v_rcp_f32_e32 v17, v8
	s_waitcnt_depctr 0xfff
	v_fma_f32 v18, -v8, v17, 1.0
	s_delay_alu instid0(VALU_DEP_1) | instskip(SKIP_1) | instid1(VALU_DEP_1)
	v_fmac_f32_e32 v17, v18, v17
	v_div_scale_f32 v18, vcc_lo, v5, v46, v5
	v_mul_f32_e32 v19, v18, v17
	s_delay_alu instid0(VALU_DEP_1) | instskip(NEXT) | instid1(VALU_DEP_1)
	v_fma_f32 v20, -v8, v19, v18
	v_fmac_f32_e32 v19, v20, v17
	s_delay_alu instid0(VALU_DEP_1) | instskip(NEXT) | instid1(VALU_DEP_1)
	v_fma_f32 v8, -v8, v19, v18
	v_div_fmas_f32 v8, v8, v17, v19
	s_delay_alu instid0(VALU_DEP_1) | instskip(NEXT) | instid1(VALU_DEP_1)
	v_div_fixup_f32 v19, v8, v46, v5
	v_lshrrev_b32_e32 v18, 24, v19
	v_and_b32_e32 v20, 0x7f800000, v19
	v_and_b32_e32 v5, 0x7fffff, v19
	s_delay_alu instid0(VALU_DEP_3) | instskip(NEXT) | instid1(VALU_DEP_1)
	v_and_b32_e32 v8, 0x80, v18
	v_or_b32_e32 v17, 0x7e, v8
	s_delay_alu instid0(VALU_DEP_4)
	v_cmpx_ne_u64_e32 0x7f800000, v[20:21]
	s_xor_b32 s53, exec_lo, s3
	s_cbranch_execz .LBB12_558
; %bb.543:                              ;   in Loop: Header=BB12_542 Depth=2
	v_dual_mov_b32 v21, v6 :: v_dual_and_b32 v20, 0x7fffffff, v19
	s_mov_b32 s3, exec_lo
	s_delay_alu instid0(VALU_DEP_1)
	v_cmpx_gt_u64_e32 0x43e00001, v[20:21]
	s_xor_b32 s54, exec_lo, s3
	s_cbranch_execz .LBB12_557
; %bb.544:                              ;   in Loop: Header=BB12_542 Depth=2
	s_mov_b32 s55, exec_lo
	v_mov_b32_e32 v17, 0
	v_mov_b32_e32 v18, 0
	v_cmpx_ne_u32_e32 0, v19
	s_cbranch_execz .LBB12_556
; %bb.545:                              ;   in Loop: Header=BB12_542 Depth=2
	v_bfe_u32 v21, v19, 23, 8
	v_or_b32_e32 v19, 0x800000, v5
	s_delay_alu instid0(VALU_DEP_2) | instskip(SKIP_1) | instid1(VALU_DEP_2)
	v_sub_nc_u32_e32 v17, 0x79, v21
	v_cmp_gt_u32_e32 vcc_lo, 0x7a, v21
	v_cndmask_b32_e32 v17, 0, v17, vcc_lo
	v_cmp_eq_u32_e32 vcc_lo, 0, v21
	s_delay_alu instid0(VALU_DEP_2) | instskip(SKIP_1) | instid1(VALU_DEP_2)
	v_cndmask_b32_e64 v22, v17, 0x78, vcc_lo
	v_cndmask_b32_e32 v5, v19, v5, vcc_lo
	v_add_nc_u32_e32 v17, 20, v22
	v_add_nc_u32_e32 v19, 19, v22
	s_delay_alu instid0(VALU_DEP_2) | instskip(NEXT) | instid1(VALU_DEP_2)
	v_lshlrev_b64 v[17:18], v17, -1
	v_lshlrev_b64 v[19:20], v19, 1
	s_delay_alu instid0(VALU_DEP_2) | instskip(NEXT) | instid1(VALU_DEP_3)
	v_not_b32_e32 v18, v18
	v_not_b32_e32 v17, v17
	s_delay_alu instid0(VALU_DEP_2) | instskip(NEXT) | instid1(VALU_DEP_2)
	v_and_b32_e32 v24, 0, v18
	v_and_b32_e32 v23, v5, v17
	v_lshrrev_b64 v[17:18], v22, v[5:6]
	s_delay_alu instid0(VALU_DEP_2) | instskip(NEXT) | instid1(VALU_DEP_2)
	v_cmp_eq_u64_e64 s3, v[23:24], v[19:20]
	v_dual_mov_b32 v20, v18 :: v_dual_mov_b32 v19, v17
	s_delay_alu instid0(VALU_DEP_2)
	s_and_saveexec_b32 s56, s3
; %bb.546:                              ;   in Loop: Header=BB12_542 Depth=2
	v_bfe_u32 v5, v17, 20, 1
	s_delay_alu instid0(VALU_DEP_1) | instskip(NEXT) | instid1(VALU_DEP_1)
	v_add_co_u32 v5, s3, v17, v5
	v_add_co_u32 v19, s3, v5, -1
; %bb.547:                              ;   in Loop: Header=BB12_542 Depth=2
	s_or_b32 exec_lo, exec_lo, s56
	v_add_nc_u32_e32 v5, 0xffffff81, v21
	v_lshrrev_b32_e32 v20, 23, v17
	s_mov_b32 s3, exec_lo
	s_delay_alu instid0(VALU_DEP_2) | instskip(NEXT) | instid1(VALU_DEP_1)
	v_cndmask_b32_e64 v5, v5, 0xffffff82, vcc_lo
	v_add3_u32 v20, v22, v5, v20
	v_and_b32_e32 v5, 0xfffff, v19
	s_delay_alu instid0(VALU_DEP_2) | instskip(NEXT) | instid1(VALU_DEP_2)
	v_add_nc_u32_e32 v19, 6, v20
	v_add_co_u32 v17, vcc_lo, v5, v17
	v_add_co_ci_u32_e32 v18, vcc_lo, 0, v18, vcc_lo
                                        ; implicit-def: $vgpr5
	s_delay_alu instid0(VALU_DEP_3)
	v_cmpx_ne_u32_e32 0, v19
	s_xor_b32 s3, exec_lo, s3
; %bb.548:                              ;   in Loop: Header=BB12_542 Depth=2
	s_delay_alu instid0(VALU_DEP_2) | instskip(SKIP_1) | instid1(VALU_DEP_1)
	v_cmp_lt_u64_e32 vcc_lo, 0xffffff, v[17:18]
	v_add_nc_u32_e32 v5, 7, v20
	v_cndmask_b32_e32 v5, v19, v5, vcc_lo
	v_cndmask_b32_e64 v19, 0, 1, vcc_lo
	s_delay_alu instid0(VALU_DEP_1)
	v_lshrrev_b64 v[17:18], v19, v[17:18]
; %bb.549:                              ;   in Loop: Header=BB12_542 Depth=2
	s_and_not1_saveexec_b32 s3, s3
; %bb.550:                              ;   in Loop: Header=BB12_542 Depth=2
	s_delay_alu instid0(VALU_DEP_1)
	v_bfe_u32 v5, v17, 23, 1
; %bb.551:                              ;   in Loop: Header=BB12_542 Depth=2
	s_or_b32 exec_lo, exec_lo, s3
	s_delay_alu instid0(VALU_DEP_2) | instskip(NEXT) | instid1(VALU_DEP_2)
	v_lshrrev_b64 v[17:18], 20, v[17:18]
	v_cmp_gt_i32_e32 vcc_lo, 16, v5
	v_cmp_ne_u32_e64 s3, 0, v5
	s_delay_alu instid0(VALU_DEP_3) | instskip(NEXT) | instid1(VALU_DEP_1)
	v_dual_cndmask_b32 v20, 0, v18 :: v_dual_cndmask_b32 v19, 7, v17
                                        ; implicit-def: $vgpr17_vgpr18
	v_cmp_ne_u64_e32 vcc_lo, 0, v[19:20]
	s_delay_alu instid0(VALU_DEP_3) | instskip(NEXT) | instid1(SALU_CYCLE_1)
	s_or_b32 s3, s3, vcc_lo
	s_and_saveexec_b32 s56, s3
	s_delay_alu instid0(SALU_CYCLE_1)
	s_xor_b32 s3, exec_lo, s56
; %bb.552:                              ;   in Loop: Header=BB12_542 Depth=2
	v_min_i32_e32 v5, 15, v5
	s_delay_alu instid0(VALU_DEP_1) | instskip(NEXT) | instid1(VALU_DEP_1)
	v_lshl_or_b32 v5, v5, 3, v8
                                        ; implicit-def: $vgpr8
	v_and_or_b32 v17, v19, 7, v5
; %bb.553:                              ;   in Loop: Header=BB12_542 Depth=2
	s_and_not1_saveexec_b32 s3, s3
; %bb.554:                              ;   in Loop: Header=BB12_542 Depth=2
	v_dual_mov_b32 v18, v9 :: v_dual_mov_b32 v17, v8
; %bb.555:                              ;   in Loop: Header=BB12_542 Depth=2
	s_or_b32 exec_lo, exec_lo, s3
.LBB12_556:                             ;   in Loop: Header=BB12_542 Depth=2
	s_delay_alu instid0(SALU_CYCLE_1)
	s_or_b32 exec_lo, exec_lo, s55
.LBB12_557:                             ;   in Loop: Header=BB12_542 Depth=2
	s_and_not1_saveexec_b32 s3, s54
	s_delay_alu instid0(SALU_CYCLE_1)
	s_or_b32 exec_lo, exec_lo, s3
                                        ; implicit-def: $vgpr18
.LBB12_558:                             ;   in Loop: Header=BB12_542 Depth=2
	s_and_not1_saveexec_b32 s3, s53
; %bb.559:                              ;   in Loop: Header=BB12_542 Depth=2
	v_cmp_eq_u64_e32 vcc_lo, 0, v[5:6]
	v_or_b32_e32 v8, 0x7f, v18
	s_delay_alu instid0(VALU_DEP_1)
	v_cndmask_b32_e32 v17, v8, v17, vcc_lo
; %bb.560:                              ;   in Loop: Header=BB12_542 Depth=2
	s_or_b32 exec_lo, exec_lo, s3
	v_and_b32_e32 v1, 0xffff0000, v1
	s_mov_b32 s3, exec_lo
	v_mov_b32_e32 v21, v6
	s_delay_alu instid0(VALU_DEP_2) | instskip(NEXT) | instid1(VALU_DEP_1)
	v_div_scale_f32 v5, null, v46, v46, v1
	v_rcp_f32_e32 v8, v5
	s_waitcnt_depctr 0xfff
	v_fma_f32 v18, -v5, v8, 1.0
	s_delay_alu instid0(VALU_DEP_1) | instskip(SKIP_1) | instid1(VALU_DEP_1)
	v_fmac_f32_e32 v8, v18, v8
	v_div_scale_f32 v18, vcc_lo, v1, v46, v1
	v_mul_f32_e32 v19, v18, v8
	s_delay_alu instid0(VALU_DEP_1) | instskip(NEXT) | instid1(VALU_DEP_1)
	v_fma_f32 v20, -v5, v19, v18
	v_fmac_f32_e32 v19, v20, v8
	s_delay_alu instid0(VALU_DEP_1) | instskip(NEXT) | instid1(VALU_DEP_1)
	v_fma_f32 v5, -v5, v19, v18
	v_div_fmas_f32 v5, v5, v8, v19
	s_delay_alu instid0(VALU_DEP_1) | instskip(NEXT) | instid1(VALU_DEP_1)
	v_div_fixup_f32 v8, v5, v46, v1
	v_lshrrev_b32_e32 v19, 24, v8
	v_and_b32_e32 v20, 0x7f800000, v8
	v_and_b32_e32 v5, 0x7fffff, v8
	s_delay_alu instid0(VALU_DEP_3) | instskip(NEXT) | instid1(VALU_DEP_1)
	v_and_b32_e32 v1, 0x80, v19
	v_or_b32_e32 v18, 0x7e, v1
	s_delay_alu instid0(VALU_DEP_4)
	v_cmpx_ne_u64_e32 0x7f800000, v[20:21]
	s_xor_b32 s53, exec_lo, s3
	s_cbranch_execz .LBB12_576
; %bb.561:                              ;   in Loop: Header=BB12_542 Depth=2
	v_dual_mov_b32 v20, v6 :: v_dual_and_b32 v19, 0x7fffffff, v8
	s_mov_b32 s3, exec_lo
	s_delay_alu instid0(VALU_DEP_1)
	v_cmpx_gt_u64_e32 0x43e00001, v[19:20]
	s_xor_b32 s54, exec_lo, s3
	s_cbranch_execz .LBB12_575
; %bb.562:                              ;   in Loop: Header=BB12_542 Depth=2
	s_mov_b32 s55, exec_lo
	v_mov_b32_e32 v18, 0
	v_mov_b32_e32 v19, 0
	v_cmpx_ne_u32_e32 0, v8
	s_cbranch_execz .LBB12_574
; %bb.563:                              ;   in Loop: Header=BB12_542 Depth=2
	v_bfe_u32 v8, v8, 23, 8
	v_or_b32_e32 v20, 0x800000, v5
	s_delay_alu instid0(VALU_DEP_2) | instskip(SKIP_1) | instid1(VALU_DEP_2)
	v_sub_nc_u32_e32 v18, 0x79, v8
	v_cmp_gt_u32_e32 vcc_lo, 0x7a, v8
	v_cndmask_b32_e32 v18, 0, v18, vcc_lo
	v_cmp_eq_u32_e32 vcc_lo, 0, v8
	v_cndmask_b32_e32 v5, v20, v5, vcc_lo
	s_delay_alu instid0(VALU_DEP_3) | instskip(NEXT) | instid1(VALU_DEP_1)
	v_cndmask_b32_e64 v22, v18, 0x78, vcc_lo
	v_add_nc_u32_e32 v18, 20, v22
	v_add_nc_u32_e32 v20, 19, v22
	s_delay_alu instid0(VALU_DEP_2) | instskip(NEXT) | instid1(VALU_DEP_2)
	v_lshlrev_b64 v[18:19], v18, -1
	v_lshlrev_b64 v[20:21], v20, 1
	s_delay_alu instid0(VALU_DEP_2) | instskip(NEXT) | instid1(VALU_DEP_3)
	v_not_b32_e32 v19, v19
	v_not_b32_e32 v18, v18
	s_delay_alu instid0(VALU_DEP_2) | instskip(NEXT) | instid1(VALU_DEP_2)
	v_and_b32_e32 v24, 0, v19
	v_and_b32_e32 v23, v5, v18
	v_lshrrev_b64 v[18:19], v22, v[5:6]
	s_delay_alu instid0(VALU_DEP_2) | instskip(NEXT) | instid1(VALU_DEP_2)
	v_cmp_eq_u64_e64 s3, v[23:24], v[20:21]
	v_dual_mov_b32 v21, v19 :: v_dual_mov_b32 v20, v18
	s_delay_alu instid0(VALU_DEP_2)
	s_and_saveexec_b32 s56, s3
; %bb.564:                              ;   in Loop: Header=BB12_542 Depth=2
	v_bfe_u32 v5, v18, 20, 1
	s_delay_alu instid0(VALU_DEP_1) | instskip(NEXT) | instid1(VALU_DEP_1)
	v_add_co_u32 v5, s3, v18, v5
	v_add_co_u32 v20, s3, v5, -1
; %bb.565:                              ;   in Loop: Header=BB12_542 Depth=2
	s_or_b32 exec_lo, exec_lo, s56
	v_add_nc_u32_e32 v5, 0xffffff81, v8
	v_lshrrev_b32_e32 v8, 23, v18
	s_mov_b32 s3, exec_lo
	s_delay_alu instid0(VALU_DEP_2) | instskip(NEXT) | instid1(VALU_DEP_1)
	v_cndmask_b32_e64 v5, v5, 0xffffff82, vcc_lo
	v_add3_u32 v8, v22, v5, v8
	v_and_b32_e32 v5, 0xfffff, v20
	s_delay_alu instid0(VALU_DEP_2) | instskip(NEXT) | instid1(VALU_DEP_2)
	v_add_nc_u32_e32 v20, 6, v8
	v_add_co_u32 v18, vcc_lo, v5, v18
	v_add_co_ci_u32_e32 v19, vcc_lo, 0, v19, vcc_lo
                                        ; implicit-def: $vgpr5
	s_delay_alu instid0(VALU_DEP_3)
	v_cmpx_ne_u32_e32 0, v20
	s_xor_b32 s3, exec_lo, s3
; %bb.566:                              ;   in Loop: Header=BB12_542 Depth=2
	s_delay_alu instid0(VALU_DEP_2) | instskip(SKIP_2) | instid1(VALU_DEP_2)
	v_cmp_lt_u64_e32 vcc_lo, 0xffffff, v[18:19]
	v_add_nc_u32_e32 v5, 7, v8
	v_cndmask_b32_e64 v8, 0, 1, vcc_lo
	v_cndmask_b32_e32 v5, v20, v5, vcc_lo
	s_delay_alu instid0(VALU_DEP_2)
	v_lshrrev_b64 v[18:19], v8, v[18:19]
; %bb.567:                              ;   in Loop: Header=BB12_542 Depth=2
	s_and_not1_saveexec_b32 s3, s3
; %bb.568:                              ;   in Loop: Header=BB12_542 Depth=2
	s_delay_alu instid0(VALU_DEP_1)
	v_bfe_u32 v5, v18, 23, 1
; %bb.569:                              ;   in Loop: Header=BB12_542 Depth=2
	s_or_b32 exec_lo, exec_lo, s3
	s_delay_alu instid0(VALU_DEP_2) | instskip(NEXT) | instid1(VALU_DEP_2)
	v_lshrrev_b64 v[18:19], 20, v[18:19]
	v_cmp_gt_i32_e32 vcc_lo, 16, v5
	v_cmp_ne_u32_e64 s3, 0, v5
	s_delay_alu instid0(VALU_DEP_3) | instskip(NEXT) | instid1(VALU_DEP_1)
	v_dual_cndmask_b32 v21, 0, v19 :: v_dual_cndmask_b32 v20, 7, v18
                                        ; implicit-def: $vgpr18_vgpr19
	v_cmp_ne_u64_e32 vcc_lo, 0, v[20:21]
	s_delay_alu instid0(VALU_DEP_3) | instskip(NEXT) | instid1(SALU_CYCLE_1)
	s_or_b32 s3, s3, vcc_lo
	s_and_saveexec_b32 s56, s3
	s_delay_alu instid0(SALU_CYCLE_1)
	s_xor_b32 s3, exec_lo, s56
; %bb.570:                              ;   in Loop: Header=BB12_542 Depth=2
	v_min_i32_e32 v5, 15, v5
	s_delay_alu instid0(VALU_DEP_1) | instskip(NEXT) | instid1(VALU_DEP_1)
	v_lshl_or_b32 v1, v5, 3, v1
	v_and_or_b32 v18, v20, 7, v1
                                        ; implicit-def: $vgpr1
; %bb.571:                              ;   in Loop: Header=BB12_542 Depth=2
	s_and_not1_saveexec_b32 s3, s3
; %bb.572:                              ;   in Loop: Header=BB12_542 Depth=2
	v_dual_mov_b32 v19, v2 :: v_dual_mov_b32 v18, v1
; %bb.573:                              ;   in Loop: Header=BB12_542 Depth=2
	s_or_b32 exec_lo, exec_lo, s3
.LBB12_574:                             ;   in Loop: Header=BB12_542 Depth=2
	s_delay_alu instid0(SALU_CYCLE_1)
	s_or_b32 exec_lo, exec_lo, s55
.LBB12_575:                             ;   in Loop: Header=BB12_542 Depth=2
	s_and_not1_saveexec_b32 s3, s54
	s_delay_alu instid0(SALU_CYCLE_1)
	s_or_b32 exec_lo, exec_lo, s3
                                        ; implicit-def: $vgpr19
.LBB12_576:                             ;   in Loop: Header=BB12_542 Depth=2
	s_and_not1_saveexec_b32 s3, s53
; %bb.577:                              ;   in Loop: Header=BB12_542 Depth=2
	v_cmp_eq_u64_e32 vcc_lo, 0, v[5:6]
	v_or_b32_e32 v1, 0x7f, v19
	s_delay_alu instid0(VALU_DEP_1)
	v_cndmask_b32_e32 v18, v1, v18, vcc_lo
; %bb.578:                              ;   in Loop: Header=BB12_542 Depth=2
	s_or_b32 exec_lo, exec_lo, s3
	v_lshlrev_b32_e32 v1, 16, v2
	s_mov_b32 s3, exec_lo
	v_mov_b32_e32 v22, v6
	s_delay_alu instid0(VALU_DEP_2) | instskip(NEXT) | instid1(VALU_DEP_1)
	v_div_scale_f32 v5, null, v46, v46, v1
	v_rcp_f32_e32 v8, v5
	s_waitcnt_depctr 0xfff
	v_fma_f32 v19, -v5, v8, 1.0
	s_delay_alu instid0(VALU_DEP_1) | instskip(SKIP_1) | instid1(VALU_DEP_1)
	v_fmac_f32_e32 v8, v19, v8
	v_div_scale_f32 v19, vcc_lo, v1, v46, v1
	v_mul_f32_e32 v20, v19, v8
	s_delay_alu instid0(VALU_DEP_1) | instskip(NEXT) | instid1(VALU_DEP_1)
	v_fma_f32 v21, -v5, v20, v19
	v_fmac_f32_e32 v20, v21, v8
	s_delay_alu instid0(VALU_DEP_1) | instskip(NEXT) | instid1(VALU_DEP_1)
	v_fma_f32 v5, -v5, v20, v19
	v_div_fmas_f32 v5, v5, v8, v20
	s_delay_alu instid0(VALU_DEP_1) | instskip(NEXT) | instid1(VALU_DEP_1)
	v_div_fixup_f32 v8, v5, v46, v1
	v_lshrrev_b32_e32 v20, 24, v8
	v_and_b32_e32 v21, 0x7f800000, v8
	v_and_b32_e32 v5, 0x7fffff, v8
	s_delay_alu instid0(VALU_DEP_3) | instskip(NEXT) | instid1(VALU_DEP_1)
	v_and_b32_e32 v1, 0x80, v20
	v_or_b32_e32 v19, 0x7e, v1
	s_delay_alu instid0(VALU_DEP_4)
	v_cmpx_ne_u64_e32 0x7f800000, v[21:22]
	s_xor_b32 s53, exec_lo, s3
	s_cbranch_execz .LBB12_594
; %bb.579:                              ;   in Loop: Header=BB12_542 Depth=2
	v_dual_mov_b32 v21, v6 :: v_dual_and_b32 v20, 0x7fffffff, v8
	s_mov_b32 s3, exec_lo
	s_delay_alu instid0(VALU_DEP_1)
	v_cmpx_gt_u64_e32 0x43e00001, v[20:21]
	s_xor_b32 s54, exec_lo, s3
	s_cbranch_execz .LBB12_593
; %bb.580:                              ;   in Loop: Header=BB12_542 Depth=2
	s_mov_b32 s55, exec_lo
	v_mov_b32_e32 v19, 0
	v_mov_b32_e32 v20, 0
	v_cmpx_ne_u32_e32 0, v8
	s_cbranch_execz .LBB12_592
; %bb.581:                              ;   in Loop: Header=BB12_542 Depth=2
	v_bfe_u32 v8, v8, 23, 8
	v_or_b32_e32 v21, 0x800000, v5
	s_delay_alu instid0(VALU_DEP_2) | instskip(SKIP_1) | instid1(VALU_DEP_2)
	v_sub_nc_u32_e32 v19, 0x79, v8
	v_cmp_gt_u32_e32 vcc_lo, 0x7a, v8
	v_cndmask_b32_e32 v19, 0, v19, vcc_lo
	v_cmp_eq_u32_e32 vcc_lo, 0, v8
	s_delay_alu instid0(VALU_DEP_2) | instskip(SKIP_1) | instid1(VALU_DEP_2)
	v_cndmask_b32_e64 v23, v19, 0x78, vcc_lo
	v_cndmask_b32_e32 v5, v21, v5, vcc_lo
	v_add_nc_u32_e32 v19, 20, v23
	v_add_nc_u32_e32 v21, 19, v23
	s_delay_alu instid0(VALU_DEP_2) | instskip(NEXT) | instid1(VALU_DEP_2)
	v_lshlrev_b64 v[19:20], v19, -1
	v_lshlrev_b64 v[21:22], v21, 1
	s_delay_alu instid0(VALU_DEP_2) | instskip(NEXT) | instid1(VALU_DEP_3)
	v_not_b32_e32 v20, v20
	v_not_b32_e32 v19, v19
	s_delay_alu instid0(VALU_DEP_2) | instskip(NEXT) | instid1(VALU_DEP_2)
	v_and_b32_e32 v27, 0, v20
	v_and_b32_e32 v26, v5, v19
	v_lshrrev_b64 v[19:20], v23, v[5:6]
	s_delay_alu instid0(VALU_DEP_2) | instskip(NEXT) | instid1(VALU_DEP_2)
	v_cmp_eq_u64_e64 s3, v[26:27], v[21:22]
	v_dual_mov_b32 v22, v20 :: v_dual_mov_b32 v21, v19
	s_delay_alu instid0(VALU_DEP_2)
	s_and_saveexec_b32 s56, s3
; %bb.582:                              ;   in Loop: Header=BB12_542 Depth=2
	v_bfe_u32 v5, v19, 20, 1
	s_delay_alu instid0(VALU_DEP_1) | instskip(NEXT) | instid1(VALU_DEP_1)
	v_add_co_u32 v5, s3, v19, v5
	v_add_co_u32 v21, s3, v5, -1
; %bb.583:                              ;   in Loop: Header=BB12_542 Depth=2
	s_or_b32 exec_lo, exec_lo, s56
	v_add_nc_u32_e32 v5, 0xffffff81, v8
	v_lshrrev_b32_e32 v8, 23, v19
	s_mov_b32 s3, exec_lo
	s_delay_alu instid0(VALU_DEP_2) | instskip(NEXT) | instid1(VALU_DEP_1)
	v_cndmask_b32_e64 v5, v5, 0xffffff82, vcc_lo
	v_add3_u32 v8, v23, v5, v8
	v_and_b32_e32 v5, 0xfffff, v21
	s_delay_alu instid0(VALU_DEP_2) | instskip(NEXT) | instid1(VALU_DEP_2)
	v_add_nc_u32_e32 v21, 6, v8
	v_add_co_u32 v19, vcc_lo, v5, v19
	v_add_co_ci_u32_e32 v20, vcc_lo, 0, v20, vcc_lo
                                        ; implicit-def: $vgpr5
	s_delay_alu instid0(VALU_DEP_3)
	v_cmpx_ne_u32_e32 0, v21
	s_xor_b32 s3, exec_lo, s3
; %bb.584:                              ;   in Loop: Header=BB12_542 Depth=2
	s_delay_alu instid0(VALU_DEP_2) | instskip(SKIP_2) | instid1(VALU_DEP_2)
	v_cmp_lt_u64_e32 vcc_lo, 0xffffff, v[19:20]
	v_add_nc_u32_e32 v5, 7, v8
	v_cndmask_b32_e64 v8, 0, 1, vcc_lo
	v_cndmask_b32_e32 v5, v21, v5, vcc_lo
	s_delay_alu instid0(VALU_DEP_2)
	v_lshrrev_b64 v[19:20], v8, v[19:20]
; %bb.585:                              ;   in Loop: Header=BB12_542 Depth=2
	s_and_not1_saveexec_b32 s3, s3
; %bb.586:                              ;   in Loop: Header=BB12_542 Depth=2
	s_delay_alu instid0(VALU_DEP_1)
	v_bfe_u32 v5, v19, 23, 1
; %bb.587:                              ;   in Loop: Header=BB12_542 Depth=2
	s_or_b32 exec_lo, exec_lo, s3
	s_delay_alu instid0(VALU_DEP_2) | instskip(NEXT) | instid1(VALU_DEP_2)
	v_lshrrev_b64 v[19:20], 20, v[19:20]
	v_cmp_gt_i32_e32 vcc_lo, 16, v5
	v_cmp_ne_u32_e64 s3, 0, v5
	s_delay_alu instid0(VALU_DEP_3) | instskip(NEXT) | instid1(VALU_DEP_1)
	v_dual_cndmask_b32 v22, 0, v20 :: v_dual_cndmask_b32 v21, 7, v19
                                        ; implicit-def: $vgpr19_vgpr20
	v_cmp_ne_u64_e32 vcc_lo, 0, v[21:22]
	s_delay_alu instid0(VALU_DEP_3) | instskip(NEXT) | instid1(SALU_CYCLE_1)
	s_or_b32 s3, s3, vcc_lo
	s_and_saveexec_b32 s56, s3
	s_delay_alu instid0(SALU_CYCLE_1)
	s_xor_b32 s3, exec_lo, s56
; %bb.588:                              ;   in Loop: Header=BB12_542 Depth=2
	v_min_i32_e32 v5, 15, v5
	s_delay_alu instid0(VALU_DEP_1) | instskip(NEXT) | instid1(VALU_DEP_1)
	v_lshl_or_b32 v1, v5, 3, v1
	v_and_or_b32 v19, v21, 7, v1
                                        ; implicit-def: $vgpr1
; %bb.589:                              ;   in Loop: Header=BB12_542 Depth=2
	s_and_not1_saveexec_b32 s3, s3
; %bb.590:                              ;   in Loop: Header=BB12_542 Depth=2
	v_dual_mov_b32 v20, v2 :: v_dual_mov_b32 v19, v1
; %bb.591:                              ;   in Loop: Header=BB12_542 Depth=2
	s_or_b32 exec_lo, exec_lo, s3
.LBB12_592:                             ;   in Loop: Header=BB12_542 Depth=2
	s_delay_alu instid0(SALU_CYCLE_1)
	s_or_b32 exec_lo, exec_lo, s55
.LBB12_593:                             ;   in Loop: Header=BB12_542 Depth=2
	s_and_not1_saveexec_b32 s3, s54
	s_delay_alu instid0(SALU_CYCLE_1)
	s_or_b32 exec_lo, exec_lo, s3
                                        ; implicit-def: $vgpr20
.LBB12_594:                             ;   in Loop: Header=BB12_542 Depth=2
	s_and_not1_saveexec_b32 s3, s53
; %bb.595:                              ;   in Loop: Header=BB12_542 Depth=2
	v_cmp_eq_u64_e32 vcc_lo, 0, v[5:6]
	v_or_b32_e32 v1, 0x7f, v20
	s_delay_alu instid0(VALU_DEP_1)
	v_cndmask_b32_e32 v19, v1, v19, vcc_lo
; %bb.596:                              ;   in Loop: Header=BB12_542 Depth=2
	s_or_b32 exec_lo, exec_lo, s3
	v_and_b32_e32 v1, 0xffff0000, v2
	s_mov_b32 s3, exec_lo
	v_mov_b32_e32 v22, v6
	s_delay_alu instid0(VALU_DEP_2) | instskip(NEXT) | instid1(VALU_DEP_1)
	v_div_scale_f32 v2, null, v46, v46, v1
	v_rcp_f32_e32 v5, v2
	s_waitcnt_depctr 0xfff
	v_fma_f32 v8, -v2, v5, 1.0
	s_delay_alu instid0(VALU_DEP_1) | instskip(SKIP_1) | instid1(VALU_DEP_1)
	v_fmac_f32_e32 v5, v8, v5
	v_div_scale_f32 v8, vcc_lo, v1, v46, v1
	v_mul_f32_e32 v20, v8, v5
	s_delay_alu instid0(VALU_DEP_1) | instskip(NEXT) | instid1(VALU_DEP_1)
	v_fma_f32 v21, -v2, v20, v8
	v_fmac_f32_e32 v20, v21, v5
	s_delay_alu instid0(VALU_DEP_1) | instskip(NEXT) | instid1(VALU_DEP_1)
	v_fma_f32 v2, -v2, v20, v8
	v_div_fmas_f32 v2, v2, v5, v20
	s_delay_alu instid0(VALU_DEP_1) | instskip(NEXT) | instid1(VALU_DEP_1)
	v_div_fixup_f32 v20, v2, v46, v1
	v_lshrrev_b32_e32 v2, 24, v20
	v_and_b32_e32 v21, 0x7f800000, v20
	v_and_b32_e32 v5, 0x7fffff, v20
	s_delay_alu instid0(VALU_DEP_3) | instskip(NEXT) | instid1(VALU_DEP_1)
	v_and_b32_e32 v8, 0x80, v2
	v_or_b32_e32 v1, 0x7e, v8
	s_delay_alu instid0(VALU_DEP_4)
	v_cmpx_ne_u64_e32 0x7f800000, v[21:22]
	s_xor_b32 s53, exec_lo, s3
	s_cbranch_execz .LBB12_612
; %bb.597:                              ;   in Loop: Header=BB12_542 Depth=2
	v_dual_mov_b32 v22, v6 :: v_dual_and_b32 v21, 0x7fffffff, v20
	s_mov_b32 s3, exec_lo
	s_delay_alu instid0(VALU_DEP_1)
	v_cmpx_gt_u64_e32 0x43e00001, v[21:22]
	s_xor_b32 s54, exec_lo, s3
	s_cbranch_execz .LBB12_611
; %bb.598:                              ;   in Loop: Header=BB12_542 Depth=2
	s_mov_b32 s55, exec_lo
	v_mov_b32_e32 v1, 0
	v_mov_b32_e32 v2, 0
	v_cmpx_ne_u32_e32 0, v20
	s_cbranch_execz .LBB12_610
; %bb.599:                              ;   in Loop: Header=BB12_542 Depth=2
	v_bfe_u32 v22, v20, 23, 8
	v_or_b32_e32 v20, 0x800000, v5
	s_delay_alu instid0(VALU_DEP_2) | instskip(SKIP_1) | instid1(VALU_DEP_2)
	v_sub_nc_u32_e32 v1, 0x79, v22
	v_cmp_gt_u32_e32 vcc_lo, 0x7a, v22
	v_cndmask_b32_e32 v1, 0, v1, vcc_lo
	v_cmp_eq_u32_e32 vcc_lo, 0, v22
	s_delay_alu instid0(VALU_DEP_2) | instskip(SKIP_1) | instid1(VALU_DEP_2)
	v_cndmask_b32_e64 v23, v1, 0x78, vcc_lo
	v_cndmask_b32_e32 v5, v20, v5, vcc_lo
	v_add_nc_u32_e32 v1, 20, v23
	v_add_nc_u32_e32 v20, 19, v23
	s_delay_alu instid0(VALU_DEP_2) | instskip(NEXT) | instid1(VALU_DEP_2)
	v_lshlrev_b64 v[1:2], v1, -1
	v_lshlrev_b64 v[20:21], v20, 1
	s_delay_alu instid0(VALU_DEP_2) | instskip(NEXT) | instid1(VALU_DEP_3)
	v_not_b32_e32 v2, v2
	v_not_b32_e32 v1, v1
	s_delay_alu instid0(VALU_DEP_2) | instskip(NEXT) | instid1(VALU_DEP_2)
	v_and_b32_e32 v27, 0, v2
	v_and_b32_e32 v26, v5, v1
	v_lshrrev_b64 v[1:2], v23, v[5:6]
	s_delay_alu instid0(VALU_DEP_2) | instskip(NEXT) | instid1(VALU_DEP_2)
	v_cmp_eq_u64_e64 s3, v[26:27], v[20:21]
	v_dual_mov_b32 v21, v2 :: v_dual_mov_b32 v20, v1
	s_delay_alu instid0(VALU_DEP_2)
	s_and_saveexec_b32 s56, s3
; %bb.600:                              ;   in Loop: Header=BB12_542 Depth=2
	v_bfe_u32 v5, v1, 20, 1
	s_delay_alu instid0(VALU_DEP_1) | instskip(NEXT) | instid1(VALU_DEP_1)
	v_add_co_u32 v5, s3, v1, v5
	v_add_co_u32 v20, s3, v5, -1
; %bb.601:                              ;   in Loop: Header=BB12_542 Depth=2
	s_or_b32 exec_lo, exec_lo, s56
	v_add_nc_u32_e32 v5, 0xffffff81, v22
	v_lshrrev_b32_e32 v21, 23, v1
	s_mov_b32 s3, exec_lo
	s_delay_alu instid0(VALU_DEP_2) | instskip(NEXT) | instid1(VALU_DEP_1)
	v_cndmask_b32_e64 v5, v5, 0xffffff82, vcc_lo
	v_add3_u32 v21, v23, v5, v21
	v_and_b32_e32 v5, 0xfffff, v20
	s_delay_alu instid0(VALU_DEP_2) | instskip(NEXT) | instid1(VALU_DEP_2)
	v_add_nc_u32_e32 v20, 6, v21
	v_add_co_u32 v1, vcc_lo, v5, v1
	v_add_co_ci_u32_e32 v2, vcc_lo, 0, v2, vcc_lo
                                        ; implicit-def: $vgpr5
	s_delay_alu instid0(VALU_DEP_3)
	v_cmpx_ne_u32_e32 0, v20
	s_xor_b32 s3, exec_lo, s3
; %bb.602:                              ;   in Loop: Header=BB12_542 Depth=2
	s_delay_alu instid0(VALU_DEP_2) | instskip(SKIP_1) | instid1(VALU_DEP_1)
	v_cmp_lt_u64_e32 vcc_lo, 0xffffff, v[1:2]
	v_add_nc_u32_e32 v5, 7, v21
	v_cndmask_b32_e32 v5, v20, v5, vcc_lo
	v_cndmask_b32_e64 v20, 0, 1, vcc_lo
	s_delay_alu instid0(VALU_DEP_1)
	v_lshrrev_b64 v[1:2], v20, v[1:2]
; %bb.603:                              ;   in Loop: Header=BB12_542 Depth=2
	s_and_not1_saveexec_b32 s3, s3
; %bb.604:                              ;   in Loop: Header=BB12_542 Depth=2
	s_delay_alu instid0(VALU_DEP_1)
	v_bfe_u32 v5, v1, 23, 1
; %bb.605:                              ;   in Loop: Header=BB12_542 Depth=2
	s_or_b32 exec_lo, exec_lo, s3
	s_delay_alu instid0(VALU_DEP_2) | instskip(NEXT) | instid1(VALU_DEP_2)
	v_lshrrev_b64 v[1:2], 20, v[1:2]
	v_cmp_gt_i32_e32 vcc_lo, 16, v5
	v_cmp_ne_u32_e64 s3, 0, v5
	s_delay_alu instid0(VALU_DEP_3) | instskip(NEXT) | instid1(VALU_DEP_1)
	v_dual_cndmask_b32 v21, 0, v2 :: v_dual_cndmask_b32 v20, 7, v1
                                        ; implicit-def: $vgpr1_vgpr2
	v_cmp_ne_u64_e32 vcc_lo, 0, v[20:21]
	s_delay_alu instid0(VALU_DEP_3) | instskip(NEXT) | instid1(SALU_CYCLE_1)
	s_or_b32 s3, s3, vcc_lo
	s_and_saveexec_b32 s56, s3
	s_delay_alu instid0(SALU_CYCLE_1)
	s_xor_b32 s3, exec_lo, s56
; %bb.606:                              ;   in Loop: Header=BB12_542 Depth=2
	v_min_i32_e32 v1, 15, v5
	s_delay_alu instid0(VALU_DEP_1) | instskip(NEXT) | instid1(VALU_DEP_1)
	v_lshl_or_b32 v1, v1, 3, v8
                                        ; implicit-def: $vgpr8
	v_and_or_b32 v1, v20, 7, v1
; %bb.607:                              ;   in Loop: Header=BB12_542 Depth=2
	s_and_not1_saveexec_b32 s3, s3
; %bb.608:                              ;   in Loop: Header=BB12_542 Depth=2
	v_dual_mov_b32 v1, v8 :: v_dual_mov_b32 v2, v9
; %bb.609:                              ;   in Loop: Header=BB12_542 Depth=2
	s_or_b32 exec_lo, exec_lo, s3
.LBB12_610:                             ;   in Loop: Header=BB12_542 Depth=2
	s_delay_alu instid0(SALU_CYCLE_1)
	s_or_b32 exec_lo, exec_lo, s55
.LBB12_611:                             ;   in Loop: Header=BB12_542 Depth=2
	s_and_not1_saveexec_b32 s3, s54
	s_delay_alu instid0(SALU_CYCLE_1)
	s_or_b32 exec_lo, exec_lo, s3
                                        ; implicit-def: $vgpr2
.LBB12_612:                             ;   in Loop: Header=BB12_542 Depth=2
	s_and_not1_saveexec_b32 s3, s53
; %bb.613:                              ;   in Loop: Header=BB12_542 Depth=2
	v_cmp_eq_u64_e32 vcc_lo, 0, v[5:6]
	v_or_b32_e32 v2, 0x7f, v2
	s_delay_alu instid0(VALU_DEP_1)
	v_cndmask_b32_e32 v1, v2, v1, vcc_lo
; %bb.614:                              ;   in Loop: Header=BB12_542 Depth=2
	s_or_b32 exec_lo, exec_lo, s3
	v_lshlrev_b32_e32 v2, 16, v3
	s_mov_b32 s3, exec_lo
	v_mov_b32_e32 v23, v6
	s_delay_alu instid0(VALU_DEP_2) | instskip(NEXT) | instid1(VALU_DEP_1)
	v_div_scale_f32 v5, null, v46, v46, v2
	v_rcp_f32_e32 v8, v5
	s_waitcnt_depctr 0xfff
	v_fma_f32 v20, -v5, v8, 1.0
	s_delay_alu instid0(VALU_DEP_1) | instskip(SKIP_1) | instid1(VALU_DEP_1)
	v_fmac_f32_e32 v8, v20, v8
	v_div_scale_f32 v20, vcc_lo, v2, v46, v2
	v_mul_f32_e32 v21, v20, v8
	s_delay_alu instid0(VALU_DEP_1) | instskip(NEXT) | instid1(VALU_DEP_1)
	v_fma_f32 v22, -v5, v21, v20
	v_fmac_f32_e32 v21, v22, v8
	s_delay_alu instid0(VALU_DEP_1) | instskip(NEXT) | instid1(VALU_DEP_1)
	v_fma_f32 v5, -v5, v21, v20
	v_div_fmas_f32 v5, v5, v8, v21
	s_delay_alu instid0(VALU_DEP_1) | instskip(NEXT) | instid1(VALU_DEP_1)
	v_div_fixup_f32 v8, v5, v46, v2
	v_lshrrev_b32_e32 v21, 24, v8
	v_and_b32_e32 v22, 0x7f800000, v8
	v_and_b32_e32 v5, 0x7fffff, v8
	s_delay_alu instid0(VALU_DEP_3) | instskip(NEXT) | instid1(VALU_DEP_1)
	v_and_b32_e32 v2, 0x80, v21
	v_or_b32_e32 v20, 0x7e, v2
	s_delay_alu instid0(VALU_DEP_4)
	v_cmpx_ne_u64_e32 0x7f800000, v[22:23]
	s_xor_b32 s53, exec_lo, s3
	s_cbranch_execz .LBB12_630
; %bb.615:                              ;   in Loop: Header=BB12_542 Depth=2
	v_dual_mov_b32 v22, v6 :: v_dual_and_b32 v21, 0x7fffffff, v8
	s_mov_b32 s3, exec_lo
	s_delay_alu instid0(VALU_DEP_1)
	v_cmpx_gt_u64_e32 0x43e00001, v[21:22]
	s_xor_b32 s54, exec_lo, s3
	s_cbranch_execz .LBB12_629
; %bb.616:                              ;   in Loop: Header=BB12_542 Depth=2
	s_mov_b32 s55, exec_lo
	v_mov_b32_e32 v20, 0
	v_mov_b32_e32 v21, 0
	v_cmpx_ne_u32_e32 0, v8
	s_cbranch_execz .LBB12_628
; %bb.617:                              ;   in Loop: Header=BB12_542 Depth=2
	v_bfe_u32 v8, v8, 23, 8
	v_or_b32_e32 v22, 0x800000, v5
	s_delay_alu instid0(VALU_DEP_2) | instskip(SKIP_1) | instid1(VALU_DEP_2)
	v_sub_nc_u32_e32 v20, 0x79, v8
	v_cmp_gt_u32_e32 vcc_lo, 0x7a, v8
	v_cndmask_b32_e32 v20, 0, v20, vcc_lo
	v_cmp_eq_u32_e32 vcc_lo, 0, v8
	v_cndmask_b32_e32 v5, v22, v5, vcc_lo
	s_delay_alu instid0(VALU_DEP_3) | instskip(NEXT) | instid1(VALU_DEP_1)
	v_cndmask_b32_e64 v24, v20, 0x78, vcc_lo
	v_add_nc_u32_e32 v20, 20, v24
	v_add_nc_u32_e32 v22, 19, v24
	s_delay_alu instid0(VALU_DEP_2) | instskip(NEXT) | instid1(VALU_DEP_2)
	v_lshlrev_b64 v[20:21], v20, -1
	v_lshlrev_b64 v[22:23], v22, 1
	s_delay_alu instid0(VALU_DEP_2) | instskip(NEXT) | instid1(VALU_DEP_3)
	v_not_b32_e32 v21, v21
	v_not_b32_e32 v20, v20
	s_delay_alu instid0(VALU_DEP_2) | instskip(NEXT) | instid1(VALU_DEP_2)
	v_and_b32_e32 v27, 0, v21
	v_and_b32_e32 v26, v5, v20
	v_lshrrev_b64 v[20:21], v24, v[5:6]
	s_delay_alu instid0(VALU_DEP_2) | instskip(NEXT) | instid1(VALU_DEP_2)
	v_cmp_eq_u64_e64 s3, v[26:27], v[22:23]
	v_dual_mov_b32 v23, v21 :: v_dual_mov_b32 v22, v20
	s_delay_alu instid0(VALU_DEP_2)
	s_and_saveexec_b32 s56, s3
; %bb.618:                              ;   in Loop: Header=BB12_542 Depth=2
	v_bfe_u32 v5, v20, 20, 1
	s_delay_alu instid0(VALU_DEP_1) | instskip(NEXT) | instid1(VALU_DEP_1)
	v_add_co_u32 v5, s3, v20, v5
	v_add_co_u32 v22, s3, v5, -1
; %bb.619:                              ;   in Loop: Header=BB12_542 Depth=2
	s_or_b32 exec_lo, exec_lo, s56
	v_add_nc_u32_e32 v5, 0xffffff81, v8
	v_lshrrev_b32_e32 v8, 23, v20
	s_mov_b32 s3, exec_lo
	s_delay_alu instid0(VALU_DEP_2) | instskip(NEXT) | instid1(VALU_DEP_1)
	v_cndmask_b32_e64 v5, v5, 0xffffff82, vcc_lo
	v_add3_u32 v8, v24, v5, v8
	v_and_b32_e32 v5, 0xfffff, v22
	s_delay_alu instid0(VALU_DEP_2) | instskip(NEXT) | instid1(VALU_DEP_2)
	v_add_nc_u32_e32 v22, 6, v8
	v_add_co_u32 v20, vcc_lo, v5, v20
	v_add_co_ci_u32_e32 v21, vcc_lo, 0, v21, vcc_lo
                                        ; implicit-def: $vgpr5
	s_delay_alu instid0(VALU_DEP_3)
	v_cmpx_ne_u32_e32 0, v22
	s_xor_b32 s3, exec_lo, s3
; %bb.620:                              ;   in Loop: Header=BB12_542 Depth=2
	s_delay_alu instid0(VALU_DEP_2) | instskip(SKIP_2) | instid1(VALU_DEP_2)
	v_cmp_lt_u64_e32 vcc_lo, 0xffffff, v[20:21]
	v_add_nc_u32_e32 v5, 7, v8
	v_cndmask_b32_e64 v8, 0, 1, vcc_lo
	v_cndmask_b32_e32 v5, v22, v5, vcc_lo
	s_delay_alu instid0(VALU_DEP_2)
	v_lshrrev_b64 v[20:21], v8, v[20:21]
; %bb.621:                              ;   in Loop: Header=BB12_542 Depth=2
	s_and_not1_saveexec_b32 s3, s3
; %bb.622:                              ;   in Loop: Header=BB12_542 Depth=2
	s_delay_alu instid0(VALU_DEP_1)
	v_bfe_u32 v5, v20, 23, 1
; %bb.623:                              ;   in Loop: Header=BB12_542 Depth=2
	s_or_b32 exec_lo, exec_lo, s3
	s_delay_alu instid0(VALU_DEP_2) | instskip(NEXT) | instid1(VALU_DEP_2)
	v_lshrrev_b64 v[20:21], 20, v[20:21]
	v_cmp_gt_i32_e32 vcc_lo, 16, v5
	v_cmp_ne_u32_e64 s3, 0, v5
	s_delay_alu instid0(VALU_DEP_3) | instskip(NEXT) | instid1(VALU_DEP_1)
	v_dual_cndmask_b32 v23, 0, v21 :: v_dual_cndmask_b32 v22, 7, v20
                                        ; implicit-def: $vgpr20_vgpr21
	v_cmp_ne_u64_e32 vcc_lo, 0, v[22:23]
	s_delay_alu instid0(VALU_DEP_3) | instskip(NEXT) | instid1(SALU_CYCLE_1)
	s_or_b32 s3, s3, vcc_lo
	s_and_saveexec_b32 s56, s3
	s_delay_alu instid0(SALU_CYCLE_1)
	s_xor_b32 s3, exec_lo, s56
; %bb.624:                              ;   in Loop: Header=BB12_542 Depth=2
	v_min_i32_e32 v5, 15, v5
	s_delay_alu instid0(VALU_DEP_1) | instskip(NEXT) | instid1(VALU_DEP_1)
	v_lshl_or_b32 v2, v5, 3, v2
	v_and_or_b32 v20, v22, 7, v2
                                        ; implicit-def: $vgpr2
; %bb.625:                              ;   in Loop: Header=BB12_542 Depth=2
	s_and_not1_saveexec_b32 s3, s3
; %bb.626:                              ;   in Loop: Header=BB12_542 Depth=2
	v_dual_mov_b32 v21, v3 :: v_dual_mov_b32 v20, v2
; %bb.627:                              ;   in Loop: Header=BB12_542 Depth=2
	s_or_b32 exec_lo, exec_lo, s3
.LBB12_628:                             ;   in Loop: Header=BB12_542 Depth=2
	s_delay_alu instid0(SALU_CYCLE_1)
	s_or_b32 exec_lo, exec_lo, s55
.LBB12_629:                             ;   in Loop: Header=BB12_542 Depth=2
	s_and_not1_saveexec_b32 s3, s54
	s_delay_alu instid0(SALU_CYCLE_1)
	s_or_b32 exec_lo, exec_lo, s3
                                        ; implicit-def: $vgpr21
.LBB12_630:                             ;   in Loop: Header=BB12_542 Depth=2
	s_and_not1_saveexec_b32 s3, s53
; %bb.631:                              ;   in Loop: Header=BB12_542 Depth=2
	v_cmp_eq_u64_e32 vcc_lo, 0, v[5:6]
	v_or_b32_e32 v2, 0x7f, v21
	s_delay_alu instid0(VALU_DEP_1)
	v_cndmask_b32_e32 v20, v2, v20, vcc_lo
; %bb.632:                              ;   in Loop: Header=BB12_542 Depth=2
	s_or_b32 exec_lo, exec_lo, s3
	v_and_b32_e32 v2, 0xffff0000, v3
	s_mov_b32 s3, exec_lo
	v_mov_b32_e32 v23, v6
	s_delay_alu instid0(VALU_DEP_2) | instskip(NEXT) | instid1(VALU_DEP_1)
	v_div_scale_f32 v3, null, v46, v46, v2
	v_rcp_f32_e32 v5, v3
	s_waitcnt_depctr 0xfff
	v_fma_f32 v8, -v3, v5, 1.0
	s_delay_alu instid0(VALU_DEP_1) | instskip(SKIP_1) | instid1(VALU_DEP_1)
	v_fmac_f32_e32 v5, v8, v5
	v_div_scale_f32 v8, vcc_lo, v2, v46, v2
	v_mul_f32_e32 v21, v8, v5
	s_delay_alu instid0(VALU_DEP_1) | instskip(NEXT) | instid1(VALU_DEP_1)
	v_fma_f32 v22, -v3, v21, v8
	v_fmac_f32_e32 v21, v22, v5
	s_delay_alu instid0(VALU_DEP_1) | instskip(NEXT) | instid1(VALU_DEP_1)
	v_fma_f32 v3, -v3, v21, v8
	v_div_fmas_f32 v3, v3, v5, v21
	s_delay_alu instid0(VALU_DEP_1) | instskip(NEXT) | instid1(VALU_DEP_1)
	v_div_fixup_f32 v21, v3, v46, v2
	v_lshrrev_b32_e32 v3, 24, v21
	v_and_b32_e32 v22, 0x7f800000, v21
	v_and_b32_e32 v5, 0x7fffff, v21
	s_delay_alu instid0(VALU_DEP_3) | instskip(NEXT) | instid1(VALU_DEP_1)
	v_and_b32_e32 v8, 0x80, v3
	v_or_b32_e32 v2, 0x7e, v8
	s_delay_alu instid0(VALU_DEP_4)
	v_cmpx_ne_u64_e32 0x7f800000, v[22:23]
	s_xor_b32 s53, exec_lo, s3
	s_cbranch_execz .LBB12_648
; %bb.633:                              ;   in Loop: Header=BB12_542 Depth=2
	v_dual_mov_b32 v23, v6 :: v_dual_and_b32 v22, 0x7fffffff, v21
	s_mov_b32 s3, exec_lo
	s_delay_alu instid0(VALU_DEP_1)
	v_cmpx_gt_u64_e32 0x43e00001, v[22:23]
	s_xor_b32 s54, exec_lo, s3
	s_cbranch_execz .LBB12_647
; %bb.634:                              ;   in Loop: Header=BB12_542 Depth=2
	s_mov_b32 s55, exec_lo
	v_mov_b32_e32 v2, 0
	v_mov_b32_e32 v3, 0
	v_cmpx_ne_u32_e32 0, v21
	s_cbranch_execz .LBB12_646
; %bb.635:                              ;   in Loop: Header=BB12_542 Depth=2
	v_bfe_u32 v23, v21, 23, 8
	v_or_b32_e32 v21, 0x800000, v5
	s_delay_alu instid0(VALU_DEP_2) | instskip(SKIP_1) | instid1(VALU_DEP_2)
	v_sub_nc_u32_e32 v2, 0x79, v23
	v_cmp_gt_u32_e32 vcc_lo, 0x7a, v23
	v_cndmask_b32_e32 v2, 0, v2, vcc_lo
	v_cmp_eq_u32_e32 vcc_lo, 0, v23
	v_cndmask_b32_e32 v5, v21, v5, vcc_lo
	s_delay_alu instid0(VALU_DEP_3) | instskip(NEXT) | instid1(VALU_DEP_1)
	v_cndmask_b32_e64 v24, v2, 0x78, vcc_lo
	v_add_nc_u32_e32 v2, 20, v24
	v_add_nc_u32_e32 v21, 19, v24
	s_delay_alu instid0(VALU_DEP_2) | instskip(NEXT) | instid1(VALU_DEP_2)
	v_lshlrev_b64 v[2:3], v2, -1
	v_lshlrev_b64 v[21:22], v21, 1
	s_delay_alu instid0(VALU_DEP_2) | instskip(NEXT) | instid1(VALU_DEP_3)
	v_not_b32_e32 v3, v3
	v_not_b32_e32 v2, v2
	s_delay_alu instid0(VALU_DEP_2) | instskip(NEXT) | instid1(VALU_DEP_2)
	v_and_b32_e32 v27, 0, v3
	v_and_b32_e32 v26, v5, v2
	v_lshrrev_b64 v[2:3], v24, v[5:6]
	s_delay_alu instid0(VALU_DEP_2) | instskip(NEXT) | instid1(VALU_DEP_2)
	v_cmp_eq_u64_e64 s3, v[26:27], v[21:22]
	v_dual_mov_b32 v22, v3 :: v_dual_mov_b32 v21, v2
	s_delay_alu instid0(VALU_DEP_2)
	s_and_saveexec_b32 s56, s3
; %bb.636:                              ;   in Loop: Header=BB12_542 Depth=2
	v_bfe_u32 v5, v2, 20, 1
	s_delay_alu instid0(VALU_DEP_1) | instskip(NEXT) | instid1(VALU_DEP_1)
	v_add_co_u32 v5, s3, v2, v5
	v_add_co_u32 v21, s3, v5, -1
; %bb.637:                              ;   in Loop: Header=BB12_542 Depth=2
	s_or_b32 exec_lo, exec_lo, s56
	v_add_nc_u32_e32 v5, 0xffffff81, v23
	v_lshrrev_b32_e32 v22, 23, v2
	s_mov_b32 s3, exec_lo
	s_delay_alu instid0(VALU_DEP_2) | instskip(NEXT) | instid1(VALU_DEP_1)
	v_cndmask_b32_e64 v5, v5, 0xffffff82, vcc_lo
	v_add3_u32 v22, v24, v5, v22
	v_and_b32_e32 v5, 0xfffff, v21
	s_delay_alu instid0(VALU_DEP_2) | instskip(NEXT) | instid1(VALU_DEP_2)
	v_add_nc_u32_e32 v21, 6, v22
	v_add_co_u32 v2, vcc_lo, v5, v2
	v_add_co_ci_u32_e32 v3, vcc_lo, 0, v3, vcc_lo
                                        ; implicit-def: $vgpr5
	s_delay_alu instid0(VALU_DEP_3)
	v_cmpx_ne_u32_e32 0, v21
	s_xor_b32 s3, exec_lo, s3
; %bb.638:                              ;   in Loop: Header=BB12_542 Depth=2
	s_delay_alu instid0(VALU_DEP_2) | instskip(SKIP_1) | instid1(VALU_DEP_1)
	v_cmp_lt_u64_e32 vcc_lo, 0xffffff, v[2:3]
	v_add_nc_u32_e32 v5, 7, v22
	v_cndmask_b32_e32 v5, v21, v5, vcc_lo
	v_cndmask_b32_e64 v21, 0, 1, vcc_lo
	s_delay_alu instid0(VALU_DEP_1)
	v_lshrrev_b64 v[2:3], v21, v[2:3]
; %bb.639:                              ;   in Loop: Header=BB12_542 Depth=2
	s_and_not1_saveexec_b32 s3, s3
; %bb.640:                              ;   in Loop: Header=BB12_542 Depth=2
	s_delay_alu instid0(VALU_DEP_1)
	v_bfe_u32 v5, v2, 23, 1
; %bb.641:                              ;   in Loop: Header=BB12_542 Depth=2
	s_or_b32 exec_lo, exec_lo, s3
	s_delay_alu instid0(VALU_DEP_2) | instskip(NEXT) | instid1(VALU_DEP_2)
	v_lshrrev_b64 v[2:3], 20, v[2:3]
	v_cmp_gt_i32_e32 vcc_lo, 16, v5
	v_cmp_ne_u32_e64 s3, 0, v5
	s_delay_alu instid0(VALU_DEP_3) | instskip(NEXT) | instid1(VALU_DEP_1)
	v_dual_cndmask_b32 v22, 0, v3 :: v_dual_cndmask_b32 v21, 7, v2
                                        ; implicit-def: $vgpr2_vgpr3
	v_cmp_ne_u64_e32 vcc_lo, 0, v[21:22]
	s_delay_alu instid0(VALU_DEP_3) | instskip(NEXT) | instid1(SALU_CYCLE_1)
	s_or_b32 s3, s3, vcc_lo
	s_and_saveexec_b32 s56, s3
	s_delay_alu instid0(SALU_CYCLE_1)
	s_xor_b32 s3, exec_lo, s56
; %bb.642:                              ;   in Loop: Header=BB12_542 Depth=2
	v_min_i32_e32 v2, 15, v5
	s_delay_alu instid0(VALU_DEP_1) | instskip(NEXT) | instid1(VALU_DEP_1)
	v_lshl_or_b32 v2, v2, 3, v8
                                        ; implicit-def: $vgpr8
	v_and_or_b32 v2, v21, 7, v2
; %bb.643:                              ;   in Loop: Header=BB12_542 Depth=2
	s_and_not1_saveexec_b32 s3, s3
; %bb.644:                              ;   in Loop: Header=BB12_542 Depth=2
	v_dual_mov_b32 v2, v8 :: v_dual_mov_b32 v3, v9
; %bb.645:                              ;   in Loop: Header=BB12_542 Depth=2
	s_or_b32 exec_lo, exec_lo, s3
.LBB12_646:                             ;   in Loop: Header=BB12_542 Depth=2
	s_delay_alu instid0(SALU_CYCLE_1)
	s_or_b32 exec_lo, exec_lo, s55
.LBB12_647:                             ;   in Loop: Header=BB12_542 Depth=2
	s_and_not1_saveexec_b32 s3, s54
	s_delay_alu instid0(SALU_CYCLE_1)
	s_or_b32 exec_lo, exec_lo, s3
                                        ; implicit-def: $vgpr3
.LBB12_648:                             ;   in Loop: Header=BB12_542 Depth=2
	s_and_not1_saveexec_b32 s3, s53
; %bb.649:                              ;   in Loop: Header=BB12_542 Depth=2
	v_cmp_eq_u64_e32 vcc_lo, 0, v[5:6]
	v_or_b32_e32 v3, 0x7f, v3
	s_delay_alu instid0(VALU_DEP_1)
	v_cndmask_b32_e32 v2, v3, v2, vcc_lo
; %bb.650:                              ;   in Loop: Header=BB12_542 Depth=2
	s_or_b32 exec_lo, exec_lo, s3
	v_dual_mov_b32 v24, v6 :: v_dual_lshlrev_b32 v3, 16, v4
	s_mov_b32 s3, exec_lo
	s_delay_alu instid0(VALU_DEP_1) | instskip(NEXT) | instid1(VALU_DEP_1)
	v_div_scale_f32 v5, null, v46, v46, v3
	v_rcp_f32_e32 v8, v5
	s_waitcnt_depctr 0xfff
	v_fma_f32 v21, -v5, v8, 1.0
	s_delay_alu instid0(VALU_DEP_1) | instskip(SKIP_1) | instid1(VALU_DEP_1)
	v_fmac_f32_e32 v8, v21, v8
	v_div_scale_f32 v21, vcc_lo, v3, v46, v3
	v_mul_f32_e32 v22, v21, v8
	s_delay_alu instid0(VALU_DEP_1) | instskip(NEXT) | instid1(VALU_DEP_1)
	v_fma_f32 v23, -v5, v22, v21
	v_fmac_f32_e32 v22, v23, v8
	s_delay_alu instid0(VALU_DEP_1) | instskip(NEXT) | instid1(VALU_DEP_1)
	v_fma_f32 v5, -v5, v22, v21
	v_div_fmas_f32 v5, v5, v8, v22
	s_delay_alu instid0(VALU_DEP_1) | instskip(NEXT) | instid1(VALU_DEP_1)
	v_div_fixup_f32 v8, v5, v46, v3
	v_lshrrev_b32_e32 v22, 24, v8
	v_and_b32_e32 v23, 0x7f800000, v8
	v_and_b32_e32 v5, 0x7fffff, v8
	s_delay_alu instid0(VALU_DEP_3) | instskip(NEXT) | instid1(VALU_DEP_1)
	v_and_b32_e32 v3, 0x80, v22
	v_or_b32_e32 v21, 0x7e, v3
	s_delay_alu instid0(VALU_DEP_4)
	v_cmpx_ne_u64_e32 0x7f800000, v[23:24]
	s_xor_b32 s53, exec_lo, s3
	s_cbranch_execz .LBB12_666
; %bb.651:                              ;   in Loop: Header=BB12_542 Depth=2
	v_dual_mov_b32 v23, v6 :: v_dual_and_b32 v22, 0x7fffffff, v8
	s_mov_b32 s3, exec_lo
	s_delay_alu instid0(VALU_DEP_1)
	v_cmpx_gt_u64_e32 0x43e00001, v[22:23]
	s_xor_b32 s54, exec_lo, s3
	s_cbranch_execz .LBB12_665
; %bb.652:                              ;   in Loop: Header=BB12_542 Depth=2
	s_mov_b32 s55, exec_lo
	v_mov_b32_e32 v21, 0
	v_mov_b32_e32 v22, 0
	v_cmpx_ne_u32_e32 0, v8
	s_cbranch_execz .LBB12_664
; %bb.653:                              ;   in Loop: Header=BB12_542 Depth=2
	v_bfe_u32 v8, v8, 23, 8
	v_or_b32_e32 v23, 0x800000, v5
	s_delay_alu instid0(VALU_DEP_2) | instskip(SKIP_1) | instid1(VALU_DEP_2)
	v_sub_nc_u32_e32 v21, 0x79, v8
	v_cmp_gt_u32_e32 vcc_lo, 0x7a, v8
	v_cndmask_b32_e32 v21, 0, v21, vcc_lo
	v_cmp_eq_u32_e32 vcc_lo, 0, v8
	s_delay_alu instid0(VALU_DEP_2) | instskip(SKIP_1) | instid1(VALU_DEP_2)
	v_cndmask_b32_e64 v26, v21, 0x78, vcc_lo
	v_cndmask_b32_e32 v5, v23, v5, vcc_lo
	v_add_nc_u32_e32 v21, 20, v26
	v_add_nc_u32_e32 v23, 19, v26
	s_delay_alu instid0(VALU_DEP_2) | instskip(NEXT) | instid1(VALU_DEP_2)
	v_lshlrev_b64 v[21:22], v21, -1
	v_lshlrev_b64 v[23:24], v23, 1
	s_delay_alu instid0(VALU_DEP_2) | instskip(NEXT) | instid1(VALU_DEP_3)
	v_not_b32_e32 v22, v22
	v_not_b32_e32 v21, v21
	s_delay_alu instid0(VALU_DEP_2) | instskip(NEXT) | instid1(VALU_DEP_2)
	v_and_b32_e32 v28, 0, v22
	v_and_b32_e32 v27, v5, v21
	v_lshrrev_b64 v[21:22], v26, v[5:6]
	s_delay_alu instid0(VALU_DEP_2) | instskip(NEXT) | instid1(VALU_DEP_2)
	v_cmp_eq_u64_e64 s3, v[27:28], v[23:24]
	v_dual_mov_b32 v24, v22 :: v_dual_mov_b32 v23, v21
	s_delay_alu instid0(VALU_DEP_2)
	s_and_saveexec_b32 s56, s3
; %bb.654:                              ;   in Loop: Header=BB12_542 Depth=2
	v_bfe_u32 v5, v21, 20, 1
	s_delay_alu instid0(VALU_DEP_1) | instskip(NEXT) | instid1(VALU_DEP_1)
	v_add_co_u32 v5, s3, v21, v5
	v_add_co_u32 v23, s3, v5, -1
; %bb.655:                              ;   in Loop: Header=BB12_542 Depth=2
	s_or_b32 exec_lo, exec_lo, s56
	v_add_nc_u32_e32 v5, 0xffffff81, v8
	v_lshrrev_b32_e32 v8, 23, v21
	s_mov_b32 s3, exec_lo
	s_delay_alu instid0(VALU_DEP_2) | instskip(NEXT) | instid1(VALU_DEP_1)
	v_cndmask_b32_e64 v5, v5, 0xffffff82, vcc_lo
	v_add3_u32 v8, v26, v5, v8
	v_and_b32_e32 v5, 0xfffff, v23
	s_delay_alu instid0(VALU_DEP_2) | instskip(NEXT) | instid1(VALU_DEP_2)
	v_add_nc_u32_e32 v23, 6, v8
	v_add_co_u32 v21, vcc_lo, v5, v21
	v_add_co_ci_u32_e32 v22, vcc_lo, 0, v22, vcc_lo
                                        ; implicit-def: $vgpr5
	s_delay_alu instid0(VALU_DEP_3)
	v_cmpx_ne_u32_e32 0, v23
	s_xor_b32 s3, exec_lo, s3
; %bb.656:                              ;   in Loop: Header=BB12_542 Depth=2
	s_delay_alu instid0(VALU_DEP_2) | instskip(SKIP_2) | instid1(VALU_DEP_2)
	v_cmp_lt_u64_e32 vcc_lo, 0xffffff, v[21:22]
	v_add_nc_u32_e32 v5, 7, v8
	v_cndmask_b32_e64 v8, 0, 1, vcc_lo
	v_cndmask_b32_e32 v5, v23, v5, vcc_lo
	s_delay_alu instid0(VALU_DEP_2)
	v_lshrrev_b64 v[21:22], v8, v[21:22]
; %bb.657:                              ;   in Loop: Header=BB12_542 Depth=2
	s_and_not1_saveexec_b32 s3, s3
; %bb.658:                              ;   in Loop: Header=BB12_542 Depth=2
	s_delay_alu instid0(VALU_DEP_1)
	v_bfe_u32 v5, v21, 23, 1
; %bb.659:                              ;   in Loop: Header=BB12_542 Depth=2
	s_or_b32 exec_lo, exec_lo, s3
	s_delay_alu instid0(VALU_DEP_2) | instskip(NEXT) | instid1(VALU_DEP_2)
	v_lshrrev_b64 v[21:22], 20, v[21:22]
	v_cmp_gt_i32_e32 vcc_lo, 16, v5
	v_cmp_ne_u32_e64 s3, 0, v5
	s_delay_alu instid0(VALU_DEP_3) | instskip(NEXT) | instid1(VALU_DEP_1)
	v_dual_cndmask_b32 v24, 0, v22 :: v_dual_cndmask_b32 v23, 7, v21
                                        ; implicit-def: $vgpr21_vgpr22
	v_cmp_ne_u64_e32 vcc_lo, 0, v[23:24]
	s_delay_alu instid0(VALU_DEP_3) | instskip(NEXT) | instid1(SALU_CYCLE_1)
	s_or_b32 s3, s3, vcc_lo
	s_and_saveexec_b32 s56, s3
	s_delay_alu instid0(SALU_CYCLE_1)
	s_xor_b32 s3, exec_lo, s56
; %bb.660:                              ;   in Loop: Header=BB12_542 Depth=2
	v_min_i32_e32 v5, 15, v5
	s_delay_alu instid0(VALU_DEP_1) | instskip(NEXT) | instid1(VALU_DEP_1)
	v_lshl_or_b32 v3, v5, 3, v3
	v_and_or_b32 v21, v23, 7, v3
                                        ; implicit-def: $vgpr3
; %bb.661:                              ;   in Loop: Header=BB12_542 Depth=2
	s_and_not1_saveexec_b32 s3, s3
; %bb.662:                              ;   in Loop: Header=BB12_542 Depth=2
	v_dual_mov_b32 v22, v4 :: v_dual_mov_b32 v21, v3
; %bb.663:                              ;   in Loop: Header=BB12_542 Depth=2
	s_or_b32 exec_lo, exec_lo, s3
.LBB12_664:                             ;   in Loop: Header=BB12_542 Depth=2
	s_delay_alu instid0(SALU_CYCLE_1)
	s_or_b32 exec_lo, exec_lo, s55
.LBB12_665:                             ;   in Loop: Header=BB12_542 Depth=2
	s_and_not1_saveexec_b32 s3, s54
	s_delay_alu instid0(SALU_CYCLE_1)
	s_or_b32 exec_lo, exec_lo, s3
                                        ; implicit-def: $vgpr22
.LBB12_666:                             ;   in Loop: Header=BB12_542 Depth=2
	s_and_not1_saveexec_b32 s3, s53
; %bb.667:                              ;   in Loop: Header=BB12_542 Depth=2
	v_cmp_eq_u64_e32 vcc_lo, 0, v[5:6]
	v_or_b32_e32 v3, 0x7f, v22
	s_delay_alu instid0(VALU_DEP_1)
	v_cndmask_b32_e32 v21, v3, v21, vcc_lo
; %bb.668:                              ;   in Loop: Header=BB12_542 Depth=2
	s_or_b32 exec_lo, exec_lo, s3
	v_and_b32_e32 v3, 0xffff0000, v4
	s_delay_alu instid0(VALU_DEP_1) | instskip(NEXT) | instid1(VALU_DEP_1)
	v_div_scale_f32 v4, null, v46, v46, v3
	v_rcp_f32_e32 v5, v4
	s_waitcnt_depctr 0xfff
	v_fma_f32 v8, -v4, v5, 1.0
	s_delay_alu instid0(VALU_DEP_1) | instskip(SKIP_1) | instid1(VALU_DEP_1)
	v_fmac_f32_e32 v5, v8, v5
	v_div_scale_f32 v8, vcc_lo, v3, v46, v3
	v_mul_f32_e32 v22, v8, v5
	s_delay_alu instid0(VALU_DEP_1) | instskip(NEXT) | instid1(VALU_DEP_1)
	v_fma_f32 v23, -v4, v22, v8
	v_dual_fmac_f32 v22, v23, v5 :: v_dual_mov_b32 v23, v6
	s_delay_alu instid0(VALU_DEP_1) | instskip(NEXT) | instid1(VALU_DEP_1)
	v_fma_f32 v4, -v4, v22, v8
	v_div_fmas_f32 v4, v4, v5, v22
	s_delay_alu instid0(VALU_DEP_1) | instskip(NEXT) | instid1(VALU_DEP_1)
	v_div_fixup_f32 v4, v4, v46, v3
	v_lshrrev_b32_e32 v8, 24, v4
	v_and_b32_e32 v22, 0x7f800000, v4
	v_and_b32_e32 v5, 0x7fffff, v4
	s_delay_alu instid0(VALU_DEP_3) | instskip(NEXT) | instid1(VALU_DEP_3)
	v_and_b32_e32 v3, 0x80, v8
	v_cmp_ne_u64_e32 vcc_lo, 0x7f800000, v[22:23]
	s_delay_alu instid0(VALU_DEP_2) | instskip(SKIP_1) | instid1(SALU_CYCLE_1)
	v_or_b32_e32 v22, 0x7e, v3
	s_and_saveexec_b32 s3, vcc_lo
	s_xor_b32 s53, exec_lo, s3
	s_cbranch_execz .LBB12_684
; %bb.669:                              ;   in Loop: Header=BB12_542 Depth=2
	v_dual_mov_b32 v24, v6 :: v_dual_and_b32 v23, 0x7fffffff, v4
	s_mov_b32 s3, exec_lo
	s_delay_alu instid0(VALU_DEP_1)
	v_cmpx_gt_u64_e32 0x43e00001, v[23:24]
	s_xor_b32 s54, exec_lo, s3
	s_cbranch_execz .LBB12_683
; %bb.670:                              ;   in Loop: Header=BB12_542 Depth=2
	s_mov_b32 s55, exec_lo
	v_mov_b32_e32 v22, 0
	v_mov_b32_e32 v23, 0
	v_cmpx_ne_u32_e32 0, v4
	s_cbranch_execz .LBB12_682
; %bb.671:                              ;   in Loop: Header=BB12_542 Depth=2
	v_bfe_u32 v8, v4, 23, 8
	v_or_b32_e32 v26, 0x800000, v5
	s_delay_alu instid0(VALU_DEP_2) | instskip(SKIP_1) | instid1(VALU_DEP_2)
	v_sub_nc_u32_e32 v4, 0x79, v8
	v_cmp_gt_u32_e32 vcc_lo, 0x7a, v8
	v_cndmask_b32_e32 v4, 0, v4, vcc_lo
	v_cmp_eq_u32_e32 vcc_lo, 0, v8
	v_cndmask_b32_e32 v5, v26, v5, vcc_lo
	s_delay_alu instid0(VALU_DEP_3) | instskip(NEXT) | instid1(VALU_DEP_1)
	v_cndmask_b32_e64 v24, v4, 0x78, vcc_lo
	v_add_nc_u32_e32 v4, 20, v24
	s_delay_alu instid0(VALU_DEP_1) | instskip(SKIP_1) | instid1(VALU_DEP_2)
	v_lshlrev_b64 v[22:23], v4, -1
	v_add_nc_u32_e32 v4, 19, v24
	v_not_b32_e32 v26, v23
	s_delay_alu instid0(VALU_DEP_3) | instskip(NEXT) | instid1(VALU_DEP_3)
	v_not_b32_e32 v28, v22
	v_lshlrev_b64 v[22:23], v4, 1
	s_delay_alu instid0(VALU_DEP_3) | instskip(NEXT) | instid1(VALU_DEP_3)
	v_and_b32_e32 v27, 0, v26
	v_and_b32_e32 v26, v5, v28
	v_lshrrev_b64 v[4:5], v24, v[5:6]
	s_delay_alu instid0(VALU_DEP_2) | instskip(NEXT) | instid1(VALU_DEP_2)
	v_cmp_eq_u64_e64 s3, v[26:27], v[22:23]
	v_dual_mov_b32 v23, v5 :: v_dual_mov_b32 v22, v4
	s_delay_alu instid0(VALU_DEP_2)
	s_and_saveexec_b32 s56, s3
; %bb.672:                              ;   in Loop: Header=BB12_542 Depth=2
	v_bfe_u32 v22, v4, 20, 1
	s_delay_alu instid0(VALU_DEP_1) | instskip(NEXT) | instid1(VALU_DEP_1)
	v_add_co_u32 v22, s3, v4, v22
	v_add_co_u32 v22, s3, v22, -1
; %bb.673:                              ;   in Loop: Header=BB12_542 Depth=2
	s_or_b32 exec_lo, exec_lo, s56
	v_add_nc_u32_e32 v8, 0xffffff81, v8
	v_lshrrev_b32_e32 v23, 23, v4
	s_mov_b32 s3, exec_lo
	s_delay_alu instid0(VALU_DEP_2) | instskip(NEXT) | instid1(VALU_DEP_1)
	v_cndmask_b32_e64 v8, v8, 0xffffff82, vcc_lo
	v_add3_u32 v23, v24, v8, v23
	v_and_b32_e32 v8, 0xfffff, v22
	s_delay_alu instid0(VALU_DEP_2) | instskip(NEXT) | instid1(VALU_DEP_2)
	v_add_nc_u32_e32 v22, 6, v23
	v_add_co_u32 v4, vcc_lo, v8, v4
	v_add_co_ci_u32_e32 v5, vcc_lo, 0, v5, vcc_lo
                                        ; implicit-def: $vgpr8
	s_delay_alu instid0(VALU_DEP_3)
	v_cmpx_ne_u32_e32 0, v22
	s_xor_b32 s3, exec_lo, s3
; %bb.674:                              ;   in Loop: Header=BB12_542 Depth=2
	s_delay_alu instid0(VALU_DEP_2) | instskip(SKIP_1) | instid1(VALU_DEP_1)
	v_cmp_lt_u64_e32 vcc_lo, 0xffffff, v[4:5]
	v_add_nc_u32_e32 v8, 7, v23
	v_cndmask_b32_e32 v8, v22, v8, vcc_lo
	v_cndmask_b32_e64 v22, 0, 1, vcc_lo
	s_delay_alu instid0(VALU_DEP_1)
	v_lshrrev_b64 v[4:5], v22, v[4:5]
; %bb.675:                              ;   in Loop: Header=BB12_542 Depth=2
	s_and_not1_saveexec_b32 s3, s3
; %bb.676:                              ;   in Loop: Header=BB12_542 Depth=2
	s_delay_alu instid0(VALU_DEP_1)
	v_bfe_u32 v8, v4, 23, 1
; %bb.677:                              ;   in Loop: Header=BB12_542 Depth=2
	s_or_b32 exec_lo, exec_lo, s3
	s_delay_alu instid0(VALU_DEP_2) | instskip(NEXT) | instid1(VALU_DEP_2)
	v_lshrrev_b64 v[4:5], 20, v[4:5]
	v_cmp_gt_i32_e32 vcc_lo, 16, v8
	v_cmp_ne_u32_e64 s3, 0, v8
                                        ; implicit-def: $vgpr22_vgpr23
	s_delay_alu instid0(VALU_DEP_3) | instskip(NEXT) | instid1(VALU_DEP_1)
	v_dual_cndmask_b32 v5, 0, v5 :: v_dual_cndmask_b32 v4, 7, v4
	v_cmp_ne_u64_e32 vcc_lo, 0, v[4:5]
	s_delay_alu instid0(VALU_DEP_3) | instskip(NEXT) | instid1(SALU_CYCLE_1)
	s_or_b32 s3, s3, vcc_lo
	s_and_saveexec_b32 s56, s3
	s_delay_alu instid0(SALU_CYCLE_1)
	s_xor_b32 s3, exec_lo, s56
; %bb.678:                              ;   in Loop: Header=BB12_542 Depth=2
	v_min_i32_e32 v5, 15, v8
	s_delay_alu instid0(VALU_DEP_1) | instskip(NEXT) | instid1(VALU_DEP_1)
	v_lshl_or_b32 v3, v5, 3, v3
	v_and_or_b32 v22, v4, 7, v3
                                        ; implicit-def: $vgpr3
; %bb.679:                              ;   in Loop: Header=BB12_542 Depth=2
	s_and_not1_saveexec_b32 s3, s3
; %bb.680:                              ;   in Loop: Header=BB12_542 Depth=2
	v_dual_mov_b32 v23, v4 :: v_dual_mov_b32 v22, v3
; %bb.681:                              ;   in Loop: Header=BB12_542 Depth=2
	s_or_b32 exec_lo, exec_lo, s3
.LBB12_682:                             ;   in Loop: Header=BB12_542 Depth=2
	s_delay_alu instid0(SALU_CYCLE_1)
	s_or_b32 exec_lo, exec_lo, s55
.LBB12_683:                             ;   in Loop: Header=BB12_542 Depth=2
	s_and_not1_saveexec_b32 s3, s54
	s_delay_alu instid0(SALU_CYCLE_1)
	s_or_b32 exec_lo, exec_lo, s3
                                        ; implicit-def: $vgpr8
.LBB12_684:                             ;   in Loop: Header=BB12_542 Depth=2
	s_and_not1_saveexec_b32 s3, s53
	s_cbranch_execz .LBB12_541
; %bb.685:                              ;   in Loop: Header=BB12_542 Depth=2
	v_cmp_eq_u64_e32 vcc_lo, 0, v[5:6]
	v_or_b32_e32 v3, 0x7f, v8
	s_delay_alu instid0(VALU_DEP_1)
	v_cndmask_b32_e32 v22, v3, v22, vcc_lo
	s_branch .LBB12_541
.LBB12_686:
	s_or_b32 exec_lo, exec_lo, s7
	s_mov_b32 s2, 0
.LBB12_687:
	s_delay_alu instid0(SALU_CYCLE_1)
	s_and_not1_b32 vcc_lo, exec_lo, s2
	s_cbranch_vccnz .LBB12_1378
; %bb.688:
	s_load_b32 s2, s[0:1], 0x84
	s_load_b32 s40, s[24:25], 0x0
	;; [unrolled: 1-line block ×3, first 2 shown]
	s_and_b32 s0, s5, 15
	s_mov_b32 s1, 0
	s_mul_i32 s39, s13, s12
	s_waitcnt lgkmcnt(0)
	s_and_b32 s27, s2, 0xffff
	s_cmp_lg_u64 s[0:1], 0
	s_cselect_b32 s0, -1, 0
	s_and_b32 s1, s39, 7
	s_delay_alu instid0(SALU_CYCLE_1) | instskip(SKIP_3) | instid1(SALU_CYCLE_1)
	s_cmp_eq_u32 s1, 0
	s_cselect_b32 s41, -1, 0
	s_cmp_lg_u32 s1, 0
	s_cselect_b32 s1, -1, 0
	s_or_b32 s0, s0, s1
	s_delay_alu instid0(SALU_CYCLE_1)
	s_and_b32 vcc_lo, exec_lo, s0
	s_mov_b32 s0, -1
	s_cbranch_vccz .LBB12_885
; %bb.689:
	s_sub_i32 s0, 0, s5
	s_mov_b32 s1, exec_lo
	s_bfe_u32 s0, s0, 0x30001
	s_delay_alu instid0(SALU_CYCLE_1) | instskip(NEXT) | instid1(SALU_CYCLE_1)
	s_min_i32 s24, s0, s39
	v_cmpx_gt_i32_e64 s24, v0
	s_cbranch_execz .LBB12_711
; %bb.690:
	v_dual_mov_b32 v2, 0 :: v_dual_lshlrev_b32 v3, 1, v0
	s_add_u32 s0, s16, s28
	s_addc_u32 s2, s17, s29
	s_lshl_b32 s3, s27, 1
	s_delay_alu instid0(VALU_DEP_1) | instskip(SKIP_1) | instid1(VALU_DEP_1)
	v_mov_b32_e32 v1, v2
	v_add_co_u32 v3, s0, s0, v3
	v_add_co_ci_u32_e64 v4, null, s2, 0, s0
	s_delay_alu instid0(VALU_DEP_3)
	v_dual_mov_b32 v6, v1 :: v_dual_mov_b32 v5, v0
	s_mov_b32 s2, 0
	s_branch .LBB12_692
.LBB12_691:                             ;   in Loop: Header=BB12_692 Depth=1
	s_or_b32 exec_lo, exec_lo, s0
	v_add_co_u32 v9, vcc_lo, s4, v5
	v_add_co_ci_u32_e32 v10, vcc_lo, s6, v6, vcc_lo
	v_add_co_u32 v5, vcc_lo, v5, s27
	v_add_co_ci_u32_e32 v6, vcc_lo, 0, v6, vcc_lo
	v_add_co_u32 v3, s0, v3, s3
	s_delay_alu instid0(VALU_DEP_3) | instskip(SKIP_3) | instid1(SALU_CYCLE_1)
	v_cmp_le_i32_e32 vcc_lo, s24, v5
	v_add_co_ci_u32_e64 v4, s0, 0, v4, s0
	global_store_b8 v[9:10], v8, off
	s_or_b32 s2, vcc_lo, s2
	s_and_not1_b32 exec_lo, exec_lo, s2
	s_cbranch_execz .LBB12_711
.LBB12_692:                             ; =>This Inner Loop Header: Depth=1
	global_load_u16 v1, v[3:4], off
	s_mov_b32 s0, exec_lo
	v_mov_b32_e32 v13, v2
	s_waitcnt vmcnt(0)
	v_lshlrev_b32_e32 v1, 16, v1
	s_delay_alu instid0(VALU_DEP_1) | instskip(NEXT) | instid1(VALU_DEP_1)
	v_div_scale_f32 v7, null, s40, s40, v1
	v_rcp_f32_e32 v8, v7
	s_waitcnt_depctr 0xfff
	v_fma_f32 v9, -v7, v8, 1.0
	s_delay_alu instid0(VALU_DEP_1) | instskip(SKIP_1) | instid1(VALU_DEP_1)
	v_fmac_f32_e32 v8, v9, v8
	v_div_scale_f32 v9, vcc_lo, v1, s40, v1
	v_mul_f32_e32 v10, v9, v8
	s_delay_alu instid0(VALU_DEP_1) | instskip(NEXT) | instid1(VALU_DEP_1)
	v_fma_f32 v11, -v7, v10, v9
	v_fmac_f32_e32 v10, v11, v8
	s_delay_alu instid0(VALU_DEP_1) | instskip(NEXT) | instid1(VALU_DEP_1)
	v_fma_f32 v7, -v7, v10, v9
	v_div_fmas_f32 v7, v7, v8, v10
	s_delay_alu instid0(VALU_DEP_1) | instskip(NEXT) | instid1(VALU_DEP_1)
	v_div_fixup_f32 v7, v7, s40, v1
	v_lshrrev_b32_e32 v9, 24, v7
	v_and_b32_e32 v12, 0x7f800000, v7
	v_and_b32_e32 v1, 0x7fffff, v7
	s_delay_alu instid0(VALU_DEP_3) | instskip(NEXT) | instid1(VALU_DEP_1)
	v_and_b32_e32 v11, 0x80, v9
	v_or_b32_e32 v8, 0x7e, v11
	s_delay_alu instid0(VALU_DEP_4)
	v_cmpx_ne_u64_e32 0x7f800000, v[12:13]
	s_xor_b32 s7, exec_lo, s0
	s_cbranch_execz .LBB12_708
; %bb.693:                              ;   in Loop: Header=BB12_692 Depth=1
	v_dual_mov_b32 v10, v2 :: v_dual_and_b32 v9, 0x7fffffff, v7
	s_mov_b32 s0, exec_lo
	s_delay_alu instid0(VALU_DEP_1)
	v_cmpx_gt_u64_e32 0x43e00001, v[9:10]
	s_xor_b32 s8, exec_lo, s0
	s_cbranch_execz .LBB12_707
; %bb.694:                              ;   in Loop: Header=BB12_692 Depth=1
	v_mov_b32_e32 v8, 0
	s_mov_b32 s9, exec_lo
	v_cmpx_ne_u32_e32 0, v7
	s_cbranch_execz .LBB12_706
; %bb.695:                              ;   in Loop: Header=BB12_692 Depth=1
	v_bfe_u32 v12, v7, 23, 8
	v_or_b32_e32 v9, 0x800000, v1
	s_delay_alu instid0(VALU_DEP_2) | instskip(SKIP_1) | instid1(VALU_DEP_2)
	v_sub_nc_u32_e32 v7, 0x79, v12
	v_cmp_gt_u32_e32 vcc_lo, 0x7a, v12
	v_cndmask_b32_e32 v7, 0, v7, vcc_lo
	v_cmp_eq_u32_e32 vcc_lo, 0, v12
	s_delay_alu instid0(VALU_DEP_2) | instskip(SKIP_1) | instid1(VALU_DEP_2)
	v_cndmask_b32_e64 v13, v7, 0x78, vcc_lo
	v_cndmask_b32_e32 v1, v9, v1, vcc_lo
	v_add_nc_u32_e32 v7, 20, v13
	v_add_nc_u32_e32 v9, 19, v13
	s_delay_alu instid0(VALU_DEP_2) | instskip(NEXT) | instid1(VALU_DEP_2)
	v_lshlrev_b64 v[7:8], v7, -1
	v_lshlrev_b64 v[9:10], v9, 1
	s_delay_alu instid0(VALU_DEP_2) | instskip(NEXT) | instid1(VALU_DEP_3)
	v_not_b32_e32 v8, v8
	v_not_b32_e32 v7, v7
	s_delay_alu instid0(VALU_DEP_2) | instskip(NEXT) | instid1(VALU_DEP_2)
	v_and_b32_e32 v15, 0, v8
	v_and_b32_e32 v14, v1, v7
	v_lshrrev_b64 v[7:8], v13, v[1:2]
	s_delay_alu instid0(VALU_DEP_2) | instskip(NEXT) | instid1(VALU_DEP_2)
	v_cmp_eq_u64_e64 s0, v[14:15], v[9:10]
	v_dual_mov_b32 v10, v8 :: v_dual_mov_b32 v9, v7
	s_delay_alu instid0(VALU_DEP_2)
	s_and_saveexec_b32 s11, s0
; %bb.696:                              ;   in Loop: Header=BB12_692 Depth=1
	v_bfe_u32 v1, v7, 20, 1
	s_delay_alu instid0(VALU_DEP_1) | instskip(NEXT) | instid1(VALU_DEP_1)
	v_add_co_u32 v1, s0, v7, v1
	v_add_co_u32 v9, s0, v1, -1
; %bb.697:                              ;   in Loop: Header=BB12_692 Depth=1
	s_or_b32 exec_lo, exec_lo, s11
	v_add_nc_u32_e32 v1, 0xffffff81, v12
	v_lshrrev_b32_e32 v10, 23, v7
	s_mov_b32 s0, exec_lo
	s_delay_alu instid0(VALU_DEP_2) | instskip(NEXT) | instid1(VALU_DEP_1)
	v_cndmask_b32_e64 v1, v1, 0xffffff82, vcc_lo
	v_add3_u32 v10, v13, v1, v10
	v_and_b32_e32 v1, 0xfffff, v9
	s_delay_alu instid0(VALU_DEP_2) | instskip(NEXT) | instid1(VALU_DEP_2)
	v_add_nc_u32_e32 v9, 6, v10
	v_add_co_u32 v7, vcc_lo, v1, v7
	v_add_co_ci_u32_e32 v8, vcc_lo, 0, v8, vcc_lo
                                        ; implicit-def: $vgpr1
	s_delay_alu instid0(VALU_DEP_3)
	v_cmpx_ne_u32_e32 0, v9
	s_xor_b32 s0, exec_lo, s0
; %bb.698:                              ;   in Loop: Header=BB12_692 Depth=1
	s_delay_alu instid0(VALU_DEP_2) | instskip(SKIP_1) | instid1(VALU_DEP_1)
	v_cmp_lt_u64_e32 vcc_lo, 0xffffff, v[7:8]
	v_add_nc_u32_e32 v1, 7, v10
	v_cndmask_b32_e32 v1, v9, v1, vcc_lo
	v_cndmask_b32_e64 v9, 0, 1, vcc_lo
	s_delay_alu instid0(VALU_DEP_1)
	v_lshrrev_b64 v[7:8], v9, v[7:8]
; %bb.699:                              ;   in Loop: Header=BB12_692 Depth=1
	s_and_not1_saveexec_b32 s0, s0
; %bb.700:                              ;   in Loop: Header=BB12_692 Depth=1
	s_delay_alu instid0(VALU_DEP_1)
	v_bfe_u32 v1, v7, 23, 1
; %bb.701:                              ;   in Loop: Header=BB12_692 Depth=1
	s_or_b32 exec_lo, exec_lo, s0
	s_delay_alu instid0(VALU_DEP_2) | instskip(NEXT) | instid1(VALU_DEP_2)
	v_lshrrev_b64 v[7:8], 20, v[7:8]
	v_cmp_gt_i32_e32 vcc_lo, 16, v1
	v_cmp_ne_u32_e64 s0, 0, v1
	s_delay_alu instid0(VALU_DEP_3) | instskip(NEXT) | instid1(VALU_DEP_1)
	v_dual_cndmask_b32 v8, 0, v8 :: v_dual_cndmask_b32 v7, 7, v7
	v_cmp_ne_u64_e32 vcc_lo, 0, v[7:8]
                                        ; implicit-def: $vgpr8
	s_delay_alu instid0(VALU_DEP_3) | instskip(NEXT) | instid1(SALU_CYCLE_1)
	s_or_b32 s0, s0, vcc_lo
	s_and_saveexec_b32 s11, s0
	s_delay_alu instid0(SALU_CYCLE_1)
	s_xor_b32 s0, exec_lo, s11
; %bb.702:                              ;   in Loop: Header=BB12_692 Depth=1
	v_min_i32_e32 v1, 15, v1
	s_delay_alu instid0(VALU_DEP_1) | instskip(NEXT) | instid1(VALU_DEP_1)
	v_lshl_or_b32 v1, v1, 3, v11
                                        ; implicit-def: $vgpr11
	v_and_or_b32 v8, v7, 7, v1
; %bb.703:                              ;   in Loop: Header=BB12_692 Depth=1
	s_and_not1_saveexec_b32 s0, s0
; %bb.704:                              ;   in Loop: Header=BB12_692 Depth=1
	v_mov_b32_e32 v8, v11
; %bb.705:                              ;   in Loop: Header=BB12_692 Depth=1
	s_or_b32 exec_lo, exec_lo, s0
.LBB12_706:                             ;   in Loop: Header=BB12_692 Depth=1
	s_delay_alu instid0(SALU_CYCLE_1)
	s_or_b32 exec_lo, exec_lo, s9
.LBB12_707:                             ;   in Loop: Header=BB12_692 Depth=1
	s_and_not1_saveexec_b32 s0, s8
	s_delay_alu instid0(SALU_CYCLE_1)
	s_or_b32 exec_lo, exec_lo, s0
                                        ; implicit-def: $vgpr9
.LBB12_708:                             ;   in Loop: Header=BB12_692 Depth=1
	s_and_not1_saveexec_b32 s0, s7
	s_cbranch_execz .LBB12_691
; %bb.709:                              ;   in Loop: Header=BB12_692 Depth=1
	v_cmp_eq_u64_e32 vcc_lo, 0, v[1:2]
	v_or_b32_e32 v7, 0x7f, v9
	s_delay_alu instid0(VALU_DEP_1)
	v_cndmask_b32_e32 v8, v7, v8, vcc_lo
	s_branch .LBB12_691
.LBB12_710:
                                        ; implicit-def: $sgpr30_sgpr31
	s_branch .LBB12_3
.LBB12_711:
	s_or_b32 exec_lo, exec_lo, s1
	s_sub_i32 s42, s39, s24
	s_ashr_i32 s25, s24, 31
	s_ashr_i32 s0, s42, 31
	s_mov_b32 s2, exec_lo
	s_lshr_b32 s0, s0, 29
	s_delay_alu instid0(SALU_CYCLE_1) | instskip(NEXT) | instid1(SALU_CYCLE_1)
	s_add_i32 s0, s42, s0
	s_ashr_i32 s1, s0, 3
	s_delay_alu instid0(SALU_CYCLE_1)
	v_cmpx_gt_i32_e64 s1, v0
	s_cbranch_execz .LBB12_858
; %bb.712:
	s_add_u32 s0, s24, s30
	s_addc_u32 s3, s25, s31
	v_dual_mov_b32 v10, 0 :: v_dual_lshlrev_b32 v1, 3, v0
	s_add_u32 s0, s0, s34
	s_addc_u32 s3, s3, s33
	s_add_u32 s0, s20, s0
	s_addc_u32 s3, s21, s3
	v_add_co_u32 v5, s0, s0, v1
	s_lshl_b64 s[8:9], s[24:25], 1
	v_add_co_ci_u32_e64 v6, null, s3, 0, s0
	s_lshl_b32 s3, s27, 3
	v_dual_mov_b32 v20, v0 :: v_dual_lshlrev_b32 v1, 4, v0
	s_add_u32 s0, s16, s8
	s_addc_u32 s7, s17, s9
	s_add_u32 s0, s0, s28
	s_addc_u32 s7, s7, s29
	v_add_co_u32 v7, s0, s0, v1
	s_delay_alu instid0(VALU_DEP_1)
	v_add_co_ci_u32_e64 v8, null, s7, 0, s0
	s_mov_b32 s7, 0
	s_lshl_b32 s8, s27, 4
	s_branch .LBB12_714
.LBB12_713:                             ;   in Loop: Header=BB12_714 Depth=1
	s_or_b32 exec_lo, exec_lo, s0
	v_lshlrev_b32_e32 v3, 16, v15
	v_lshlrev_b32_e32 v4, 16, v13
	;; [unrolled: 1-line block ×5, first 2 shown]
	v_and_b32_e32 v3, 0xff0000, v3
	v_perm_b32 v1, v1, v4, 0x4020c0c
	v_and_b32_e32 v4, 0xff, v14
	v_and_b32_e32 v11, 0xff, v11
	;; [unrolled: 1-line block ×3, first 2 shown]
	v_or_b32_e32 v3, v9, v3
	v_and_or_b32 v1, 0xff00, v12, v1
	v_add_nc_u32_e32 v20, s27, v20
	s_delay_alu instid0(VALU_DEP_3) | instskip(NEXT) | instid1(VALU_DEP_3)
	v_or3_b32 v2, v3, v2, v4
	v_or_b32_e32 v1, v1, v11
	s_delay_alu instid0(VALU_DEP_3) | instskip(SKIP_2) | instid1(VALU_DEP_1)
	v_cmp_le_i32_e32 vcc_lo, s1, v20
	global_store_b64 v[5:6], v[1:2], off
	v_add_co_u32 v5, s0, v5, s3
	v_add_co_ci_u32_e64 v6, s0, 0, v6, s0
	v_add_co_u32 v7, s0, v7, s8
	s_delay_alu instid0(VALU_DEP_1) | instskip(SKIP_1) | instid1(SALU_CYCLE_1)
	v_add_co_ci_u32_e64 v8, s0, 0, v8, s0
	s_or_b32 s7, vcc_lo, s7
	s_and_not1_b32 exec_lo, exec_lo, s7
	s_cbranch_execz .LBB12_858
.LBB12_714:                             ; =>This Inner Loop Header: Depth=1
	global_load_b128 v[1:4], v[7:8], off
	s_mov_b32 s0, exec_lo
	s_waitcnt vmcnt(0)
	v_dual_mov_b32 v16, v10 :: v_dual_lshlrev_b32 v9, 16, v1
	s_delay_alu instid0(VALU_DEP_1) | instskip(NEXT) | instid1(VALU_DEP_1)
	v_div_scale_f32 v11, null, s40, s40, v9
	v_rcp_f32_e32 v12, v11
	s_waitcnt_depctr 0xfff
	v_fma_f32 v13, -v11, v12, 1.0
	s_delay_alu instid0(VALU_DEP_1) | instskip(SKIP_1) | instid1(VALU_DEP_1)
	v_fmac_f32_e32 v12, v13, v12
	v_div_scale_f32 v13, vcc_lo, v9, s40, v9
	v_mul_f32_e32 v14, v13, v12
	s_delay_alu instid0(VALU_DEP_1) | instskip(NEXT) | instid1(VALU_DEP_1)
	v_fma_f32 v15, -v11, v14, v13
	v_fmac_f32_e32 v14, v15, v12
	s_delay_alu instid0(VALU_DEP_1) | instskip(NEXT) | instid1(VALU_DEP_1)
	v_fma_f32 v11, -v11, v14, v13
	v_div_fmas_f32 v11, v11, v12, v14
	s_delay_alu instid0(VALU_DEP_1) | instskip(NEXT) | instid1(VALU_DEP_1)
	v_div_fixup_f32 v14, v11, s40, v9
	v_lshrrev_b32_e32 v12, 24, v14
	v_and_b32_e32 v15, 0x7f800000, v14
	v_and_b32_e32 v9, 0x7fffff, v14
	s_delay_alu instid0(VALU_DEP_3) | instskip(NEXT) | instid1(VALU_DEP_1)
	v_and_b32_e32 v13, 0x80, v12
	v_or_b32_e32 v11, 0x7e, v13
	s_delay_alu instid0(VALU_DEP_4)
	v_cmpx_ne_u64_e32 0x7f800000, v[15:16]
	s_xor_b32 s9, exec_lo, s0
	s_cbranch_execz .LBB12_730
; %bb.715:                              ;   in Loop: Header=BB12_714 Depth=1
	v_dual_mov_b32 v16, v10 :: v_dual_and_b32 v15, 0x7fffffff, v14
	s_mov_b32 s0, exec_lo
	s_delay_alu instid0(VALU_DEP_1)
	v_cmpx_gt_u64_e32 0x43e00001, v[15:16]
	s_xor_b32 s11, exec_lo, s0
	s_cbranch_execz .LBB12_729
; %bb.716:                              ;   in Loop: Header=BB12_714 Depth=1
	s_mov_b32 s12, exec_lo
	v_mov_b32_e32 v11, 0
	v_mov_b32_e32 v12, 0
	v_cmpx_ne_u32_e32 0, v14
	s_cbranch_execz .LBB12_728
; %bb.717:                              ;   in Loop: Header=BB12_714 Depth=1
	v_bfe_u32 v16, v14, 23, 8
	v_or_b32_e32 v14, 0x800000, v9
	s_delay_alu instid0(VALU_DEP_2) | instskip(SKIP_1) | instid1(VALU_DEP_2)
	v_sub_nc_u32_e32 v11, 0x79, v16
	v_cmp_gt_u32_e32 vcc_lo, 0x7a, v16
	v_cndmask_b32_e32 v11, 0, v11, vcc_lo
	v_cmp_eq_u32_e32 vcc_lo, 0, v16
	s_delay_alu instid0(VALU_DEP_2) | instskip(SKIP_1) | instid1(VALU_DEP_2)
	v_cndmask_b32_e64 v17, v11, 0x78, vcc_lo
	v_cndmask_b32_e32 v9, v14, v9, vcc_lo
	v_add_nc_u32_e32 v11, 20, v17
	v_add_nc_u32_e32 v14, 19, v17
	s_delay_alu instid0(VALU_DEP_2) | instskip(NEXT) | instid1(VALU_DEP_2)
	v_lshlrev_b64 v[11:12], v11, -1
	v_lshlrev_b64 v[14:15], v14, 1
	s_delay_alu instid0(VALU_DEP_2) | instskip(NEXT) | instid1(VALU_DEP_3)
	v_not_b32_e32 v12, v12
	v_not_b32_e32 v11, v11
	s_delay_alu instid0(VALU_DEP_2) | instskip(NEXT) | instid1(VALU_DEP_2)
	v_and_b32_e32 v19, 0, v12
	v_and_b32_e32 v18, v9, v11
	v_lshrrev_b64 v[11:12], v17, v[9:10]
	s_delay_alu instid0(VALU_DEP_2) | instskip(NEXT) | instid1(VALU_DEP_2)
	v_cmp_eq_u64_e64 s0, v[18:19], v[14:15]
	v_dual_mov_b32 v15, v12 :: v_dual_mov_b32 v14, v11
	s_delay_alu instid0(VALU_DEP_2)
	s_and_saveexec_b32 s13, s0
; %bb.718:                              ;   in Loop: Header=BB12_714 Depth=1
	v_bfe_u32 v9, v11, 20, 1
	s_delay_alu instid0(VALU_DEP_1) | instskip(NEXT) | instid1(VALU_DEP_1)
	v_add_co_u32 v9, s0, v11, v9
	v_add_co_u32 v14, s0, v9, -1
; %bb.719:                              ;   in Loop: Header=BB12_714 Depth=1
	s_or_b32 exec_lo, exec_lo, s13
	v_add_nc_u32_e32 v9, 0xffffff81, v16
	v_lshrrev_b32_e32 v15, 23, v11
	s_mov_b32 s0, exec_lo
	s_delay_alu instid0(VALU_DEP_2) | instskip(NEXT) | instid1(VALU_DEP_1)
	v_cndmask_b32_e64 v9, v9, 0xffffff82, vcc_lo
	v_add3_u32 v15, v17, v9, v15
	v_and_b32_e32 v9, 0xfffff, v14
	s_delay_alu instid0(VALU_DEP_2) | instskip(NEXT) | instid1(VALU_DEP_2)
	v_add_nc_u32_e32 v14, 6, v15
	v_add_co_u32 v11, vcc_lo, v9, v11
	v_add_co_ci_u32_e32 v12, vcc_lo, 0, v12, vcc_lo
                                        ; implicit-def: $vgpr9
	s_delay_alu instid0(VALU_DEP_3)
	v_cmpx_ne_u32_e32 0, v14
	s_xor_b32 s0, exec_lo, s0
; %bb.720:                              ;   in Loop: Header=BB12_714 Depth=1
	s_delay_alu instid0(VALU_DEP_2) | instskip(SKIP_1) | instid1(VALU_DEP_1)
	v_cmp_lt_u64_e32 vcc_lo, 0xffffff, v[11:12]
	v_add_nc_u32_e32 v9, 7, v15
	v_cndmask_b32_e32 v9, v14, v9, vcc_lo
	v_cndmask_b32_e64 v14, 0, 1, vcc_lo
	s_delay_alu instid0(VALU_DEP_1)
	v_lshrrev_b64 v[11:12], v14, v[11:12]
; %bb.721:                              ;   in Loop: Header=BB12_714 Depth=1
	s_and_not1_saveexec_b32 s0, s0
; %bb.722:                              ;   in Loop: Header=BB12_714 Depth=1
	s_delay_alu instid0(VALU_DEP_1)
	v_bfe_u32 v9, v11, 23, 1
; %bb.723:                              ;   in Loop: Header=BB12_714 Depth=1
	s_or_b32 exec_lo, exec_lo, s0
	s_delay_alu instid0(VALU_DEP_2) | instskip(NEXT) | instid1(VALU_DEP_2)
	v_lshrrev_b64 v[11:12], 20, v[11:12]
	v_cmp_gt_i32_e32 vcc_lo, 16, v9
	v_cmp_ne_u32_e64 s0, 0, v9
	s_delay_alu instid0(VALU_DEP_3) | instskip(NEXT) | instid1(VALU_DEP_1)
	v_dual_cndmask_b32 v15, 0, v12 :: v_dual_cndmask_b32 v14, 7, v11
                                        ; implicit-def: $vgpr11_vgpr12
	v_cmp_ne_u64_e32 vcc_lo, 0, v[14:15]
	s_delay_alu instid0(VALU_DEP_3) | instskip(NEXT) | instid1(SALU_CYCLE_1)
	s_or_b32 s0, s0, vcc_lo
	s_and_saveexec_b32 s13, s0
	s_delay_alu instid0(SALU_CYCLE_1)
	s_xor_b32 s0, exec_lo, s13
; %bb.724:                              ;   in Loop: Header=BB12_714 Depth=1
	v_min_i32_e32 v9, 15, v9
	s_delay_alu instid0(VALU_DEP_1) | instskip(NEXT) | instid1(VALU_DEP_1)
	v_lshl_or_b32 v9, v9, 3, v13
                                        ; implicit-def: $vgpr13
	v_and_or_b32 v11, v14, 7, v9
; %bb.725:                              ;   in Loop: Header=BB12_714 Depth=1
	s_and_not1_saveexec_b32 s0, s0
; %bb.726:                              ;   in Loop: Header=BB12_714 Depth=1
	v_dual_mov_b32 v11, v13 :: v_dual_mov_b32 v12, v14
; %bb.727:                              ;   in Loop: Header=BB12_714 Depth=1
	s_or_b32 exec_lo, exec_lo, s0
.LBB12_728:                             ;   in Loop: Header=BB12_714 Depth=1
	s_delay_alu instid0(SALU_CYCLE_1)
	s_or_b32 exec_lo, exec_lo, s12
.LBB12_729:                             ;   in Loop: Header=BB12_714 Depth=1
	s_and_not1_saveexec_b32 s0, s11
	s_delay_alu instid0(SALU_CYCLE_1)
	s_or_b32 exec_lo, exec_lo, s0
                                        ; implicit-def: $vgpr12
.LBB12_730:                             ;   in Loop: Header=BB12_714 Depth=1
	s_and_not1_saveexec_b32 s0, s9
; %bb.731:                              ;   in Loop: Header=BB12_714 Depth=1
	v_cmp_eq_u64_e32 vcc_lo, 0, v[9:10]
	v_or_b32_e32 v12, 0x7f, v12
	s_delay_alu instid0(VALU_DEP_1)
	v_cndmask_b32_e32 v11, v12, v11, vcc_lo
; %bb.732:                              ;   in Loop: Header=BB12_714 Depth=1
	s_or_b32 exec_lo, exec_lo, s0
	v_and_b32_e32 v1, 0xffff0000, v1
	s_mov_b32 s0, exec_lo
	v_mov_b32_e32 v16, v10
	s_delay_alu instid0(VALU_DEP_2) | instskip(NEXT) | instid1(VALU_DEP_1)
	v_div_scale_f32 v9, null, s40, s40, v1
	v_rcp_f32_e32 v12, v9
	s_waitcnt_depctr 0xfff
	v_fma_f32 v13, -v9, v12, 1.0
	s_delay_alu instid0(VALU_DEP_1) | instskip(SKIP_1) | instid1(VALU_DEP_1)
	v_fmac_f32_e32 v12, v13, v12
	v_div_scale_f32 v13, vcc_lo, v1, s40, v1
	v_mul_f32_e32 v14, v13, v12
	s_delay_alu instid0(VALU_DEP_1) | instskip(NEXT) | instid1(VALU_DEP_1)
	v_fma_f32 v15, -v9, v14, v13
	v_fmac_f32_e32 v14, v15, v12
	s_delay_alu instid0(VALU_DEP_1) | instskip(NEXT) | instid1(VALU_DEP_1)
	v_fma_f32 v9, -v9, v14, v13
	v_div_fmas_f32 v9, v9, v12, v14
	s_delay_alu instid0(VALU_DEP_1) | instskip(NEXT) | instid1(VALU_DEP_1)
	v_div_fixup_f32 v14, v9, s40, v1
	v_lshrrev_b32_e32 v13, 24, v14
	v_and_b32_e32 v15, 0x7f800000, v14
	v_and_b32_e32 v9, 0x7fffff, v14
	s_delay_alu instid0(VALU_DEP_3) | instskip(NEXT) | instid1(VALU_DEP_1)
	v_and_b32_e32 v1, 0x80, v13
	v_or_b32_e32 v12, 0x7e, v1
	s_delay_alu instid0(VALU_DEP_4)
	v_cmpx_ne_u64_e32 0x7f800000, v[15:16]
	s_xor_b32 s9, exec_lo, s0
	s_cbranch_execz .LBB12_748
; %bb.733:                              ;   in Loop: Header=BB12_714 Depth=1
	v_dual_mov_b32 v16, v10 :: v_dual_and_b32 v15, 0x7fffffff, v14
	s_mov_b32 s0, exec_lo
	s_delay_alu instid0(VALU_DEP_1)
	v_cmpx_gt_u64_e32 0x43e00001, v[15:16]
	s_xor_b32 s11, exec_lo, s0
	s_cbranch_execz .LBB12_747
; %bb.734:                              ;   in Loop: Header=BB12_714 Depth=1
	s_mov_b32 s12, exec_lo
	v_mov_b32_e32 v12, 0
	v_mov_b32_e32 v13, 0
	v_cmpx_ne_u32_e32 0, v14
	s_cbranch_execz .LBB12_746
; %bb.735:                              ;   in Loop: Header=BB12_714 Depth=1
	v_bfe_u32 v16, v14, 23, 8
	v_or_b32_e32 v14, 0x800000, v9
	s_delay_alu instid0(VALU_DEP_2) | instskip(SKIP_1) | instid1(VALU_DEP_2)
	v_sub_nc_u32_e32 v12, 0x79, v16
	v_cmp_gt_u32_e32 vcc_lo, 0x7a, v16
	v_cndmask_b32_e32 v12, 0, v12, vcc_lo
	v_cmp_eq_u32_e32 vcc_lo, 0, v16
	v_cndmask_b32_e32 v9, v14, v9, vcc_lo
	s_delay_alu instid0(VALU_DEP_3) | instskip(NEXT) | instid1(VALU_DEP_1)
	v_cndmask_b32_e64 v17, v12, 0x78, vcc_lo
	v_add_nc_u32_e32 v12, 20, v17
	v_add_nc_u32_e32 v14, 19, v17
	s_delay_alu instid0(VALU_DEP_2) | instskip(NEXT) | instid1(VALU_DEP_2)
	v_lshlrev_b64 v[12:13], v12, -1
	v_lshlrev_b64 v[14:15], v14, 1
	s_delay_alu instid0(VALU_DEP_2) | instskip(NEXT) | instid1(VALU_DEP_3)
	v_not_b32_e32 v13, v13
	v_not_b32_e32 v12, v12
	s_delay_alu instid0(VALU_DEP_2) | instskip(NEXT) | instid1(VALU_DEP_2)
	v_and_b32_e32 v19, 0, v13
	v_and_b32_e32 v18, v9, v12
	v_lshrrev_b64 v[12:13], v17, v[9:10]
	s_delay_alu instid0(VALU_DEP_2) | instskip(NEXT) | instid1(VALU_DEP_2)
	v_cmp_eq_u64_e64 s0, v[18:19], v[14:15]
	v_dual_mov_b32 v15, v13 :: v_dual_mov_b32 v14, v12
	s_delay_alu instid0(VALU_DEP_2)
	s_and_saveexec_b32 s13, s0
; %bb.736:                              ;   in Loop: Header=BB12_714 Depth=1
	v_bfe_u32 v9, v12, 20, 1
	s_delay_alu instid0(VALU_DEP_1) | instskip(NEXT) | instid1(VALU_DEP_1)
	v_add_co_u32 v9, s0, v12, v9
	v_add_co_u32 v14, s0, v9, -1
; %bb.737:                              ;   in Loop: Header=BB12_714 Depth=1
	s_or_b32 exec_lo, exec_lo, s13
	v_add_nc_u32_e32 v9, 0xffffff81, v16
	v_lshrrev_b32_e32 v15, 23, v12
	s_mov_b32 s0, exec_lo
	s_delay_alu instid0(VALU_DEP_2) | instskip(NEXT) | instid1(VALU_DEP_1)
	v_cndmask_b32_e64 v9, v9, 0xffffff82, vcc_lo
	v_add3_u32 v15, v17, v9, v15
	v_and_b32_e32 v9, 0xfffff, v14
	s_delay_alu instid0(VALU_DEP_2) | instskip(NEXT) | instid1(VALU_DEP_2)
	v_add_nc_u32_e32 v14, 6, v15
	v_add_co_u32 v12, vcc_lo, v9, v12
	v_add_co_ci_u32_e32 v13, vcc_lo, 0, v13, vcc_lo
                                        ; implicit-def: $vgpr9
	s_delay_alu instid0(VALU_DEP_3)
	v_cmpx_ne_u32_e32 0, v14
	s_xor_b32 s0, exec_lo, s0
; %bb.738:                              ;   in Loop: Header=BB12_714 Depth=1
	s_delay_alu instid0(VALU_DEP_2) | instskip(SKIP_1) | instid1(VALU_DEP_1)
	v_cmp_lt_u64_e32 vcc_lo, 0xffffff, v[12:13]
	v_add_nc_u32_e32 v9, 7, v15
	v_cndmask_b32_e32 v9, v14, v9, vcc_lo
	v_cndmask_b32_e64 v14, 0, 1, vcc_lo
	s_delay_alu instid0(VALU_DEP_1)
	v_lshrrev_b64 v[12:13], v14, v[12:13]
; %bb.739:                              ;   in Loop: Header=BB12_714 Depth=1
	s_and_not1_saveexec_b32 s0, s0
; %bb.740:                              ;   in Loop: Header=BB12_714 Depth=1
	s_delay_alu instid0(VALU_DEP_1)
	v_bfe_u32 v9, v12, 23, 1
; %bb.741:                              ;   in Loop: Header=BB12_714 Depth=1
	s_or_b32 exec_lo, exec_lo, s0
	s_delay_alu instid0(VALU_DEP_2) | instskip(NEXT) | instid1(VALU_DEP_2)
	v_lshrrev_b64 v[12:13], 20, v[12:13]
	v_cmp_gt_i32_e32 vcc_lo, 16, v9
	v_cmp_ne_u32_e64 s0, 0, v9
	s_delay_alu instid0(VALU_DEP_3) | instskip(NEXT) | instid1(VALU_DEP_1)
	v_dual_cndmask_b32 v15, 0, v13 :: v_dual_cndmask_b32 v14, 7, v12
                                        ; implicit-def: $vgpr12_vgpr13
	v_cmp_ne_u64_e32 vcc_lo, 0, v[14:15]
	s_delay_alu instid0(VALU_DEP_3) | instskip(NEXT) | instid1(SALU_CYCLE_1)
	s_or_b32 s0, s0, vcc_lo
	s_and_saveexec_b32 s13, s0
	s_delay_alu instid0(SALU_CYCLE_1)
	s_xor_b32 s0, exec_lo, s13
; %bb.742:                              ;   in Loop: Header=BB12_714 Depth=1
	v_min_i32_e32 v9, 15, v9
	s_delay_alu instid0(VALU_DEP_1) | instskip(NEXT) | instid1(VALU_DEP_1)
	v_lshl_or_b32 v1, v9, 3, v1
	v_and_or_b32 v12, v14, 7, v1
                                        ; implicit-def: $vgpr1
; %bb.743:                              ;   in Loop: Header=BB12_714 Depth=1
	s_and_not1_saveexec_b32 s0, s0
; %bb.744:                              ;   in Loop: Header=BB12_714 Depth=1
	v_dual_mov_b32 v13, v2 :: v_dual_mov_b32 v12, v1
; %bb.745:                              ;   in Loop: Header=BB12_714 Depth=1
	s_or_b32 exec_lo, exec_lo, s0
.LBB12_746:                             ;   in Loop: Header=BB12_714 Depth=1
	s_delay_alu instid0(SALU_CYCLE_1)
	s_or_b32 exec_lo, exec_lo, s12
.LBB12_747:                             ;   in Loop: Header=BB12_714 Depth=1
	s_and_not1_saveexec_b32 s0, s11
	s_delay_alu instid0(SALU_CYCLE_1)
	s_or_b32 exec_lo, exec_lo, s0
                                        ; implicit-def: $vgpr13
.LBB12_748:                             ;   in Loop: Header=BB12_714 Depth=1
	s_and_not1_saveexec_b32 s0, s9
; %bb.749:                              ;   in Loop: Header=BB12_714 Depth=1
	v_cmp_eq_u64_e32 vcc_lo, 0, v[9:10]
	v_or_b32_e32 v1, 0x7f, v13
	s_delay_alu instid0(VALU_DEP_1)
	v_cndmask_b32_e32 v12, v1, v12, vcc_lo
; %bb.750:                              ;   in Loop: Header=BB12_714 Depth=1
	s_or_b32 exec_lo, exec_lo, s0
	v_lshlrev_b32_e32 v1, 16, v2
	v_mov_b32_e32 v17, v10
	s_mov_b32 s0, exec_lo
	s_delay_alu instid0(VALU_DEP_2) | instskip(NEXT) | instid1(VALU_DEP_1)
	v_div_scale_f32 v9, null, s40, s40, v1
	v_rcp_f32_e32 v13, v9
	s_waitcnt_depctr 0xfff
	v_fma_f32 v14, -v9, v13, 1.0
	s_delay_alu instid0(VALU_DEP_1) | instskip(SKIP_1) | instid1(VALU_DEP_1)
	v_fmac_f32_e32 v13, v14, v13
	v_div_scale_f32 v14, vcc_lo, v1, s40, v1
	v_mul_f32_e32 v15, v14, v13
	s_delay_alu instid0(VALU_DEP_1) | instskip(NEXT) | instid1(VALU_DEP_1)
	v_fma_f32 v16, -v9, v15, v14
	v_fmac_f32_e32 v15, v16, v13
	s_delay_alu instid0(VALU_DEP_1) | instskip(NEXT) | instid1(VALU_DEP_1)
	v_fma_f32 v9, -v9, v15, v14
	v_div_fmas_f32 v9, v9, v13, v15
	s_delay_alu instid0(VALU_DEP_1) | instskip(NEXT) | instid1(VALU_DEP_1)
	v_div_fixup_f32 v15, v9, s40, v1
	v_and_b32_e32 v16, 0x7f800000, v15
	v_lshrrev_b32_e32 v14, 24, v15
	v_and_b32_e32 v9, 0x7fffff, v15
	s_delay_alu instid0(VALU_DEP_2) | instskip(NEXT) | instid1(VALU_DEP_1)
	v_and_b32_e32 v1, 0x80, v14
	v_or_b32_e32 v13, 0x7e, v1
	v_cmpx_ne_u64_e32 0x7f800000, v[16:17]
	s_xor_b32 s9, exec_lo, s0
	s_cbranch_execz .LBB12_766
; %bb.751:                              ;   in Loop: Header=BB12_714 Depth=1
	v_dual_mov_b32 v17, v10 :: v_dual_and_b32 v16, 0x7fffffff, v15
	s_mov_b32 s0, exec_lo
	s_delay_alu instid0(VALU_DEP_1)
	v_cmpx_gt_u64_e32 0x43e00001, v[16:17]
	s_xor_b32 s11, exec_lo, s0
	s_cbranch_execz .LBB12_765
; %bb.752:                              ;   in Loop: Header=BB12_714 Depth=1
	s_mov_b32 s12, exec_lo
	v_mov_b32_e32 v13, 0
	v_mov_b32_e32 v14, 0
	v_cmpx_ne_u32_e32 0, v15
	s_cbranch_execz .LBB12_764
; %bb.753:                              ;   in Loop: Header=BB12_714 Depth=1
	v_bfe_u32 v17, v15, 23, 8
	v_or_b32_e32 v15, 0x800000, v9
	s_delay_alu instid0(VALU_DEP_2) | instskip(SKIP_1) | instid1(VALU_DEP_2)
	v_sub_nc_u32_e32 v13, 0x79, v17
	v_cmp_gt_u32_e32 vcc_lo, 0x7a, v17
	v_cndmask_b32_e32 v13, 0, v13, vcc_lo
	v_cmp_eq_u32_e32 vcc_lo, 0, v17
	s_delay_alu instid0(VALU_DEP_2) | instskip(SKIP_1) | instid1(VALU_DEP_2)
	v_cndmask_b32_e64 v18, v13, 0x78, vcc_lo
	v_cndmask_b32_e32 v9, v15, v9, vcc_lo
	v_add_nc_u32_e32 v13, 20, v18
	v_add_nc_u32_e32 v15, 19, v18
	s_delay_alu instid0(VALU_DEP_2) | instskip(NEXT) | instid1(VALU_DEP_2)
	v_lshlrev_b64 v[13:14], v13, -1
	v_lshlrev_b64 v[15:16], v15, 1
	s_delay_alu instid0(VALU_DEP_2) | instskip(NEXT) | instid1(VALU_DEP_3)
	v_not_b32_e32 v14, v14
	v_not_b32_e32 v13, v13
	s_delay_alu instid0(VALU_DEP_2) | instskip(NEXT) | instid1(VALU_DEP_2)
	v_and_b32_e32 v22, 0, v14
	v_and_b32_e32 v21, v9, v13
	v_lshrrev_b64 v[13:14], v18, v[9:10]
	s_delay_alu instid0(VALU_DEP_2) | instskip(NEXT) | instid1(VALU_DEP_2)
	v_cmp_eq_u64_e64 s0, v[21:22], v[15:16]
	v_dual_mov_b32 v16, v14 :: v_dual_mov_b32 v15, v13
	s_delay_alu instid0(VALU_DEP_2)
	s_and_saveexec_b32 s13, s0
; %bb.754:                              ;   in Loop: Header=BB12_714 Depth=1
	v_bfe_u32 v9, v13, 20, 1
	s_delay_alu instid0(VALU_DEP_1) | instskip(NEXT) | instid1(VALU_DEP_1)
	v_add_co_u32 v9, s0, v13, v9
	v_add_co_u32 v15, s0, v9, -1
; %bb.755:                              ;   in Loop: Header=BB12_714 Depth=1
	s_or_b32 exec_lo, exec_lo, s13
	v_add_nc_u32_e32 v9, 0xffffff81, v17
	v_lshrrev_b32_e32 v16, 23, v13
	s_mov_b32 s0, exec_lo
	s_delay_alu instid0(VALU_DEP_2) | instskip(NEXT) | instid1(VALU_DEP_1)
	v_cndmask_b32_e64 v9, v9, 0xffffff82, vcc_lo
	v_add3_u32 v16, v18, v9, v16
	v_and_b32_e32 v9, 0xfffff, v15
	s_delay_alu instid0(VALU_DEP_2) | instskip(NEXT) | instid1(VALU_DEP_2)
	v_add_nc_u32_e32 v15, 6, v16
	v_add_co_u32 v13, vcc_lo, v9, v13
	v_add_co_ci_u32_e32 v14, vcc_lo, 0, v14, vcc_lo
                                        ; implicit-def: $vgpr9
	s_delay_alu instid0(VALU_DEP_3)
	v_cmpx_ne_u32_e32 0, v15
	s_xor_b32 s0, exec_lo, s0
; %bb.756:                              ;   in Loop: Header=BB12_714 Depth=1
	s_delay_alu instid0(VALU_DEP_2) | instskip(SKIP_1) | instid1(VALU_DEP_1)
	v_cmp_lt_u64_e32 vcc_lo, 0xffffff, v[13:14]
	v_add_nc_u32_e32 v9, 7, v16
	v_cndmask_b32_e32 v9, v15, v9, vcc_lo
	v_cndmask_b32_e64 v15, 0, 1, vcc_lo
	s_delay_alu instid0(VALU_DEP_1)
	v_lshrrev_b64 v[13:14], v15, v[13:14]
; %bb.757:                              ;   in Loop: Header=BB12_714 Depth=1
	s_and_not1_saveexec_b32 s0, s0
; %bb.758:                              ;   in Loop: Header=BB12_714 Depth=1
	s_delay_alu instid0(VALU_DEP_1)
	v_bfe_u32 v9, v13, 23, 1
; %bb.759:                              ;   in Loop: Header=BB12_714 Depth=1
	s_or_b32 exec_lo, exec_lo, s0
	s_delay_alu instid0(VALU_DEP_2) | instskip(NEXT) | instid1(VALU_DEP_2)
	v_lshrrev_b64 v[13:14], 20, v[13:14]
	v_cmp_gt_i32_e32 vcc_lo, 16, v9
	v_cmp_ne_u32_e64 s0, 0, v9
	s_delay_alu instid0(VALU_DEP_3) | instskip(NEXT) | instid1(VALU_DEP_1)
	v_dual_cndmask_b32 v16, 0, v14 :: v_dual_cndmask_b32 v15, 7, v13
                                        ; implicit-def: $vgpr13_vgpr14
	v_cmp_ne_u64_e32 vcc_lo, 0, v[15:16]
	s_delay_alu instid0(VALU_DEP_3) | instskip(NEXT) | instid1(SALU_CYCLE_1)
	s_or_b32 s0, s0, vcc_lo
	s_and_saveexec_b32 s13, s0
	s_delay_alu instid0(SALU_CYCLE_1)
	s_xor_b32 s0, exec_lo, s13
; %bb.760:                              ;   in Loop: Header=BB12_714 Depth=1
	v_min_i32_e32 v9, 15, v9
	s_delay_alu instid0(VALU_DEP_1) | instskip(NEXT) | instid1(VALU_DEP_1)
	v_lshl_or_b32 v1, v9, 3, v1
	v_and_or_b32 v13, v15, 7, v1
                                        ; implicit-def: $vgpr1
; %bb.761:                              ;   in Loop: Header=BB12_714 Depth=1
	s_and_not1_saveexec_b32 s0, s0
; %bb.762:                              ;   in Loop: Header=BB12_714 Depth=1
	v_dual_mov_b32 v14, v2 :: v_dual_mov_b32 v13, v1
; %bb.763:                              ;   in Loop: Header=BB12_714 Depth=1
	s_or_b32 exec_lo, exec_lo, s0
.LBB12_764:                             ;   in Loop: Header=BB12_714 Depth=1
	s_delay_alu instid0(SALU_CYCLE_1)
	s_or_b32 exec_lo, exec_lo, s12
.LBB12_765:                             ;   in Loop: Header=BB12_714 Depth=1
	s_and_not1_saveexec_b32 s0, s11
	s_delay_alu instid0(SALU_CYCLE_1)
	s_or_b32 exec_lo, exec_lo, s0
                                        ; implicit-def: $vgpr14
.LBB12_766:                             ;   in Loop: Header=BB12_714 Depth=1
	s_and_not1_saveexec_b32 s0, s9
; %bb.767:                              ;   in Loop: Header=BB12_714 Depth=1
	v_cmp_eq_u64_e32 vcc_lo, 0, v[9:10]
	v_or_b32_e32 v1, 0x7f, v14
	s_delay_alu instid0(VALU_DEP_1)
	v_cndmask_b32_e32 v13, v1, v13, vcc_lo
; %bb.768:                              ;   in Loop: Header=BB12_714 Depth=1
	s_or_b32 exec_lo, exec_lo, s0
	v_and_b32_e32 v1, 0xffff0000, v2
	v_mov_b32_e32 v17, v10
	s_mov_b32 s0, exec_lo
	s_delay_alu instid0(VALU_DEP_2) | instskip(NEXT) | instid1(VALU_DEP_1)
	v_div_scale_f32 v2, null, s40, s40, v1
	v_rcp_f32_e32 v9, v2
	s_waitcnt_depctr 0xfff
	v_fma_f32 v14, -v2, v9, 1.0
	s_delay_alu instid0(VALU_DEP_1) | instskip(SKIP_1) | instid1(VALU_DEP_1)
	v_fmac_f32_e32 v9, v14, v9
	v_div_scale_f32 v14, vcc_lo, v1, s40, v1
	v_mul_f32_e32 v15, v14, v9
	s_delay_alu instid0(VALU_DEP_1) | instskip(NEXT) | instid1(VALU_DEP_1)
	v_fma_f32 v16, -v2, v15, v14
	v_fmac_f32_e32 v15, v16, v9
	s_delay_alu instid0(VALU_DEP_1) | instskip(NEXT) | instid1(VALU_DEP_1)
	v_fma_f32 v2, -v2, v15, v14
	v_div_fmas_f32 v2, v2, v9, v15
	s_delay_alu instid0(VALU_DEP_1) | instskip(NEXT) | instid1(VALU_DEP_1)
	v_div_fixup_f32 v15, v2, s40, v1
	v_lshrrev_b32_e32 v2, 24, v15
	v_and_b32_e32 v16, 0x7f800000, v15
	v_and_b32_e32 v9, 0x7fffff, v15
	s_delay_alu instid0(VALU_DEP_3) | instskip(NEXT) | instid1(VALU_DEP_1)
	v_and_b32_e32 v14, 0x80, v2
	v_or_b32_e32 v1, 0x7e, v14
	s_delay_alu instid0(VALU_DEP_4)
	v_cmpx_ne_u64_e32 0x7f800000, v[16:17]
	s_xor_b32 s9, exec_lo, s0
	s_cbranch_execz .LBB12_784
; %bb.769:                              ;   in Loop: Header=BB12_714 Depth=1
	v_dual_mov_b32 v17, v10 :: v_dual_and_b32 v16, 0x7fffffff, v15
	s_mov_b32 s0, exec_lo
	s_delay_alu instid0(VALU_DEP_1)
	v_cmpx_gt_u64_e32 0x43e00001, v[16:17]
	s_xor_b32 s11, exec_lo, s0
	s_cbranch_execz .LBB12_783
; %bb.770:                              ;   in Loop: Header=BB12_714 Depth=1
	s_mov_b32 s12, exec_lo
	v_mov_b32_e32 v1, 0
	v_mov_b32_e32 v2, 0
	v_cmpx_ne_u32_e32 0, v15
	s_cbranch_execz .LBB12_782
; %bb.771:                              ;   in Loop: Header=BB12_714 Depth=1
	v_bfe_u32 v17, v15, 23, 8
	v_or_b32_e32 v15, 0x800000, v9
	s_delay_alu instid0(VALU_DEP_2) | instskip(SKIP_1) | instid1(VALU_DEP_2)
	v_sub_nc_u32_e32 v1, 0x79, v17
	v_cmp_gt_u32_e32 vcc_lo, 0x7a, v17
	v_cndmask_b32_e32 v1, 0, v1, vcc_lo
	v_cmp_eq_u32_e32 vcc_lo, 0, v17
	s_delay_alu instid0(VALU_DEP_2) | instskip(SKIP_1) | instid1(VALU_DEP_2)
	v_cndmask_b32_e64 v18, v1, 0x78, vcc_lo
	v_cndmask_b32_e32 v9, v15, v9, vcc_lo
	v_add_nc_u32_e32 v1, 20, v18
	v_add_nc_u32_e32 v15, 19, v18
	s_delay_alu instid0(VALU_DEP_2) | instskip(NEXT) | instid1(VALU_DEP_2)
	v_lshlrev_b64 v[1:2], v1, -1
	v_lshlrev_b64 v[15:16], v15, 1
	s_delay_alu instid0(VALU_DEP_2) | instskip(NEXT) | instid1(VALU_DEP_3)
	v_not_b32_e32 v2, v2
	v_not_b32_e32 v1, v1
	s_delay_alu instid0(VALU_DEP_2) | instskip(NEXT) | instid1(VALU_DEP_2)
	v_and_b32_e32 v22, 0, v2
	v_and_b32_e32 v21, v9, v1
	v_lshrrev_b64 v[1:2], v18, v[9:10]
	s_delay_alu instid0(VALU_DEP_2) | instskip(NEXT) | instid1(VALU_DEP_2)
	v_cmp_eq_u64_e64 s0, v[21:22], v[15:16]
	v_dual_mov_b32 v16, v2 :: v_dual_mov_b32 v15, v1
	s_delay_alu instid0(VALU_DEP_2)
	s_and_saveexec_b32 s13, s0
; %bb.772:                              ;   in Loop: Header=BB12_714 Depth=1
	v_bfe_u32 v9, v1, 20, 1
	s_delay_alu instid0(VALU_DEP_1) | instskip(NEXT) | instid1(VALU_DEP_1)
	v_add_co_u32 v9, s0, v1, v9
	v_add_co_u32 v15, s0, v9, -1
; %bb.773:                              ;   in Loop: Header=BB12_714 Depth=1
	s_or_b32 exec_lo, exec_lo, s13
	v_add_nc_u32_e32 v9, 0xffffff81, v17
	v_lshrrev_b32_e32 v16, 23, v1
	s_mov_b32 s0, exec_lo
	s_delay_alu instid0(VALU_DEP_2) | instskip(NEXT) | instid1(VALU_DEP_1)
	v_cndmask_b32_e64 v9, v9, 0xffffff82, vcc_lo
	v_add3_u32 v16, v18, v9, v16
	v_and_b32_e32 v9, 0xfffff, v15
	s_delay_alu instid0(VALU_DEP_2) | instskip(NEXT) | instid1(VALU_DEP_2)
	v_add_nc_u32_e32 v15, 6, v16
	v_add_co_u32 v1, vcc_lo, v9, v1
	v_add_co_ci_u32_e32 v2, vcc_lo, 0, v2, vcc_lo
                                        ; implicit-def: $vgpr9
	s_delay_alu instid0(VALU_DEP_3)
	v_cmpx_ne_u32_e32 0, v15
	s_xor_b32 s0, exec_lo, s0
; %bb.774:                              ;   in Loop: Header=BB12_714 Depth=1
	s_delay_alu instid0(VALU_DEP_2) | instskip(SKIP_1) | instid1(VALU_DEP_1)
	v_cmp_lt_u64_e32 vcc_lo, 0xffffff, v[1:2]
	v_add_nc_u32_e32 v9, 7, v16
	v_cndmask_b32_e32 v9, v15, v9, vcc_lo
	v_cndmask_b32_e64 v15, 0, 1, vcc_lo
	s_delay_alu instid0(VALU_DEP_1)
	v_lshrrev_b64 v[1:2], v15, v[1:2]
; %bb.775:                              ;   in Loop: Header=BB12_714 Depth=1
	s_and_not1_saveexec_b32 s0, s0
; %bb.776:                              ;   in Loop: Header=BB12_714 Depth=1
	s_delay_alu instid0(VALU_DEP_1)
	v_bfe_u32 v9, v1, 23, 1
; %bb.777:                              ;   in Loop: Header=BB12_714 Depth=1
	s_or_b32 exec_lo, exec_lo, s0
	s_delay_alu instid0(VALU_DEP_2) | instskip(NEXT) | instid1(VALU_DEP_2)
	v_lshrrev_b64 v[1:2], 20, v[1:2]
	v_cmp_gt_i32_e32 vcc_lo, 16, v9
	v_cmp_ne_u32_e64 s0, 0, v9
	s_delay_alu instid0(VALU_DEP_3) | instskip(NEXT) | instid1(VALU_DEP_1)
	v_dual_cndmask_b32 v16, 0, v2 :: v_dual_cndmask_b32 v15, 7, v1
                                        ; implicit-def: $vgpr1_vgpr2
	v_cmp_ne_u64_e32 vcc_lo, 0, v[15:16]
	s_delay_alu instid0(VALU_DEP_3) | instskip(NEXT) | instid1(SALU_CYCLE_1)
	s_or_b32 s0, s0, vcc_lo
	s_and_saveexec_b32 s13, s0
	s_delay_alu instid0(SALU_CYCLE_1)
	s_xor_b32 s0, exec_lo, s13
; %bb.778:                              ;   in Loop: Header=BB12_714 Depth=1
	v_min_i32_e32 v1, 15, v9
	s_delay_alu instid0(VALU_DEP_1) | instskip(NEXT) | instid1(VALU_DEP_1)
	v_lshl_or_b32 v1, v1, 3, v14
                                        ; implicit-def: $vgpr14
	v_and_or_b32 v1, v15, 7, v1
; %bb.779:                              ;   in Loop: Header=BB12_714 Depth=1
	s_and_not1_saveexec_b32 s0, s0
; %bb.780:                              ;   in Loop: Header=BB12_714 Depth=1
	v_dual_mov_b32 v1, v14 :: v_dual_mov_b32 v2, v15
; %bb.781:                              ;   in Loop: Header=BB12_714 Depth=1
	s_or_b32 exec_lo, exec_lo, s0
.LBB12_782:                             ;   in Loop: Header=BB12_714 Depth=1
	s_delay_alu instid0(SALU_CYCLE_1)
	s_or_b32 exec_lo, exec_lo, s12
.LBB12_783:                             ;   in Loop: Header=BB12_714 Depth=1
	s_and_not1_saveexec_b32 s0, s11
	s_delay_alu instid0(SALU_CYCLE_1)
	s_or_b32 exec_lo, exec_lo, s0
                                        ; implicit-def: $vgpr2
.LBB12_784:                             ;   in Loop: Header=BB12_714 Depth=1
	s_and_not1_saveexec_b32 s0, s9
; %bb.785:                              ;   in Loop: Header=BB12_714 Depth=1
	v_cmp_eq_u64_e32 vcc_lo, 0, v[9:10]
	v_or_b32_e32 v2, 0x7f, v2
	s_delay_alu instid0(VALU_DEP_1)
	v_cndmask_b32_e32 v1, v2, v1, vcc_lo
; %bb.786:                              ;   in Loop: Header=BB12_714 Depth=1
	s_or_b32 exec_lo, exec_lo, s0
	v_lshlrev_b32_e32 v2, 16, v3
	s_mov_b32 s0, exec_lo
	s_delay_alu instid0(VALU_DEP_1) | instskip(NEXT) | instid1(VALU_DEP_1)
	v_div_scale_f32 v9, null, s40, s40, v2
	v_rcp_f32_e32 v14, v9
	s_waitcnt_depctr 0xfff
	v_fma_f32 v15, -v9, v14, 1.0
	s_delay_alu instid0(VALU_DEP_1) | instskip(SKIP_1) | instid1(VALU_DEP_1)
	v_fmac_f32_e32 v14, v15, v14
	v_div_scale_f32 v15, vcc_lo, v2, s40, v2
	v_mul_f32_e32 v16, v15, v14
	s_delay_alu instid0(VALU_DEP_1) | instskip(NEXT) | instid1(VALU_DEP_1)
	v_fma_f32 v17, -v9, v16, v15
	v_fmac_f32_e32 v16, v17, v14
	s_delay_alu instid0(VALU_DEP_1) | instskip(NEXT) | instid1(VALU_DEP_1)
	v_fma_f32 v9, -v9, v16, v15
	v_div_fmas_f32 v9, v9, v14, v16
	s_delay_alu instid0(VALU_DEP_1) | instskip(NEXT) | instid1(VALU_DEP_1)
	v_div_fixup_f32 v16, v9, s40, v2
	v_dual_mov_b32 v18, v10 :: v_dual_and_b32 v9, 0x7fffff, v16
	v_lshrrev_b32_e32 v15, 24, v16
	v_and_b32_e32 v17, 0x7f800000, v16
	s_delay_alu instid0(VALU_DEP_2) | instskip(NEXT) | instid1(VALU_DEP_1)
	v_and_b32_e32 v2, 0x80, v15
	v_or_b32_e32 v14, 0x7e, v2
	s_delay_alu instid0(VALU_DEP_3)
	v_cmpx_ne_u64_e32 0x7f800000, v[17:18]
	s_xor_b32 s9, exec_lo, s0
	s_cbranch_execz .LBB12_802
; %bb.787:                              ;   in Loop: Header=BB12_714 Depth=1
	v_dual_mov_b32 v18, v10 :: v_dual_and_b32 v17, 0x7fffffff, v16
	s_mov_b32 s0, exec_lo
	s_delay_alu instid0(VALU_DEP_1)
	v_cmpx_gt_u64_e32 0x43e00001, v[17:18]
	s_xor_b32 s11, exec_lo, s0
	s_cbranch_execz .LBB12_801
; %bb.788:                              ;   in Loop: Header=BB12_714 Depth=1
	s_mov_b32 s12, exec_lo
	v_mov_b32_e32 v14, 0
	v_mov_b32_e32 v15, 0
	v_cmpx_ne_u32_e32 0, v16
	s_cbranch_execz .LBB12_800
; %bb.789:                              ;   in Loop: Header=BB12_714 Depth=1
	v_bfe_u32 v18, v16, 23, 8
	v_or_b32_e32 v16, 0x800000, v9
	s_delay_alu instid0(VALU_DEP_2) | instskip(SKIP_1) | instid1(VALU_DEP_2)
	v_sub_nc_u32_e32 v14, 0x79, v18
	v_cmp_gt_u32_e32 vcc_lo, 0x7a, v18
	v_cndmask_b32_e32 v14, 0, v14, vcc_lo
	v_cmp_eq_u32_e32 vcc_lo, 0, v18
	v_cndmask_b32_e32 v9, v16, v9, vcc_lo
	s_delay_alu instid0(VALU_DEP_3) | instskip(NEXT) | instid1(VALU_DEP_1)
	v_cndmask_b32_e64 v19, v14, 0x78, vcc_lo
	v_add_nc_u32_e32 v14, 20, v19
	v_add_nc_u32_e32 v16, 19, v19
	s_delay_alu instid0(VALU_DEP_2) | instskip(NEXT) | instid1(VALU_DEP_2)
	v_lshlrev_b64 v[14:15], v14, -1
	v_lshlrev_b64 v[16:17], v16, 1
	s_delay_alu instid0(VALU_DEP_2) | instskip(NEXT) | instid1(VALU_DEP_3)
	v_not_b32_e32 v15, v15
	v_not_b32_e32 v14, v14
	s_delay_alu instid0(VALU_DEP_2) | instskip(NEXT) | instid1(VALU_DEP_2)
	v_and_b32_e32 v22, 0, v15
	v_and_b32_e32 v21, v9, v14
	v_lshrrev_b64 v[14:15], v19, v[9:10]
	s_delay_alu instid0(VALU_DEP_2) | instskip(NEXT) | instid1(VALU_DEP_2)
	v_cmp_eq_u64_e64 s0, v[21:22], v[16:17]
	v_dual_mov_b32 v17, v15 :: v_dual_mov_b32 v16, v14
	s_delay_alu instid0(VALU_DEP_2)
	s_and_saveexec_b32 s13, s0
; %bb.790:                              ;   in Loop: Header=BB12_714 Depth=1
	v_bfe_u32 v9, v14, 20, 1
	s_delay_alu instid0(VALU_DEP_1) | instskip(NEXT) | instid1(VALU_DEP_1)
	v_add_co_u32 v9, s0, v14, v9
	v_add_co_u32 v16, s0, v9, -1
; %bb.791:                              ;   in Loop: Header=BB12_714 Depth=1
	s_or_b32 exec_lo, exec_lo, s13
	v_add_nc_u32_e32 v9, 0xffffff81, v18
	v_lshrrev_b32_e32 v17, 23, v14
	s_mov_b32 s0, exec_lo
	s_delay_alu instid0(VALU_DEP_2) | instskip(NEXT) | instid1(VALU_DEP_1)
	v_cndmask_b32_e64 v9, v9, 0xffffff82, vcc_lo
	v_add3_u32 v17, v19, v9, v17
	v_and_b32_e32 v9, 0xfffff, v16
	s_delay_alu instid0(VALU_DEP_2) | instskip(NEXT) | instid1(VALU_DEP_2)
	v_add_nc_u32_e32 v16, 6, v17
	v_add_co_u32 v14, vcc_lo, v9, v14
	v_add_co_ci_u32_e32 v15, vcc_lo, 0, v15, vcc_lo
                                        ; implicit-def: $vgpr9
	s_delay_alu instid0(VALU_DEP_3)
	v_cmpx_ne_u32_e32 0, v16
	s_xor_b32 s0, exec_lo, s0
; %bb.792:                              ;   in Loop: Header=BB12_714 Depth=1
	s_delay_alu instid0(VALU_DEP_2) | instskip(SKIP_1) | instid1(VALU_DEP_1)
	v_cmp_lt_u64_e32 vcc_lo, 0xffffff, v[14:15]
	v_add_nc_u32_e32 v9, 7, v17
	v_cndmask_b32_e32 v9, v16, v9, vcc_lo
	v_cndmask_b32_e64 v16, 0, 1, vcc_lo
	s_delay_alu instid0(VALU_DEP_1)
	v_lshrrev_b64 v[14:15], v16, v[14:15]
; %bb.793:                              ;   in Loop: Header=BB12_714 Depth=1
	s_and_not1_saveexec_b32 s0, s0
; %bb.794:                              ;   in Loop: Header=BB12_714 Depth=1
	s_delay_alu instid0(VALU_DEP_1)
	v_bfe_u32 v9, v14, 23, 1
; %bb.795:                              ;   in Loop: Header=BB12_714 Depth=1
	s_or_b32 exec_lo, exec_lo, s0
	s_delay_alu instid0(VALU_DEP_2) | instskip(NEXT) | instid1(VALU_DEP_2)
	v_lshrrev_b64 v[14:15], 20, v[14:15]
	v_cmp_gt_i32_e32 vcc_lo, 16, v9
	v_cmp_ne_u32_e64 s0, 0, v9
	s_delay_alu instid0(VALU_DEP_3) | instskip(NEXT) | instid1(VALU_DEP_1)
	v_dual_cndmask_b32 v17, 0, v15 :: v_dual_cndmask_b32 v16, 7, v14
                                        ; implicit-def: $vgpr14_vgpr15
	v_cmp_ne_u64_e32 vcc_lo, 0, v[16:17]
	s_delay_alu instid0(VALU_DEP_3) | instskip(NEXT) | instid1(SALU_CYCLE_1)
	s_or_b32 s0, s0, vcc_lo
	s_and_saveexec_b32 s13, s0
	s_delay_alu instid0(SALU_CYCLE_1)
	s_xor_b32 s0, exec_lo, s13
; %bb.796:                              ;   in Loop: Header=BB12_714 Depth=1
	v_min_i32_e32 v9, 15, v9
	s_delay_alu instid0(VALU_DEP_1) | instskip(NEXT) | instid1(VALU_DEP_1)
	v_lshl_or_b32 v2, v9, 3, v2
	v_and_or_b32 v14, v16, 7, v2
                                        ; implicit-def: $vgpr2
; %bb.797:                              ;   in Loop: Header=BB12_714 Depth=1
	s_and_not1_saveexec_b32 s0, s0
; %bb.798:                              ;   in Loop: Header=BB12_714 Depth=1
	v_dual_mov_b32 v15, v3 :: v_dual_mov_b32 v14, v2
; %bb.799:                              ;   in Loop: Header=BB12_714 Depth=1
	s_or_b32 exec_lo, exec_lo, s0
.LBB12_800:                             ;   in Loop: Header=BB12_714 Depth=1
	s_delay_alu instid0(SALU_CYCLE_1)
	s_or_b32 exec_lo, exec_lo, s12
.LBB12_801:                             ;   in Loop: Header=BB12_714 Depth=1
	s_and_not1_saveexec_b32 s0, s11
	s_delay_alu instid0(SALU_CYCLE_1)
	s_or_b32 exec_lo, exec_lo, s0
                                        ; implicit-def: $vgpr15
.LBB12_802:                             ;   in Loop: Header=BB12_714 Depth=1
	s_and_not1_saveexec_b32 s0, s9
; %bb.803:                              ;   in Loop: Header=BB12_714 Depth=1
	v_cmp_eq_u64_e32 vcc_lo, 0, v[9:10]
	v_or_b32_e32 v2, 0x7f, v15
	s_delay_alu instid0(VALU_DEP_1)
	v_cndmask_b32_e32 v14, v2, v14, vcc_lo
; %bb.804:                              ;   in Loop: Header=BB12_714 Depth=1
	s_or_b32 exec_lo, exec_lo, s0
	v_and_b32_e32 v2, 0xffff0000, v3
	s_mov_b32 s0, exec_lo
	v_mov_b32_e32 v18, v10
	s_delay_alu instid0(VALU_DEP_2) | instskip(NEXT) | instid1(VALU_DEP_1)
	v_div_scale_f32 v3, null, s40, s40, v2
	v_rcp_f32_e32 v9, v3
	s_waitcnt_depctr 0xfff
	v_fma_f32 v15, -v3, v9, 1.0
	s_delay_alu instid0(VALU_DEP_1) | instskip(SKIP_1) | instid1(VALU_DEP_1)
	v_fmac_f32_e32 v9, v15, v9
	v_div_scale_f32 v15, vcc_lo, v2, s40, v2
	v_mul_f32_e32 v16, v15, v9
	s_delay_alu instid0(VALU_DEP_1) | instskip(NEXT) | instid1(VALU_DEP_1)
	v_fma_f32 v17, -v3, v16, v15
	v_fmac_f32_e32 v16, v17, v9
	s_delay_alu instid0(VALU_DEP_1) | instskip(NEXT) | instid1(VALU_DEP_1)
	v_fma_f32 v3, -v3, v16, v15
	v_div_fmas_f32 v3, v3, v9, v16
	s_delay_alu instid0(VALU_DEP_1) | instskip(NEXT) | instid1(VALU_DEP_1)
	v_div_fixup_f32 v16, v3, s40, v2
	v_lshrrev_b32_e32 v3, 24, v16
	v_and_b32_e32 v17, 0x7f800000, v16
	v_and_b32_e32 v9, 0x7fffff, v16
	s_delay_alu instid0(VALU_DEP_3) | instskip(NEXT) | instid1(VALU_DEP_1)
	v_and_b32_e32 v15, 0x80, v3
	v_or_b32_e32 v2, 0x7e, v15
	s_delay_alu instid0(VALU_DEP_4)
	v_cmpx_ne_u64_e32 0x7f800000, v[17:18]
	s_xor_b32 s9, exec_lo, s0
	s_cbranch_execz .LBB12_820
; %bb.805:                              ;   in Loop: Header=BB12_714 Depth=1
	v_dual_mov_b32 v18, v10 :: v_dual_and_b32 v17, 0x7fffffff, v16
	s_mov_b32 s0, exec_lo
	s_delay_alu instid0(VALU_DEP_1)
	v_cmpx_gt_u64_e32 0x43e00001, v[17:18]
	s_xor_b32 s11, exec_lo, s0
	s_cbranch_execz .LBB12_819
; %bb.806:                              ;   in Loop: Header=BB12_714 Depth=1
	s_mov_b32 s12, exec_lo
	v_mov_b32_e32 v2, 0
	v_mov_b32_e32 v3, 0
	v_cmpx_ne_u32_e32 0, v16
	s_cbranch_execz .LBB12_818
; %bb.807:                              ;   in Loop: Header=BB12_714 Depth=1
	v_bfe_u32 v18, v16, 23, 8
	v_or_b32_e32 v16, 0x800000, v9
	s_delay_alu instid0(VALU_DEP_2) | instskip(SKIP_1) | instid1(VALU_DEP_2)
	v_sub_nc_u32_e32 v2, 0x79, v18
	v_cmp_gt_u32_e32 vcc_lo, 0x7a, v18
	v_cndmask_b32_e32 v2, 0, v2, vcc_lo
	v_cmp_eq_u32_e32 vcc_lo, 0, v18
	v_cndmask_b32_e32 v9, v16, v9, vcc_lo
	s_delay_alu instid0(VALU_DEP_3) | instskip(NEXT) | instid1(VALU_DEP_1)
	v_cndmask_b32_e64 v19, v2, 0x78, vcc_lo
	v_add_nc_u32_e32 v2, 20, v19
	v_add_nc_u32_e32 v16, 19, v19
	s_delay_alu instid0(VALU_DEP_2) | instskip(NEXT) | instid1(VALU_DEP_2)
	v_lshlrev_b64 v[2:3], v2, -1
	v_lshlrev_b64 v[16:17], v16, 1
	s_delay_alu instid0(VALU_DEP_2) | instskip(NEXT) | instid1(VALU_DEP_3)
	v_not_b32_e32 v3, v3
	v_not_b32_e32 v2, v2
	s_delay_alu instid0(VALU_DEP_2) | instskip(NEXT) | instid1(VALU_DEP_2)
	v_and_b32_e32 v22, 0, v3
	v_and_b32_e32 v21, v9, v2
	v_lshrrev_b64 v[2:3], v19, v[9:10]
	s_delay_alu instid0(VALU_DEP_2) | instskip(NEXT) | instid1(VALU_DEP_2)
	v_cmp_eq_u64_e64 s0, v[21:22], v[16:17]
	v_dual_mov_b32 v17, v3 :: v_dual_mov_b32 v16, v2
	s_delay_alu instid0(VALU_DEP_2)
	s_and_saveexec_b32 s13, s0
; %bb.808:                              ;   in Loop: Header=BB12_714 Depth=1
	v_bfe_u32 v9, v2, 20, 1
	s_delay_alu instid0(VALU_DEP_1) | instskip(NEXT) | instid1(VALU_DEP_1)
	v_add_co_u32 v9, s0, v2, v9
	v_add_co_u32 v16, s0, v9, -1
; %bb.809:                              ;   in Loop: Header=BB12_714 Depth=1
	s_or_b32 exec_lo, exec_lo, s13
	v_add_nc_u32_e32 v9, 0xffffff81, v18
	v_lshrrev_b32_e32 v17, 23, v2
	s_mov_b32 s0, exec_lo
	s_delay_alu instid0(VALU_DEP_2) | instskip(NEXT) | instid1(VALU_DEP_1)
	v_cndmask_b32_e64 v9, v9, 0xffffff82, vcc_lo
	v_add3_u32 v17, v19, v9, v17
	v_and_b32_e32 v9, 0xfffff, v16
	s_delay_alu instid0(VALU_DEP_2) | instskip(NEXT) | instid1(VALU_DEP_2)
	v_add_nc_u32_e32 v16, 6, v17
	v_add_co_u32 v2, vcc_lo, v9, v2
	v_add_co_ci_u32_e32 v3, vcc_lo, 0, v3, vcc_lo
                                        ; implicit-def: $vgpr9
	s_delay_alu instid0(VALU_DEP_3)
	v_cmpx_ne_u32_e32 0, v16
	s_xor_b32 s0, exec_lo, s0
; %bb.810:                              ;   in Loop: Header=BB12_714 Depth=1
	s_delay_alu instid0(VALU_DEP_2) | instskip(SKIP_1) | instid1(VALU_DEP_1)
	v_cmp_lt_u64_e32 vcc_lo, 0xffffff, v[2:3]
	v_add_nc_u32_e32 v9, 7, v17
	v_cndmask_b32_e32 v9, v16, v9, vcc_lo
	v_cndmask_b32_e64 v16, 0, 1, vcc_lo
	s_delay_alu instid0(VALU_DEP_1)
	v_lshrrev_b64 v[2:3], v16, v[2:3]
; %bb.811:                              ;   in Loop: Header=BB12_714 Depth=1
	s_and_not1_saveexec_b32 s0, s0
; %bb.812:                              ;   in Loop: Header=BB12_714 Depth=1
	s_delay_alu instid0(VALU_DEP_1)
	v_bfe_u32 v9, v2, 23, 1
; %bb.813:                              ;   in Loop: Header=BB12_714 Depth=1
	s_or_b32 exec_lo, exec_lo, s0
	s_delay_alu instid0(VALU_DEP_2) | instskip(NEXT) | instid1(VALU_DEP_2)
	v_lshrrev_b64 v[2:3], 20, v[2:3]
	v_cmp_gt_i32_e32 vcc_lo, 16, v9
	v_cmp_ne_u32_e64 s0, 0, v9
	s_delay_alu instid0(VALU_DEP_3) | instskip(NEXT) | instid1(VALU_DEP_1)
	v_dual_cndmask_b32 v17, 0, v3 :: v_dual_cndmask_b32 v16, 7, v2
                                        ; implicit-def: $vgpr2_vgpr3
	v_cmp_ne_u64_e32 vcc_lo, 0, v[16:17]
	s_delay_alu instid0(VALU_DEP_3) | instskip(NEXT) | instid1(SALU_CYCLE_1)
	s_or_b32 s0, s0, vcc_lo
	s_and_saveexec_b32 s13, s0
	s_delay_alu instid0(SALU_CYCLE_1)
	s_xor_b32 s0, exec_lo, s13
; %bb.814:                              ;   in Loop: Header=BB12_714 Depth=1
	v_min_i32_e32 v2, 15, v9
	s_delay_alu instid0(VALU_DEP_1) | instskip(NEXT) | instid1(VALU_DEP_1)
	v_lshl_or_b32 v2, v2, 3, v15
                                        ; implicit-def: $vgpr15
	v_and_or_b32 v2, v16, 7, v2
; %bb.815:                              ;   in Loop: Header=BB12_714 Depth=1
	s_and_not1_saveexec_b32 s0, s0
; %bb.816:                              ;   in Loop: Header=BB12_714 Depth=1
	v_dual_mov_b32 v2, v15 :: v_dual_mov_b32 v3, v16
; %bb.817:                              ;   in Loop: Header=BB12_714 Depth=1
	s_or_b32 exec_lo, exec_lo, s0
.LBB12_818:                             ;   in Loop: Header=BB12_714 Depth=1
	s_delay_alu instid0(SALU_CYCLE_1)
	s_or_b32 exec_lo, exec_lo, s12
.LBB12_819:                             ;   in Loop: Header=BB12_714 Depth=1
	s_and_not1_saveexec_b32 s0, s11
	s_delay_alu instid0(SALU_CYCLE_1)
	s_or_b32 exec_lo, exec_lo, s0
                                        ; implicit-def: $vgpr3
.LBB12_820:                             ;   in Loop: Header=BB12_714 Depth=1
	s_and_not1_saveexec_b32 s0, s9
; %bb.821:                              ;   in Loop: Header=BB12_714 Depth=1
	v_cmp_eq_u64_e32 vcc_lo, 0, v[9:10]
	v_or_b32_e32 v3, 0x7f, v3
	s_delay_alu instid0(VALU_DEP_1)
	v_cndmask_b32_e32 v2, v3, v2, vcc_lo
; %bb.822:                              ;   in Loop: Header=BB12_714 Depth=1
	s_or_b32 exec_lo, exec_lo, s0
	v_lshlrev_b32_e32 v3, 16, v4
	v_mov_b32_e32 v19, v10
	s_mov_b32 s0, exec_lo
	s_delay_alu instid0(VALU_DEP_2) | instskip(NEXT) | instid1(VALU_DEP_1)
	v_div_scale_f32 v9, null, s40, s40, v3
	v_rcp_f32_e32 v15, v9
	s_waitcnt_depctr 0xfff
	v_fma_f32 v16, -v9, v15, 1.0
	s_delay_alu instid0(VALU_DEP_1) | instskip(SKIP_1) | instid1(VALU_DEP_1)
	v_fmac_f32_e32 v15, v16, v15
	v_div_scale_f32 v16, vcc_lo, v3, s40, v3
	v_mul_f32_e32 v17, v16, v15
	s_delay_alu instid0(VALU_DEP_1) | instskip(NEXT) | instid1(VALU_DEP_1)
	v_fma_f32 v18, -v9, v17, v16
	v_fmac_f32_e32 v17, v18, v15
	s_delay_alu instid0(VALU_DEP_1) | instskip(NEXT) | instid1(VALU_DEP_1)
	v_fma_f32 v9, -v9, v17, v16
	v_div_fmas_f32 v9, v9, v15, v17
	s_delay_alu instid0(VALU_DEP_1) | instskip(NEXT) | instid1(VALU_DEP_1)
	v_div_fixup_f32 v17, v9, s40, v3
	v_and_b32_e32 v18, 0x7f800000, v17
	v_lshrrev_b32_e32 v16, 24, v17
	v_and_b32_e32 v9, 0x7fffff, v17
	s_delay_alu instid0(VALU_DEP_2) | instskip(NEXT) | instid1(VALU_DEP_1)
	v_and_b32_e32 v3, 0x80, v16
	v_or_b32_e32 v15, 0x7e, v3
	v_cmpx_ne_u64_e32 0x7f800000, v[18:19]
	s_xor_b32 s9, exec_lo, s0
	s_cbranch_execz .LBB12_838
; %bb.823:                              ;   in Loop: Header=BB12_714 Depth=1
	v_dual_mov_b32 v19, v10 :: v_dual_and_b32 v18, 0x7fffffff, v17
	s_mov_b32 s0, exec_lo
	s_delay_alu instid0(VALU_DEP_1)
	v_cmpx_gt_u64_e32 0x43e00001, v[18:19]
	s_xor_b32 s11, exec_lo, s0
	s_cbranch_execz .LBB12_837
; %bb.824:                              ;   in Loop: Header=BB12_714 Depth=1
	s_mov_b32 s12, exec_lo
	v_mov_b32_e32 v15, 0
	v_mov_b32_e32 v16, 0
	v_cmpx_ne_u32_e32 0, v17
	s_cbranch_execz .LBB12_836
; %bb.825:                              ;   in Loop: Header=BB12_714 Depth=1
	v_bfe_u32 v19, v17, 23, 8
	v_or_b32_e32 v17, 0x800000, v9
	s_delay_alu instid0(VALU_DEP_2) | instskip(SKIP_1) | instid1(VALU_DEP_2)
	v_sub_nc_u32_e32 v15, 0x79, v19
	v_cmp_gt_u32_e32 vcc_lo, 0x7a, v19
	v_cndmask_b32_e32 v15, 0, v15, vcc_lo
	v_cmp_eq_u32_e32 vcc_lo, 0, v19
	s_delay_alu instid0(VALU_DEP_2) | instskip(SKIP_1) | instid1(VALU_DEP_2)
	v_cndmask_b32_e64 v21, v15, 0x78, vcc_lo
	v_cndmask_b32_e32 v9, v17, v9, vcc_lo
	v_add_nc_u32_e32 v15, 20, v21
	v_add_nc_u32_e32 v17, 19, v21
	s_delay_alu instid0(VALU_DEP_2) | instskip(NEXT) | instid1(VALU_DEP_2)
	v_lshlrev_b64 v[15:16], v15, -1
	v_lshlrev_b64 v[17:18], v17, 1
	s_delay_alu instid0(VALU_DEP_2) | instskip(NEXT) | instid1(VALU_DEP_3)
	v_not_b32_e32 v16, v16
	v_not_b32_e32 v15, v15
	s_delay_alu instid0(VALU_DEP_2) | instskip(NEXT) | instid1(VALU_DEP_2)
	v_and_b32_e32 v23, 0, v16
	v_and_b32_e32 v22, v9, v15
	v_lshrrev_b64 v[15:16], v21, v[9:10]
	s_delay_alu instid0(VALU_DEP_2) | instskip(NEXT) | instid1(VALU_DEP_2)
	v_cmp_eq_u64_e64 s0, v[22:23], v[17:18]
	v_dual_mov_b32 v18, v16 :: v_dual_mov_b32 v17, v15
	s_delay_alu instid0(VALU_DEP_2)
	s_and_saveexec_b32 s13, s0
; %bb.826:                              ;   in Loop: Header=BB12_714 Depth=1
	v_bfe_u32 v9, v15, 20, 1
	s_delay_alu instid0(VALU_DEP_1) | instskip(NEXT) | instid1(VALU_DEP_1)
	v_add_co_u32 v9, s0, v15, v9
	v_add_co_u32 v17, s0, v9, -1
; %bb.827:                              ;   in Loop: Header=BB12_714 Depth=1
	s_or_b32 exec_lo, exec_lo, s13
	v_add_nc_u32_e32 v9, 0xffffff81, v19
	v_lshrrev_b32_e32 v18, 23, v15
	s_mov_b32 s0, exec_lo
	s_delay_alu instid0(VALU_DEP_2) | instskip(NEXT) | instid1(VALU_DEP_1)
	v_cndmask_b32_e64 v9, v9, 0xffffff82, vcc_lo
	v_add3_u32 v18, v21, v9, v18
	v_and_b32_e32 v9, 0xfffff, v17
	s_delay_alu instid0(VALU_DEP_2) | instskip(NEXT) | instid1(VALU_DEP_2)
	v_add_nc_u32_e32 v17, 6, v18
	v_add_co_u32 v15, vcc_lo, v9, v15
	v_add_co_ci_u32_e32 v16, vcc_lo, 0, v16, vcc_lo
                                        ; implicit-def: $vgpr9
	s_delay_alu instid0(VALU_DEP_3)
	v_cmpx_ne_u32_e32 0, v17
	s_xor_b32 s0, exec_lo, s0
; %bb.828:                              ;   in Loop: Header=BB12_714 Depth=1
	s_delay_alu instid0(VALU_DEP_2) | instskip(SKIP_1) | instid1(VALU_DEP_1)
	v_cmp_lt_u64_e32 vcc_lo, 0xffffff, v[15:16]
	v_add_nc_u32_e32 v9, 7, v18
	v_cndmask_b32_e32 v9, v17, v9, vcc_lo
	v_cndmask_b32_e64 v17, 0, 1, vcc_lo
	s_delay_alu instid0(VALU_DEP_1)
	v_lshrrev_b64 v[15:16], v17, v[15:16]
; %bb.829:                              ;   in Loop: Header=BB12_714 Depth=1
	s_and_not1_saveexec_b32 s0, s0
; %bb.830:                              ;   in Loop: Header=BB12_714 Depth=1
	s_delay_alu instid0(VALU_DEP_1)
	v_bfe_u32 v9, v15, 23, 1
; %bb.831:                              ;   in Loop: Header=BB12_714 Depth=1
	s_or_b32 exec_lo, exec_lo, s0
	s_delay_alu instid0(VALU_DEP_2) | instskip(NEXT) | instid1(VALU_DEP_2)
	v_lshrrev_b64 v[15:16], 20, v[15:16]
	v_cmp_gt_i32_e32 vcc_lo, 16, v9
	v_cmp_ne_u32_e64 s0, 0, v9
	s_delay_alu instid0(VALU_DEP_3) | instskip(NEXT) | instid1(VALU_DEP_1)
	v_dual_cndmask_b32 v18, 0, v16 :: v_dual_cndmask_b32 v17, 7, v15
                                        ; implicit-def: $vgpr15_vgpr16
	v_cmp_ne_u64_e32 vcc_lo, 0, v[17:18]
	s_delay_alu instid0(VALU_DEP_3) | instskip(NEXT) | instid1(SALU_CYCLE_1)
	s_or_b32 s0, s0, vcc_lo
	s_and_saveexec_b32 s13, s0
	s_delay_alu instid0(SALU_CYCLE_1)
	s_xor_b32 s0, exec_lo, s13
; %bb.832:                              ;   in Loop: Header=BB12_714 Depth=1
	v_min_i32_e32 v9, 15, v9
	s_delay_alu instid0(VALU_DEP_1) | instskip(NEXT) | instid1(VALU_DEP_1)
	v_lshl_or_b32 v3, v9, 3, v3
	v_and_or_b32 v15, v17, 7, v3
                                        ; implicit-def: $vgpr3
; %bb.833:                              ;   in Loop: Header=BB12_714 Depth=1
	s_and_not1_saveexec_b32 s0, s0
; %bb.834:                              ;   in Loop: Header=BB12_714 Depth=1
	v_dual_mov_b32 v16, v4 :: v_dual_mov_b32 v15, v3
; %bb.835:                              ;   in Loop: Header=BB12_714 Depth=1
	s_or_b32 exec_lo, exec_lo, s0
.LBB12_836:                             ;   in Loop: Header=BB12_714 Depth=1
	s_delay_alu instid0(SALU_CYCLE_1)
	s_or_b32 exec_lo, exec_lo, s12
.LBB12_837:                             ;   in Loop: Header=BB12_714 Depth=1
	s_and_not1_saveexec_b32 s0, s11
	s_delay_alu instid0(SALU_CYCLE_1)
	s_or_b32 exec_lo, exec_lo, s0
                                        ; implicit-def: $vgpr16
.LBB12_838:                             ;   in Loop: Header=BB12_714 Depth=1
	s_and_not1_saveexec_b32 s0, s9
; %bb.839:                              ;   in Loop: Header=BB12_714 Depth=1
	v_cmp_eq_u64_e32 vcc_lo, 0, v[9:10]
	v_or_b32_e32 v3, 0x7f, v16
	s_delay_alu instid0(VALU_DEP_1)
	v_cndmask_b32_e32 v15, v3, v15, vcc_lo
; %bb.840:                              ;   in Loop: Header=BB12_714 Depth=1
	s_or_b32 exec_lo, exec_lo, s0
	v_and_b32_e32 v3, 0xffff0000, v4
	v_mov_b32_e32 v19, v10
	s_mov_b32 s0, exec_lo
	s_delay_alu instid0(VALU_DEP_2) | instskip(NEXT) | instid1(VALU_DEP_1)
	v_div_scale_f32 v4, null, s40, s40, v3
	v_rcp_f32_e32 v9, v4
	s_waitcnt_depctr 0xfff
	v_fma_f32 v16, -v4, v9, 1.0
	s_delay_alu instid0(VALU_DEP_1) | instskip(SKIP_1) | instid1(VALU_DEP_1)
	v_fmac_f32_e32 v9, v16, v9
	v_div_scale_f32 v16, vcc_lo, v3, s40, v3
	v_mul_f32_e32 v17, v16, v9
	s_delay_alu instid0(VALU_DEP_1) | instskip(NEXT) | instid1(VALU_DEP_1)
	v_fma_f32 v18, -v4, v17, v16
	v_fmac_f32_e32 v17, v18, v9
	s_delay_alu instid0(VALU_DEP_1) | instskip(NEXT) | instid1(VALU_DEP_1)
	v_fma_f32 v4, -v4, v17, v16
	v_div_fmas_f32 v4, v4, v9, v17
	s_delay_alu instid0(VALU_DEP_1) | instskip(NEXT) | instid1(VALU_DEP_1)
	v_div_fixup_f32 v4, v4, s40, v3
	v_and_b32_e32 v18, 0x7f800000, v4
	v_lshrrev_b32_e32 v17, 24, v4
	v_and_b32_e32 v9, 0x7fffff, v4
	s_delay_alu instid0(VALU_DEP_2) | instskip(NEXT) | instid1(VALU_DEP_1)
	v_and_b32_e32 v3, 0x80, v17
	v_or_b32_e32 v16, 0x7e, v3
	v_cmpx_ne_u64_e32 0x7f800000, v[18:19]
	s_xor_b32 s9, exec_lo, s0
	s_cbranch_execz .LBB12_856
; %bb.841:                              ;   in Loop: Header=BB12_714 Depth=1
	v_dual_mov_b32 v18, v10 :: v_dual_and_b32 v17, 0x7fffffff, v4
	s_mov_b32 s0, exec_lo
	s_delay_alu instid0(VALU_DEP_1)
	v_cmpx_gt_u64_e32 0x43e00001, v[17:18]
	s_xor_b32 s11, exec_lo, s0
	s_cbranch_execz .LBB12_855
; %bb.842:                              ;   in Loop: Header=BB12_714 Depth=1
	s_mov_b32 s12, exec_lo
	v_mov_b32_e32 v16, 0
	v_mov_b32_e32 v17, 0
	v_cmpx_ne_u32_e32 0, v4
	s_cbranch_execz .LBB12_854
; %bb.843:                              ;   in Loop: Header=BB12_714 Depth=1
	v_bfe_u32 v4, v4, 23, 8
	v_or_b32_e32 v18, 0x800000, v9
	s_delay_alu instid0(VALU_DEP_2) | instskip(SKIP_1) | instid1(VALU_DEP_2)
	v_sub_nc_u32_e32 v16, 0x79, v4
	v_cmp_gt_u32_e32 vcc_lo, 0x7a, v4
	v_cndmask_b32_e32 v16, 0, v16, vcc_lo
	v_cmp_eq_u32_e32 vcc_lo, 0, v4
	v_cndmask_b32_e32 v9, v18, v9, vcc_lo
	s_delay_alu instid0(VALU_DEP_3) | instskip(NEXT) | instid1(VALU_DEP_1)
	v_cndmask_b32_e64 v21, v16, 0x78, vcc_lo
	v_add_nc_u32_e32 v16, 20, v21
	v_add_nc_u32_e32 v18, 19, v21
	s_delay_alu instid0(VALU_DEP_2) | instskip(NEXT) | instid1(VALU_DEP_2)
	v_lshlrev_b64 v[16:17], v16, -1
	v_lshlrev_b64 v[18:19], v18, 1
	s_delay_alu instid0(VALU_DEP_2) | instskip(NEXT) | instid1(VALU_DEP_3)
	v_not_b32_e32 v17, v17
	v_not_b32_e32 v16, v16
	s_delay_alu instid0(VALU_DEP_2) | instskip(NEXT) | instid1(VALU_DEP_2)
	v_and_b32_e32 v23, 0, v17
	v_and_b32_e32 v22, v9, v16
	v_lshrrev_b64 v[16:17], v21, v[9:10]
	s_delay_alu instid0(VALU_DEP_2) | instskip(NEXT) | instid1(VALU_DEP_2)
	v_cmp_eq_u64_e64 s0, v[22:23], v[18:19]
	v_dual_mov_b32 v19, v17 :: v_dual_mov_b32 v18, v16
	s_delay_alu instid0(VALU_DEP_2)
	s_and_saveexec_b32 s13, s0
; %bb.844:                              ;   in Loop: Header=BB12_714 Depth=1
	v_bfe_u32 v9, v16, 20, 1
	s_delay_alu instid0(VALU_DEP_1) | instskip(NEXT) | instid1(VALU_DEP_1)
	v_add_co_u32 v9, s0, v16, v9
	v_add_co_u32 v18, s0, v9, -1
; %bb.845:                              ;   in Loop: Header=BB12_714 Depth=1
	s_or_b32 exec_lo, exec_lo, s13
	v_add_nc_u32_e32 v4, 0xffffff81, v4
	v_lshrrev_b32_e32 v9, 23, v16
	s_mov_b32 s0, exec_lo
	s_delay_alu instid0(VALU_DEP_2) | instskip(NEXT) | instid1(VALU_DEP_1)
	v_cndmask_b32_e64 v4, v4, 0xffffff82, vcc_lo
	v_add3_u32 v9, v21, v4, v9
	v_and_b32_e32 v4, 0xfffff, v18
	s_delay_alu instid0(VALU_DEP_2) | instskip(NEXT) | instid1(VALU_DEP_2)
	v_add_nc_u32_e32 v18, 6, v9
	v_add_co_u32 v16, vcc_lo, v4, v16
	v_add_co_ci_u32_e32 v17, vcc_lo, 0, v17, vcc_lo
                                        ; implicit-def: $vgpr4
	s_delay_alu instid0(VALU_DEP_3)
	v_cmpx_ne_u32_e32 0, v18
	s_xor_b32 s0, exec_lo, s0
; %bb.846:                              ;   in Loop: Header=BB12_714 Depth=1
	s_delay_alu instid0(VALU_DEP_2) | instskip(SKIP_2) | instid1(VALU_DEP_2)
	v_cmp_lt_u64_e32 vcc_lo, 0xffffff, v[16:17]
	v_add_nc_u32_e32 v4, 7, v9
	v_cndmask_b32_e64 v9, 0, 1, vcc_lo
	v_cndmask_b32_e32 v4, v18, v4, vcc_lo
	s_delay_alu instid0(VALU_DEP_2)
	v_lshrrev_b64 v[16:17], v9, v[16:17]
; %bb.847:                              ;   in Loop: Header=BB12_714 Depth=1
	s_and_not1_saveexec_b32 s0, s0
; %bb.848:                              ;   in Loop: Header=BB12_714 Depth=1
	s_delay_alu instid0(VALU_DEP_1)
	v_bfe_u32 v4, v16, 23, 1
; %bb.849:                              ;   in Loop: Header=BB12_714 Depth=1
	s_or_b32 exec_lo, exec_lo, s0
	s_delay_alu instid0(VALU_DEP_2) | instskip(NEXT) | instid1(VALU_DEP_2)
	v_lshrrev_b64 v[16:17], 20, v[16:17]
	v_cmp_gt_i32_e32 vcc_lo, 16, v4
	v_cmp_ne_u32_e64 s0, 0, v4
	s_delay_alu instid0(VALU_DEP_3) | instskip(NEXT) | instid1(VALU_DEP_1)
	v_dual_cndmask_b32 v19, 0, v17 :: v_dual_cndmask_b32 v18, 7, v16
                                        ; implicit-def: $vgpr16_vgpr17
	v_cmp_ne_u64_e32 vcc_lo, 0, v[18:19]
	s_delay_alu instid0(VALU_DEP_3) | instskip(NEXT) | instid1(SALU_CYCLE_1)
	s_or_b32 s0, s0, vcc_lo
	s_and_saveexec_b32 s13, s0
	s_delay_alu instid0(SALU_CYCLE_1)
	s_xor_b32 s0, exec_lo, s13
; %bb.850:                              ;   in Loop: Header=BB12_714 Depth=1
	v_min_i32_e32 v4, 15, v4
	s_delay_alu instid0(VALU_DEP_1) | instskip(NEXT) | instid1(VALU_DEP_1)
	v_lshl_or_b32 v3, v4, 3, v3
	v_and_or_b32 v16, v18, 7, v3
                                        ; implicit-def: $vgpr3
; %bb.851:                              ;   in Loop: Header=BB12_714 Depth=1
	s_and_not1_saveexec_b32 s0, s0
; %bb.852:                              ;   in Loop: Header=BB12_714 Depth=1
	v_dual_mov_b32 v17, v4 :: v_dual_mov_b32 v16, v3
; %bb.853:                              ;   in Loop: Header=BB12_714 Depth=1
	s_or_b32 exec_lo, exec_lo, s0
.LBB12_854:                             ;   in Loop: Header=BB12_714 Depth=1
	s_delay_alu instid0(SALU_CYCLE_1)
	s_or_b32 exec_lo, exec_lo, s12
.LBB12_855:                             ;   in Loop: Header=BB12_714 Depth=1
	s_and_not1_saveexec_b32 s0, s11
	s_delay_alu instid0(SALU_CYCLE_1)
	s_or_b32 exec_lo, exec_lo, s0
                                        ; implicit-def: $vgpr17
.LBB12_856:                             ;   in Loop: Header=BB12_714 Depth=1
	s_and_not1_saveexec_b32 s0, s9
	s_cbranch_execz .LBB12_713
; %bb.857:                              ;   in Loop: Header=BB12_714 Depth=1
	v_cmp_eq_u64_e32 vcc_lo, 0, v[9:10]
	v_or_b32_e32 v3, 0x7f, v17
	s_delay_alu instid0(VALU_DEP_1)
	v_cndmask_b32_e32 v16, v3, v16, vcc_lo
	s_branch .LBB12_713
.LBB12_858:
	s_or_b32 exec_lo, exec_lo, s2
	v_lshl_add_u32 v1, s1, 3, v0
	s_mov_b32 s43, exec_lo
	s_delay_alu instid0(VALU_DEP_1)
	v_cmpx_gt_i32_e64 s42, v1
	s_cbranch_execz .LBB12_884
; %bb.859:
	v_cvt_f32_u32_e32 v2, s27
	s_sub_i32 s0, 0, s27
	v_add_nc_u32_e32 v4, s27, v1
	s_cmp_eq_u32 s27, 1
	s_mov_b32 s45, 0
	v_rcp_iflag_f32_e32 v2, v2
	s_delay_alu instid0(VALU_DEP_1) | instskip(SKIP_3) | instid1(VALU_DEP_1)
	v_cmp_gt_i32_e32 vcc_lo, s42, v4
	v_max_i32_e32 v5, s42, v4
	s_waitcnt_depctr 0xfff
	v_mul_f32_e32 v2, 0x4f7ffffe, v2
	v_cvt_u32_f32_e32 v2, v2
	s_delay_alu instid0(VALU_DEP_1) | instskip(SKIP_1) | instid1(VALU_DEP_1)
	v_mul_lo_u32 v3, s0, v2
	v_add_co_ci_u32_e64 v4, s0, s27, v1, vcc_lo
	v_sub_nc_u32_e32 v4, v5, v4
	s_delay_alu instid0(VALU_DEP_3) | instskip(NEXT) | instid1(VALU_DEP_1)
	v_mul_hi_u32 v3, v2, v3
	v_add_nc_u32_e32 v2, v2, v3
	s_delay_alu instid0(VALU_DEP_1) | instskip(NEXT) | instid1(VALU_DEP_1)
	v_mul_hi_u32 v2, v4, v2
	v_mul_lo_u32 v3, v2, s27
	s_delay_alu instid0(VALU_DEP_1) | instskip(SKIP_1) | instid1(VALU_DEP_2)
	v_sub_nc_u32_e32 v3, v4, v3
	v_add_nc_u32_e32 v4, 1, v2
	v_subrev_nc_u32_e32 v5, s27, v3
	v_cmp_le_u32_e64 s0, s27, v3
	s_delay_alu instid0(VALU_DEP_1) | instskip(NEXT) | instid1(VALU_DEP_3)
	v_cndmask_b32_e64 v2, v2, v4, s0
	v_cndmask_b32_e64 v3, v3, v5, s0
	s_delay_alu instid0(VALU_DEP_2) | instskip(NEXT) | instid1(VALU_DEP_2)
	v_add_nc_u32_e32 v4, 1, v2
	v_cmp_le_u32_e64 s0, s27, v3
	s_delay_alu instid0(VALU_DEP_1) | instskip(SKIP_1) | instid1(VALU_DEP_1)
	v_cndmask_b32_e64 v2, v2, v4, s0
	s_cselect_b32 s0, -1, 0
	v_add_co_ci_u32_e32 v6, vcc_lo, 1, v2, vcc_lo
	s_delay_alu instid0(VALU_DEP_1)
	v_cmp_lt_u32_e32 vcc_lo, 1, v6
	s_and_b32 s1, vcc_lo, s0
	s_mov_b32 s0, -1
	s_and_saveexec_b32 s44, s1
	s_cbranch_execz .LBB12_863
; %bb.860:
	v_dual_mov_b32 v4, v1 :: v_dual_and_b32 v7, -2, v6
	s_lshl_b64 s[0:1], s[24:25], 1
	v_mov_b32_e32 v3, 0
	s_add_u32 s46, s5, s0
	s_delay_alu instid0(VALU_DEP_2)
	v_mov_b32_e32 v8, v7
	s_addc_u32 s47, s10, s1
	s_add_u32 s48, s4, s24
	s_addc_u32 s49, s6, s25
	s_mov_b32 s50, s40
.LBB12_861:                             ; =>This Inner Loop Header: Depth=1
	v_ashrrev_i32_e32 v5, 31, v4
	v_add_nc_u32_e32 v8, -2, v8
	s_delay_alu instid0(VALU_DEP_2) | instskip(NEXT) | instid1(VALU_DEP_1)
	v_lshlrev_b64 v[9:10], 1, v[4:5]
	v_add_co_u32 v9, vcc_lo, s46, v9
	s_delay_alu instid0(VALU_DEP_2) | instskip(SKIP_3) | instid1(VALU_DEP_1)
	v_add_co_ci_u32_e32 v10, vcc_lo, s47, v10, vcc_lo
	global_load_b32 v2, v[9:10], off
	s_waitcnt vmcnt(0)
	v_and_b32_e32 v9, 0xffff0000, v2
	v_div_scale_f32 v11, null, s50, s50, v9
	v_div_scale_f32 v18, vcc_lo, v9, s50, v9
	s_delay_alu instid0(VALU_DEP_2) | instskip(SKIP_2) | instid1(VALU_DEP_1)
	v_rcp_f32_e32 v15, v11
	s_waitcnt_depctr 0xfff
	v_fma_f32 v10, -v11, v15, 1.0
	v_dual_fmac_f32 v15, v10, v15 :: v_dual_lshlrev_b32 v2, 16, v2
	s_delay_alu instid0(VALU_DEP_1) | instskip(SKIP_1) | instid1(VALU_DEP_3)
	v_div_scale_f32 v13, null, s40, s40, v2
	v_div_scale_f32 v19, s0, v2, s40, v2
	v_mul_f32_e32 v20, v18, v15
	s_delay_alu instid0(VALU_DEP_3) | instskip(SKIP_3) | instid1(VALU_DEP_1)
	v_rcp_f32_e32 v17, v13
	v_mov_b32_e32 v10, v3
	s_waitcnt_depctr 0xfff
	v_fma_f32 v12, -v13, v17, 1.0
	v_fmac_f32_e32 v17, v12, v17
	v_fma_f32 v12, -v11, v20, v18
	s_delay_alu instid0(VALU_DEP_1) | instskip(NEXT) | instid1(VALU_DEP_1)
	v_dual_mul_f32 v21, v19, v17 :: v_dual_fmac_f32 v20, v12, v15
	v_fma_f32 v14, -v13, v21, v19
	s_delay_alu instid0(VALU_DEP_2) | instskip(NEXT) | instid1(VALU_DEP_2)
	v_fma_f32 v11, -v11, v20, v18
	v_dual_mov_b32 v12, v3 :: v_dual_fmac_f32 v21, v14, v17
	s_delay_alu instid0(VALU_DEP_2) | instskip(SKIP_1) | instid1(VALU_DEP_2)
	v_div_fmas_f32 v11, v11, v15, v20
	s_mov_b32 vcc_lo, s0
	v_fma_f32 v13, -v13, v21, v19
	s_delay_alu instid0(VALU_DEP_2)
	v_div_fixup_f32 v15, v11, s50, v9
	v_mov_b32_e32 v16, v3
	v_mov_b32_e32 v18, v3
	;; [unrolled: 1-line block ×3, first 2 shown]
	v_div_fmas_f32 v13, v13, v17, v21
	v_and_b32_e32 v9, 0x7fffff, v15
	v_and_b32_e32 v11, 0x7f800000, v15
	;; [unrolled: 1-line block ×3, first 2 shown]
	v_bfe_u32 v23, v15, 23, 8
	v_div_fixup_f32 v20, v13, s40, v2
	v_mov_b32_e32 v22, v3
	v_cmp_ne_u64_e64 s3, 0x7f800000, v[11:12]
	v_cmp_lt_u64_e64 s4, 0x43e00000, v[17:18]
	v_cmp_gt_u64_e64 s5, 0x43e00001, v[17:18]
	v_and_b32_e32 v13, 0x7f800000, v20
	v_bfe_u32 v26, v20, 23, 8
	v_sub_nc_u32_e32 v12, 0x79, v23
	v_cmp_gt_u32_e64 s13, 0x7a, v23
	v_dual_mov_b32 v19, v3 :: v_dual_and_b32 v2, 0x7fffff, v20
	v_cmp_eq_u32_e64 s6, 0, v23
	v_or_b32_e32 v17, 0x800000, v9
	v_cmp_ne_u64_e64 s8, 0x7f800000, v[13:14]
	v_sub_nc_u32_e32 v13, 0x79, v26
	v_cndmask_b32_e64 v12, 0, v12, s13
	s_and_b32 s5, s3, s5
	s_and_b32 s13, s3, s4
	v_cmp_gt_u32_e64 s3, 0x7a, v26
	v_mov_b32_e32 v24, v3
	v_lshrrev_b32_e32 v25, 24, v15
	v_cmp_eq_u32_e32 vcc_lo, 0, v15
	v_cmp_ne_u32_e64 s0, 0, v15
	v_and_b32_e32 v15, 0x7fffffff, v20
	v_lshrrev_b32_e32 v27, 24, v20
	v_cmp_eq_u32_e64 s1, 0, v20
	v_cmp_ne_u32_e64 s2, 0, v20
	v_cmp_eq_u64_e64 s7, 0, v[9:10]
	v_cmp_eq_u32_e64 s11, 0, v26
	v_or_b32_e32 v14, 0x800000, v2
	v_cndmask_b32_e64 v20, v17, v9, s6
	v_cndmask_b32_e64 v9, 0, v13, s3
	;; [unrolled: 1-line block ×3, first 2 shown]
	v_cmp_eq_u64_e64 s12, 0, v[2:3]
	v_cndmask_b32_e64 v18, v14, v2, s11
	v_add_nc_u32_e32 v10, 0xffffff81, v26
	v_cndmask_b32_e64 v2, v9, 0x78, s11
	v_add_nc_u32_e32 v9, 20, v33
	v_dual_mov_b32 v21, v3 :: v_dual_and_b32 v28, 0x80, v25
	s_delay_alu instid0(VALU_DEP_4) | instskip(NEXT) | instid1(VALU_DEP_4)
	v_cndmask_b32_e64 v34, v10, 0xffffff82, s11
	v_add_nc_u32_e32 v12, 20, v2
	s_delay_alu instid0(VALU_DEP_4)
	v_lshlrev_b64 v[9:10], v9, -1
	v_and_b32_e32 v30, 0x80, v27
	v_add_nc_u32_e32 v11, 0xffffff81, v23
	v_cmp_lt_u64_e64 s9, 0x43e00000, v[15:16]
	v_lshlrev_b64 v[12:13], v12, -1
	v_cmp_gt_u64_e64 s10, 0x43e00001, v[15:16]
	v_add_nc_u32_e32 v15, 19, v33
	v_cndmask_b32_e64 v32, v11, 0xffffff82, s6
	v_lshrrev_b64 v[10:11], v33, v[20:21]
	v_add_nc_u32_e32 v21, 19, v2
	v_not_b32_e32 v9, v9
	v_lshlrev_b64 v[15:16], v15, 1
	v_not_b32_e32 v12, v12
	v_or_b32_e32 v29, 0x7f, v25
	v_lshlrev_b64 v[25:26], v21, 1
	v_and_b32_e32 v21, v20, v9
	v_lshrrev_b64 v[13:14], v2, v[18:19]
	v_bfe_u32 v35, v10, 20, 1
	v_and_b32_e32 v23, v18, v12
	s_and_b32 s6, s8, s10
	s_and_b32 s10, s5, s0
	v_cmp_ne_u64_e64 s0, v[21:22], v[15:16]
	v_lshrrev_b32_e32 v9, 23, v13
	v_bfe_u32 v20, v13, 20, 1
	v_lshrrev_b32_e32 v19, 23, v10
	v_add3_u32 v15, v10, v35, -1
	s_and_b32 s11, s6, s2
	v_cmp_ne_u64_e64 s2, v[23:24], v[25:26]
	s_and_b32 s0, s10, s0
	v_add3_u32 v2, v2, v34, v9
	v_add3_u32 v9, v13, v20, -1
	v_add3_u32 v12, v33, v32, v19
	v_cndmask_b32_e64 v15, v15, v10, s0
	s_and_b32 s0, s11, s2
	v_add_nc_u32_e32 v19, 6, v2
	v_cndmask_b32_e64 v9, v9, v13, s0
	v_add_nc_u32_e32 v16, 6, v12
	v_add_nc_u32_e32 v18, 7, v12
	v_and_b32_e32 v12, 0xfffff, v15
	v_add_nc_u32_e32 v2, 7, v2
	v_and_b32_e32 v15, 0xfffff, v9
	v_cmp_ne_u32_e64 s0, 0, v16
	v_or_b32_e32 v31, 0x7e, v28
	v_add_co_u32 v9, s2, v12, v10
	s_delay_alu instid0(VALU_DEP_1) | instskip(SKIP_1) | instid1(VALU_DEP_1)
	v_add_co_ci_u32_e64 v10, s2, 0, v11, s2
	v_add_co_u32 v11, s2, v15, v13
	v_add_co_ci_u32_e64 v12, s2, 0, v14, s2
	s_delay_alu instid0(VALU_DEP_3) | instskip(SKIP_2) | instid1(VALU_DEP_4)
	v_cmp_lt_u64_e64 s3, 0xffffff, v[9:10]
	v_bfe_u32 v14, v9, 23, 1
	v_cmp_ne_u32_e64 s2, 0, v19
	v_cmp_lt_u64_e64 s4, 0xffffff, v[11:12]
	s_and_b32 s0, s10, s0
	v_bfe_u32 v15, v11, 23, 1
	v_cndmask_b32_e64 v13, v16, v18, s3
	v_or_b32_e32 v27, 0x7f, v27
	v_or_b32_e32 v17, 0x7e, v30
	v_cndmask_b32_e64 v2, v19, v2, s4
	s_and_b32 s1, s6, s1
	v_cndmask_b32_e64 v13, v14, v13, s0
	s_and_b32 s0, s0, s3
	s_delay_alu instid0(SALU_CYCLE_1)
	v_cndmask_b32_e64 v14, 0, 1, s0
	s_and_b32 s0, s11, s2
	s_and_b32 s2, s8, s9
	v_cndmask_b32_e64 v2, v15, v2, s0
	s_and_b32 s0, s0, s4
	v_lshrrev_b64 v[9:10], v14, v[9:10]
	v_cndmask_b32_e64 v15, 0, 1, s0
	s_or_b32 s0, s13, s7
	s_delay_alu instid0(SALU_CYCLE_1) | instskip(SKIP_1) | instid1(VALU_DEP_2)
	v_cndmask_b32_e64 v16, v29, v31, s0
	s_or_b32 s0, s2, s12
	v_lshrrev_b64 v[11:12], v15, v[11:12]
	v_cndmask_b32_e64 v14, v27, v17, s0
	s_and_b32 s0, s5, vcc_lo
	v_lshrrev_b64 v[9:10], 20, v[9:10]
	v_cndmask_b32_e64 v15, v16, 0, s0
	v_cmp_gt_i32_e64 s0, 16, v13
	v_lshrrev_b64 v[11:12], 20, v[11:12]
	v_cmp_gt_i32_e64 s2, 16, v2
	v_cmp_eq_u32_e32 vcc_lo, 0, v13
	v_min_i32_e32 v13, 15, v13
	v_cndmask_b32_e64 v10, 0, v10, s0
	v_cndmask_b32_e64 v9, 7, v9, s0
	;; [unrolled: 1-line block ×4, first 2 shown]
	v_min_i32_e32 v16, 15, v2
	v_cmp_eq_u32_e64 s0, 0, v2
	v_cmp_eq_u64_e64 s2, 0, v[9:10]
	v_lshl_or_b32 v2, v13, 3, v28
	v_cmp_eq_u64_e64 s3, 0, v[11:12]
	v_lshl_or_b32 v13, v16, 3, v30
	v_cndmask_b32_e64 v10, v14, 0, s1
	s_and_b32 s1, vcc_lo, s2
	v_and_or_b32 v2, v9, 7, v2
	s_delay_alu instid0(VALU_DEP_4)
	s_and_b32 s0, s0, s3
	s_and_b32 vcc_lo, s10, s1
	v_and_or_b32 v9, v11, 7, v13
	v_cndmask_b32_e32 v11, v15, v28, vcc_lo
	s_and_b32 vcc_lo, s11, s0
	s_xor_b32 s2, s1, -1
	v_cndmask_b32_e32 v10, v10, v30, vcc_lo
	s_xor_b32 s0, s0, -1
	s_and_b32 vcc_lo, s10, s2
	v_cndmask_b32_e32 v2, v11, v2, vcc_lo
	s_and_b32 vcc_lo, s11, s0
	v_cndmask_b32_e32 v9, v10, v9, vcc_lo
	v_cmp_eq_u32_e32 vcc_lo, 0, v8
	s_delay_alu instid0(VALU_DEP_3) | instskip(NEXT) | instid1(VALU_DEP_3)
	v_lshlrev_b16 v2, 8, v2
	v_and_b32_e32 v11, 0xff, v9
	v_add_co_u32 v9, s0, s48, v4
	s_delay_alu instid0(VALU_DEP_1) | instskip(NEXT) | instid1(VALU_DEP_3)
	v_add_co_ci_u32_e64 v10, s0, s49, v5, s0
	v_or_b32_e32 v2, v11, v2
	v_add_nc_u32_e32 v4, 2, v4
	s_or_b32 s45, vcc_lo, s45
	global_store_b16 v[9:10], v2, off
	s_and_not1_b32 exec_lo, exec_lo, s45
	s_cbranch_execnz .LBB12_861
; %bb.862:
	s_or_b32 exec_lo, exec_lo, s45
	v_cmp_ne_u32_e32 vcc_lo, v6, v7
	v_add_nc_u32_e32 v1, v1, v7
	s_or_not1_b32 s0, vcc_lo, exec_lo
.LBB12_863:
	s_or_b32 exec_lo, exec_lo, s44
	s_delay_alu instid0(SALU_CYCLE_1)
	s_and_b32 exec_lo, exec_lo, s0
	s_cbranch_execz .LBB12_884
; %bb.864:
	v_ashrrev_i32_e32 v2, 31, v1
	s_lshl_b64 s[0:1], s[24:25], 1
	v_mov_b32_e32 v3, 0
	s_add_u32 s0, s28, s0
	s_addc_u32 s1, s29, s1
	v_lshlrev_b64 v[4:5], 1, v[1:2]
	s_add_u32 s0, s16, s0
	s_addc_u32 s1, s17, s1
	s_mov_b32 s4, 0
	s_delay_alu instid0(VALU_DEP_1) | instskip(NEXT) | instid1(VALU_DEP_2)
	v_add_co_u32 v4, vcc_lo, s0, v4
	v_add_co_ci_u32_e32 v5, vcc_lo, s1, v5, vcc_lo
	s_lshl_b32 s1, s27, 1
	s_add_u32 s0, s24, s30
	s_addc_u32 s2, s25, s31
	s_add_u32 s0, s0, s34
	s_addc_u32 s2, s2, s33
	;; [unrolled: 2-line block ×3, first 2 shown]
	v_add_co_u32 v10, vcc_lo, s0, v1
	v_add_co_ci_u32_e32 v11, vcc_lo, s2, v2, vcc_lo
	s_mov_b64 s[2:3], 0
	s_branch .LBB12_866
.LBB12_865:                             ;   in Loop: Header=BB12_866 Depth=1
	s_or_b32 exec_lo, exec_lo, s0
	v_add_co_u32 v8, vcc_lo, v10, s2
	s_add_u32 s2, s2, s27
	v_add_co_ci_u32_e32 v9, vcc_lo, s3, v11, vcc_lo
	v_add_nc_u32_e32 v2, s2, v1
	v_add_co_u32 v4, s0, v4, s1
	s_delay_alu instid0(VALU_DEP_1) | instskip(NEXT) | instid1(VALU_DEP_3)
	v_add_co_ci_u32_e64 v5, s0, 0, v5, s0
	v_cmp_le_i32_e32 vcc_lo, s42, v2
	s_addc_u32 s3, s3, 0
	global_store_b8 v[8:9], v7, off
	s_or_b32 s4, vcc_lo, s4
	s_delay_alu instid0(SALU_CYCLE_1)
	s_and_not1_b32 exec_lo, exec_lo, s4
	s_cbranch_execz .LBB12_884
.LBB12_866:                             ; =>This Inner Loop Header: Depth=1
	global_load_u16 v2, v[4:5], off
	s_mov_b32 s0, exec_lo
	v_mov_b32_e32 v14, v3
	s_waitcnt vmcnt(0)
	v_lshlrev_b32_e32 v2, 16, v2
	s_delay_alu instid0(VALU_DEP_1) | instskip(NEXT) | instid1(VALU_DEP_1)
	v_div_scale_f32 v6, null, s40, s40, v2
	v_rcp_f32_e32 v7, v6
	s_waitcnt_depctr 0xfff
	v_fma_f32 v8, -v6, v7, 1.0
	s_delay_alu instid0(VALU_DEP_1) | instskip(SKIP_1) | instid1(VALU_DEP_1)
	v_fmac_f32_e32 v7, v8, v7
	v_div_scale_f32 v8, vcc_lo, v2, s40, v2
	v_mul_f32_e32 v9, v8, v7
	s_delay_alu instid0(VALU_DEP_1) | instskip(NEXT) | instid1(VALU_DEP_1)
	v_fma_f32 v12, -v6, v9, v8
	v_fmac_f32_e32 v9, v12, v7
	s_delay_alu instid0(VALU_DEP_1) | instskip(NEXT) | instid1(VALU_DEP_1)
	v_fma_f32 v6, -v6, v9, v8
	v_div_fmas_f32 v6, v6, v7, v9
	s_delay_alu instid0(VALU_DEP_1) | instskip(NEXT) | instid1(VALU_DEP_1)
	v_div_fixup_f32 v6, v6, s40, v2
	v_lshrrev_b32_e32 v8, 24, v6
	v_and_b32_e32 v13, 0x7f800000, v6
	v_and_b32_e32 v2, 0x7fffff, v6
	s_delay_alu instid0(VALU_DEP_3) | instskip(NEXT) | instid1(VALU_DEP_1)
	v_and_b32_e32 v12, 0x80, v8
	v_or_b32_e32 v7, 0x7e, v12
	s_delay_alu instid0(VALU_DEP_4)
	v_cmpx_ne_u64_e32 0x7f800000, v[13:14]
	s_xor_b32 s5, exec_lo, s0
	s_cbranch_execz .LBB12_882
; %bb.867:                              ;   in Loop: Header=BB12_866 Depth=1
	v_dual_mov_b32 v9, v3 :: v_dual_and_b32 v8, 0x7fffffff, v6
	s_mov_b32 s0, exec_lo
	s_delay_alu instid0(VALU_DEP_1)
	v_cmpx_gt_u64_e32 0x43e00001, v[8:9]
	s_xor_b32 s6, exec_lo, s0
	s_cbranch_execz .LBB12_881
; %bb.868:                              ;   in Loop: Header=BB12_866 Depth=1
	v_mov_b32_e32 v7, 0
	s_mov_b32 s7, exec_lo
	v_cmpx_ne_u32_e32 0, v6
	s_cbranch_execz .LBB12_880
; %bb.869:                              ;   in Loop: Header=BB12_866 Depth=1
	v_bfe_u32 v13, v6, 23, 8
	v_or_b32_e32 v8, 0x800000, v2
	s_delay_alu instid0(VALU_DEP_2) | instskip(SKIP_1) | instid1(VALU_DEP_2)
	v_sub_nc_u32_e32 v6, 0x79, v13
	v_cmp_gt_u32_e32 vcc_lo, 0x7a, v13
	v_cndmask_b32_e32 v6, 0, v6, vcc_lo
	v_cmp_eq_u32_e32 vcc_lo, 0, v13
	s_delay_alu instid0(VALU_DEP_2) | instskip(SKIP_1) | instid1(VALU_DEP_2)
	v_cndmask_b32_e64 v14, v6, 0x78, vcc_lo
	v_cndmask_b32_e32 v2, v8, v2, vcc_lo
	v_add_nc_u32_e32 v6, 20, v14
	v_add_nc_u32_e32 v8, 19, v14
	s_delay_alu instid0(VALU_DEP_2) | instskip(NEXT) | instid1(VALU_DEP_2)
	v_lshlrev_b64 v[6:7], v6, -1
	v_lshlrev_b64 v[8:9], v8, 1
	s_delay_alu instid0(VALU_DEP_2) | instskip(NEXT) | instid1(VALU_DEP_3)
	v_not_b32_e32 v7, v7
	v_not_b32_e32 v6, v6
	s_delay_alu instid0(VALU_DEP_2) | instskip(NEXT) | instid1(VALU_DEP_2)
	v_and_b32_e32 v16, 0, v7
	v_and_b32_e32 v15, v2, v6
	v_lshrrev_b64 v[6:7], v14, v[2:3]
	s_delay_alu instid0(VALU_DEP_2) | instskip(NEXT) | instid1(VALU_DEP_2)
	v_cmp_eq_u64_e64 s0, v[15:16], v[8:9]
	v_dual_mov_b32 v9, v7 :: v_dual_mov_b32 v8, v6
	s_delay_alu instid0(VALU_DEP_2)
	s_and_saveexec_b32 s8, s0
; %bb.870:                              ;   in Loop: Header=BB12_866 Depth=1
	v_bfe_u32 v2, v6, 20, 1
	s_delay_alu instid0(VALU_DEP_1) | instskip(NEXT) | instid1(VALU_DEP_1)
	v_add_co_u32 v2, s0, v6, v2
	v_add_co_u32 v8, s0, v2, -1
; %bb.871:                              ;   in Loop: Header=BB12_866 Depth=1
	s_or_b32 exec_lo, exec_lo, s8
	v_add_nc_u32_e32 v2, 0xffffff81, v13
	v_lshrrev_b32_e32 v9, 23, v6
	s_mov_b32 s0, exec_lo
	s_delay_alu instid0(VALU_DEP_2) | instskip(NEXT) | instid1(VALU_DEP_1)
	v_cndmask_b32_e64 v2, v2, 0xffffff82, vcc_lo
	v_add3_u32 v9, v14, v2, v9
	v_and_b32_e32 v2, 0xfffff, v8
	s_delay_alu instid0(VALU_DEP_2) | instskip(NEXT) | instid1(VALU_DEP_2)
	v_add_nc_u32_e32 v8, 6, v9
	v_add_co_u32 v6, vcc_lo, v2, v6
	v_add_co_ci_u32_e32 v7, vcc_lo, 0, v7, vcc_lo
                                        ; implicit-def: $vgpr2
	s_delay_alu instid0(VALU_DEP_3)
	v_cmpx_ne_u32_e32 0, v8
	s_xor_b32 s0, exec_lo, s0
; %bb.872:                              ;   in Loop: Header=BB12_866 Depth=1
	s_delay_alu instid0(VALU_DEP_2) | instskip(SKIP_1) | instid1(VALU_DEP_1)
	v_cmp_lt_u64_e32 vcc_lo, 0xffffff, v[6:7]
	v_add_nc_u32_e32 v2, 7, v9
	v_cndmask_b32_e32 v2, v8, v2, vcc_lo
	v_cndmask_b32_e64 v8, 0, 1, vcc_lo
	s_delay_alu instid0(VALU_DEP_1)
	v_lshrrev_b64 v[6:7], v8, v[6:7]
; %bb.873:                              ;   in Loop: Header=BB12_866 Depth=1
	s_and_not1_saveexec_b32 s0, s0
; %bb.874:                              ;   in Loop: Header=BB12_866 Depth=1
	s_delay_alu instid0(VALU_DEP_1)
	v_bfe_u32 v2, v6, 23, 1
; %bb.875:                              ;   in Loop: Header=BB12_866 Depth=1
	s_or_b32 exec_lo, exec_lo, s0
	s_delay_alu instid0(VALU_DEP_2) | instskip(NEXT) | instid1(VALU_DEP_2)
	v_lshrrev_b64 v[6:7], 20, v[6:7]
	v_cmp_gt_i32_e32 vcc_lo, 16, v2
	v_cmp_ne_u32_e64 s0, 0, v2
	s_delay_alu instid0(VALU_DEP_3) | instskip(NEXT) | instid1(VALU_DEP_1)
	v_dual_cndmask_b32 v7, 0, v7 :: v_dual_cndmask_b32 v6, 7, v6
	v_cmp_ne_u64_e32 vcc_lo, 0, v[6:7]
                                        ; implicit-def: $vgpr7
	s_delay_alu instid0(VALU_DEP_3) | instskip(NEXT) | instid1(SALU_CYCLE_1)
	s_or_b32 s0, s0, vcc_lo
	s_and_saveexec_b32 s8, s0
	s_delay_alu instid0(SALU_CYCLE_1)
	s_xor_b32 s0, exec_lo, s8
; %bb.876:                              ;   in Loop: Header=BB12_866 Depth=1
	v_min_i32_e32 v2, 15, v2
	s_delay_alu instid0(VALU_DEP_1) | instskip(NEXT) | instid1(VALU_DEP_1)
	v_lshl_or_b32 v2, v2, 3, v12
                                        ; implicit-def: $vgpr12
	v_and_or_b32 v7, v6, 7, v2
; %bb.877:                              ;   in Loop: Header=BB12_866 Depth=1
	s_and_not1_saveexec_b32 s0, s0
; %bb.878:                              ;   in Loop: Header=BB12_866 Depth=1
	v_mov_b32_e32 v7, v12
; %bb.879:                              ;   in Loop: Header=BB12_866 Depth=1
	s_or_b32 exec_lo, exec_lo, s0
.LBB12_880:                             ;   in Loop: Header=BB12_866 Depth=1
	s_delay_alu instid0(SALU_CYCLE_1)
	s_or_b32 exec_lo, exec_lo, s7
.LBB12_881:                             ;   in Loop: Header=BB12_866 Depth=1
	s_and_not1_saveexec_b32 s0, s6
	s_delay_alu instid0(SALU_CYCLE_1)
	s_or_b32 exec_lo, exec_lo, s0
                                        ; implicit-def: $vgpr8
.LBB12_882:                             ;   in Loop: Header=BB12_866 Depth=1
	s_and_not1_saveexec_b32 s0, s5
	s_cbranch_execz .LBB12_865
; %bb.883:                              ;   in Loop: Header=BB12_866 Depth=1
	v_cmp_eq_u64_e32 vcc_lo, 0, v[2:3]
	v_or_b32_e32 v6, 0x7f, v8
	s_delay_alu instid0(VALU_DEP_1)
	v_cndmask_b32_e32 v7, v6, v7, vcc_lo
	s_branch .LBB12_865
.LBB12_884:
	s_or_b32 exec_lo, exec_lo, s43
	s_mov_b32 s0, 0
.LBB12_885:
	s_delay_alu instid0(SALU_CYCLE_1)
	s_and_b32 vcc_lo, exec_lo, s0
	s_cbranch_vccz .LBB12_1034
; %bb.886:
	s_ashr_i32 s1, s39, 3
	s_mov_b32 s2, exec_lo
	v_cmpx_gt_i32_e64 s1, v0
	s_cbranch_execz .LBB12_1033
; %bb.887:
	v_dual_mov_b32 v10, 0 :: v_dual_lshlrev_b32 v1, 3, v0
	s_add_u32 s0, s30, s34
	s_addc_u32 s3, s31, s33
	s_add_u32 s0, s20, s0
	s_addc_u32 s3, s21, s3
	v_add_co_u32 v5, s0, s0, v1
	v_dual_mov_b32 v20, v0 :: v_dual_lshlrev_b32 v1, 4, v0
	v_add_co_ci_u32_e64 v6, null, s3, 0, s0
	s_lshl_b32 s3, s27, 3
	s_add_u32 s0, s16, s28
	s_addc_u32 s4, s17, s29
	v_add_co_u32 v7, s0, s0, v1
	s_delay_alu instid0(VALU_DEP_1)
	v_add_co_ci_u32_e64 v8, null, s4, 0, s0
	s_mov_b32 s4, 0
	s_lshl_b32 s5, s27, 4
	s_branch .LBB12_889
.LBB12_888:                             ;   in Loop: Header=BB12_889 Depth=1
	s_or_b32 exec_lo, exec_lo, s0
	v_lshlrev_b32_e32 v3, 16, v15
	v_lshlrev_b32_e32 v4, 16, v13
	;; [unrolled: 1-line block ×5, first 2 shown]
	v_and_b32_e32 v3, 0xff0000, v3
	v_perm_b32 v1, v1, v4, 0x4020c0c
	v_and_b32_e32 v4, 0xff, v14
	v_and_b32_e32 v11, 0xff, v11
	;; [unrolled: 1-line block ×3, first 2 shown]
	v_or_b32_e32 v3, v9, v3
	v_and_or_b32 v1, 0xff00, v12, v1
	v_add_nc_u32_e32 v20, s27, v20
	s_delay_alu instid0(VALU_DEP_3) | instskip(NEXT) | instid1(VALU_DEP_3)
	v_or3_b32 v2, v3, v2, v4
	v_or_b32_e32 v1, v1, v11
	s_delay_alu instid0(VALU_DEP_3) | instskip(SKIP_2) | instid1(VALU_DEP_1)
	v_cmp_le_i32_e32 vcc_lo, s1, v20
	global_store_b64 v[5:6], v[1:2], off
	v_add_co_u32 v5, s0, v5, s3
	v_add_co_ci_u32_e64 v6, s0, 0, v6, s0
	v_add_co_u32 v7, s0, v7, s5
	s_delay_alu instid0(VALU_DEP_1) | instskip(SKIP_1) | instid1(SALU_CYCLE_1)
	v_add_co_ci_u32_e64 v8, s0, 0, v8, s0
	s_or_b32 s4, vcc_lo, s4
	s_and_not1_b32 exec_lo, exec_lo, s4
	s_cbranch_execz .LBB12_1033
.LBB12_889:                             ; =>This Inner Loop Header: Depth=1
	global_load_b128 v[1:4], v[7:8], off
	s_mov_b32 s0, exec_lo
	s_waitcnt vmcnt(0)
	v_dual_mov_b32 v16, v10 :: v_dual_lshlrev_b32 v9, 16, v1
	s_delay_alu instid0(VALU_DEP_1) | instskip(NEXT) | instid1(VALU_DEP_1)
	v_div_scale_f32 v11, null, s40, s40, v9
	v_rcp_f32_e32 v12, v11
	s_waitcnt_depctr 0xfff
	v_fma_f32 v13, -v11, v12, 1.0
	s_delay_alu instid0(VALU_DEP_1) | instskip(SKIP_1) | instid1(VALU_DEP_1)
	v_fmac_f32_e32 v12, v13, v12
	v_div_scale_f32 v13, vcc_lo, v9, s40, v9
	v_mul_f32_e32 v14, v13, v12
	s_delay_alu instid0(VALU_DEP_1) | instskip(NEXT) | instid1(VALU_DEP_1)
	v_fma_f32 v15, -v11, v14, v13
	v_fmac_f32_e32 v14, v15, v12
	s_delay_alu instid0(VALU_DEP_1) | instskip(NEXT) | instid1(VALU_DEP_1)
	v_fma_f32 v11, -v11, v14, v13
	v_div_fmas_f32 v11, v11, v12, v14
	s_delay_alu instid0(VALU_DEP_1) | instskip(NEXT) | instid1(VALU_DEP_1)
	v_div_fixup_f32 v14, v11, s40, v9
	v_lshrrev_b32_e32 v12, 24, v14
	v_and_b32_e32 v15, 0x7f800000, v14
	v_and_b32_e32 v9, 0x7fffff, v14
	s_delay_alu instid0(VALU_DEP_3) | instskip(NEXT) | instid1(VALU_DEP_1)
	v_and_b32_e32 v13, 0x80, v12
	v_or_b32_e32 v11, 0x7e, v13
	s_delay_alu instid0(VALU_DEP_4)
	v_cmpx_ne_u64_e32 0x7f800000, v[15:16]
	s_xor_b32 s6, exec_lo, s0
	s_cbranch_execz .LBB12_905
; %bb.890:                              ;   in Loop: Header=BB12_889 Depth=1
	v_dual_mov_b32 v16, v10 :: v_dual_and_b32 v15, 0x7fffffff, v14
	s_mov_b32 s0, exec_lo
	s_delay_alu instid0(VALU_DEP_1)
	v_cmpx_gt_u64_e32 0x43e00001, v[15:16]
	s_xor_b32 s7, exec_lo, s0
	s_cbranch_execz .LBB12_904
; %bb.891:                              ;   in Loop: Header=BB12_889 Depth=1
	s_mov_b32 s8, exec_lo
	v_mov_b32_e32 v11, 0
	v_mov_b32_e32 v12, 0
	v_cmpx_ne_u32_e32 0, v14
	s_cbranch_execz .LBB12_903
; %bb.892:                              ;   in Loop: Header=BB12_889 Depth=1
	v_bfe_u32 v16, v14, 23, 8
	v_or_b32_e32 v14, 0x800000, v9
	s_delay_alu instid0(VALU_DEP_2) | instskip(SKIP_1) | instid1(VALU_DEP_2)
	v_sub_nc_u32_e32 v11, 0x79, v16
	v_cmp_gt_u32_e32 vcc_lo, 0x7a, v16
	v_cndmask_b32_e32 v11, 0, v11, vcc_lo
	v_cmp_eq_u32_e32 vcc_lo, 0, v16
	s_delay_alu instid0(VALU_DEP_2) | instskip(SKIP_1) | instid1(VALU_DEP_2)
	v_cndmask_b32_e64 v17, v11, 0x78, vcc_lo
	v_cndmask_b32_e32 v9, v14, v9, vcc_lo
	v_add_nc_u32_e32 v11, 20, v17
	v_add_nc_u32_e32 v14, 19, v17
	s_delay_alu instid0(VALU_DEP_2) | instskip(NEXT) | instid1(VALU_DEP_2)
	v_lshlrev_b64 v[11:12], v11, -1
	v_lshlrev_b64 v[14:15], v14, 1
	s_delay_alu instid0(VALU_DEP_2) | instskip(NEXT) | instid1(VALU_DEP_3)
	v_not_b32_e32 v12, v12
	v_not_b32_e32 v11, v11
	s_delay_alu instid0(VALU_DEP_2) | instskip(NEXT) | instid1(VALU_DEP_2)
	v_and_b32_e32 v19, 0, v12
	v_and_b32_e32 v18, v9, v11
	v_lshrrev_b64 v[11:12], v17, v[9:10]
	s_delay_alu instid0(VALU_DEP_2) | instskip(NEXT) | instid1(VALU_DEP_2)
	v_cmp_eq_u64_e64 s0, v[18:19], v[14:15]
	v_dual_mov_b32 v15, v12 :: v_dual_mov_b32 v14, v11
	s_delay_alu instid0(VALU_DEP_2)
	s_and_saveexec_b32 s9, s0
; %bb.893:                              ;   in Loop: Header=BB12_889 Depth=1
	v_bfe_u32 v9, v11, 20, 1
	s_delay_alu instid0(VALU_DEP_1) | instskip(NEXT) | instid1(VALU_DEP_1)
	v_add_co_u32 v9, s0, v11, v9
	v_add_co_u32 v14, s0, v9, -1
; %bb.894:                              ;   in Loop: Header=BB12_889 Depth=1
	s_or_b32 exec_lo, exec_lo, s9
	v_add_nc_u32_e32 v9, 0xffffff81, v16
	v_lshrrev_b32_e32 v15, 23, v11
	s_mov_b32 s0, exec_lo
	s_delay_alu instid0(VALU_DEP_2) | instskip(NEXT) | instid1(VALU_DEP_1)
	v_cndmask_b32_e64 v9, v9, 0xffffff82, vcc_lo
	v_add3_u32 v15, v17, v9, v15
	v_and_b32_e32 v9, 0xfffff, v14
	s_delay_alu instid0(VALU_DEP_2) | instskip(NEXT) | instid1(VALU_DEP_2)
	v_add_nc_u32_e32 v14, 6, v15
	v_add_co_u32 v11, vcc_lo, v9, v11
	v_add_co_ci_u32_e32 v12, vcc_lo, 0, v12, vcc_lo
                                        ; implicit-def: $vgpr9
	s_delay_alu instid0(VALU_DEP_3)
	v_cmpx_ne_u32_e32 0, v14
	s_xor_b32 s0, exec_lo, s0
; %bb.895:                              ;   in Loop: Header=BB12_889 Depth=1
	s_delay_alu instid0(VALU_DEP_2) | instskip(SKIP_1) | instid1(VALU_DEP_1)
	v_cmp_lt_u64_e32 vcc_lo, 0xffffff, v[11:12]
	v_add_nc_u32_e32 v9, 7, v15
	v_cndmask_b32_e32 v9, v14, v9, vcc_lo
	v_cndmask_b32_e64 v14, 0, 1, vcc_lo
	s_delay_alu instid0(VALU_DEP_1)
	v_lshrrev_b64 v[11:12], v14, v[11:12]
; %bb.896:                              ;   in Loop: Header=BB12_889 Depth=1
	s_and_not1_saveexec_b32 s0, s0
; %bb.897:                              ;   in Loop: Header=BB12_889 Depth=1
	s_delay_alu instid0(VALU_DEP_1)
	v_bfe_u32 v9, v11, 23, 1
; %bb.898:                              ;   in Loop: Header=BB12_889 Depth=1
	s_or_b32 exec_lo, exec_lo, s0
	s_delay_alu instid0(VALU_DEP_2) | instskip(NEXT) | instid1(VALU_DEP_2)
	v_lshrrev_b64 v[11:12], 20, v[11:12]
	v_cmp_gt_i32_e32 vcc_lo, 16, v9
	v_cmp_ne_u32_e64 s0, 0, v9
	s_delay_alu instid0(VALU_DEP_3) | instskip(NEXT) | instid1(VALU_DEP_1)
	v_dual_cndmask_b32 v15, 0, v12 :: v_dual_cndmask_b32 v14, 7, v11
                                        ; implicit-def: $vgpr11_vgpr12
	v_cmp_ne_u64_e32 vcc_lo, 0, v[14:15]
	s_delay_alu instid0(VALU_DEP_3) | instskip(NEXT) | instid1(SALU_CYCLE_1)
	s_or_b32 s0, s0, vcc_lo
	s_and_saveexec_b32 s9, s0
	s_delay_alu instid0(SALU_CYCLE_1)
	s_xor_b32 s0, exec_lo, s9
; %bb.899:                              ;   in Loop: Header=BB12_889 Depth=1
	v_min_i32_e32 v9, 15, v9
	s_delay_alu instid0(VALU_DEP_1) | instskip(NEXT) | instid1(VALU_DEP_1)
	v_lshl_or_b32 v9, v9, 3, v13
                                        ; implicit-def: $vgpr13
	v_and_or_b32 v11, v14, 7, v9
; %bb.900:                              ;   in Loop: Header=BB12_889 Depth=1
	s_and_not1_saveexec_b32 s0, s0
; %bb.901:                              ;   in Loop: Header=BB12_889 Depth=1
	v_dual_mov_b32 v11, v13 :: v_dual_mov_b32 v12, v14
; %bb.902:                              ;   in Loop: Header=BB12_889 Depth=1
	s_or_b32 exec_lo, exec_lo, s0
.LBB12_903:                             ;   in Loop: Header=BB12_889 Depth=1
	s_delay_alu instid0(SALU_CYCLE_1)
	s_or_b32 exec_lo, exec_lo, s8
.LBB12_904:                             ;   in Loop: Header=BB12_889 Depth=1
	s_and_not1_saveexec_b32 s0, s7
	s_delay_alu instid0(SALU_CYCLE_1)
	s_or_b32 exec_lo, exec_lo, s0
                                        ; implicit-def: $vgpr12
.LBB12_905:                             ;   in Loop: Header=BB12_889 Depth=1
	s_and_not1_saveexec_b32 s0, s6
; %bb.906:                              ;   in Loop: Header=BB12_889 Depth=1
	v_cmp_eq_u64_e32 vcc_lo, 0, v[9:10]
	v_or_b32_e32 v12, 0x7f, v12
	s_delay_alu instid0(VALU_DEP_1)
	v_cndmask_b32_e32 v11, v12, v11, vcc_lo
; %bb.907:                              ;   in Loop: Header=BB12_889 Depth=1
	s_or_b32 exec_lo, exec_lo, s0
	v_and_b32_e32 v1, 0xffff0000, v1
	s_mov_b32 s0, exec_lo
	v_mov_b32_e32 v16, v10
	s_delay_alu instid0(VALU_DEP_2) | instskip(NEXT) | instid1(VALU_DEP_1)
	v_div_scale_f32 v9, null, s40, s40, v1
	v_rcp_f32_e32 v12, v9
	s_waitcnt_depctr 0xfff
	v_fma_f32 v13, -v9, v12, 1.0
	s_delay_alu instid0(VALU_DEP_1) | instskip(SKIP_1) | instid1(VALU_DEP_1)
	v_fmac_f32_e32 v12, v13, v12
	v_div_scale_f32 v13, vcc_lo, v1, s40, v1
	v_mul_f32_e32 v14, v13, v12
	s_delay_alu instid0(VALU_DEP_1) | instskip(NEXT) | instid1(VALU_DEP_1)
	v_fma_f32 v15, -v9, v14, v13
	v_fmac_f32_e32 v14, v15, v12
	s_delay_alu instid0(VALU_DEP_1) | instskip(NEXT) | instid1(VALU_DEP_1)
	v_fma_f32 v9, -v9, v14, v13
	v_div_fmas_f32 v9, v9, v12, v14
	s_delay_alu instid0(VALU_DEP_1) | instskip(NEXT) | instid1(VALU_DEP_1)
	v_div_fixup_f32 v14, v9, s40, v1
	v_lshrrev_b32_e32 v13, 24, v14
	v_and_b32_e32 v15, 0x7f800000, v14
	v_and_b32_e32 v9, 0x7fffff, v14
	s_delay_alu instid0(VALU_DEP_3) | instskip(NEXT) | instid1(VALU_DEP_1)
	v_and_b32_e32 v1, 0x80, v13
	v_or_b32_e32 v12, 0x7e, v1
	s_delay_alu instid0(VALU_DEP_4)
	v_cmpx_ne_u64_e32 0x7f800000, v[15:16]
	s_xor_b32 s6, exec_lo, s0
	s_cbranch_execz .LBB12_923
; %bb.908:                              ;   in Loop: Header=BB12_889 Depth=1
	v_dual_mov_b32 v16, v10 :: v_dual_and_b32 v15, 0x7fffffff, v14
	s_mov_b32 s0, exec_lo
	s_delay_alu instid0(VALU_DEP_1)
	v_cmpx_gt_u64_e32 0x43e00001, v[15:16]
	s_xor_b32 s7, exec_lo, s0
	s_cbranch_execz .LBB12_922
; %bb.909:                              ;   in Loop: Header=BB12_889 Depth=1
	s_mov_b32 s8, exec_lo
	v_mov_b32_e32 v12, 0
	v_mov_b32_e32 v13, 0
	v_cmpx_ne_u32_e32 0, v14
	s_cbranch_execz .LBB12_921
; %bb.910:                              ;   in Loop: Header=BB12_889 Depth=1
	v_bfe_u32 v16, v14, 23, 8
	v_or_b32_e32 v14, 0x800000, v9
	s_delay_alu instid0(VALU_DEP_2) | instskip(SKIP_1) | instid1(VALU_DEP_2)
	v_sub_nc_u32_e32 v12, 0x79, v16
	v_cmp_gt_u32_e32 vcc_lo, 0x7a, v16
	v_cndmask_b32_e32 v12, 0, v12, vcc_lo
	v_cmp_eq_u32_e32 vcc_lo, 0, v16
	v_cndmask_b32_e32 v9, v14, v9, vcc_lo
	s_delay_alu instid0(VALU_DEP_3) | instskip(NEXT) | instid1(VALU_DEP_1)
	v_cndmask_b32_e64 v17, v12, 0x78, vcc_lo
	v_add_nc_u32_e32 v12, 20, v17
	v_add_nc_u32_e32 v14, 19, v17
	s_delay_alu instid0(VALU_DEP_2) | instskip(NEXT) | instid1(VALU_DEP_2)
	v_lshlrev_b64 v[12:13], v12, -1
	v_lshlrev_b64 v[14:15], v14, 1
	s_delay_alu instid0(VALU_DEP_2) | instskip(NEXT) | instid1(VALU_DEP_3)
	v_not_b32_e32 v13, v13
	v_not_b32_e32 v12, v12
	s_delay_alu instid0(VALU_DEP_2) | instskip(NEXT) | instid1(VALU_DEP_2)
	v_and_b32_e32 v19, 0, v13
	v_and_b32_e32 v18, v9, v12
	v_lshrrev_b64 v[12:13], v17, v[9:10]
	s_delay_alu instid0(VALU_DEP_2) | instskip(NEXT) | instid1(VALU_DEP_2)
	v_cmp_eq_u64_e64 s0, v[18:19], v[14:15]
	v_dual_mov_b32 v15, v13 :: v_dual_mov_b32 v14, v12
	s_delay_alu instid0(VALU_DEP_2)
	s_and_saveexec_b32 s9, s0
; %bb.911:                              ;   in Loop: Header=BB12_889 Depth=1
	v_bfe_u32 v9, v12, 20, 1
	s_delay_alu instid0(VALU_DEP_1) | instskip(NEXT) | instid1(VALU_DEP_1)
	v_add_co_u32 v9, s0, v12, v9
	v_add_co_u32 v14, s0, v9, -1
; %bb.912:                              ;   in Loop: Header=BB12_889 Depth=1
	s_or_b32 exec_lo, exec_lo, s9
	v_add_nc_u32_e32 v9, 0xffffff81, v16
	v_lshrrev_b32_e32 v15, 23, v12
	s_mov_b32 s0, exec_lo
	s_delay_alu instid0(VALU_DEP_2) | instskip(NEXT) | instid1(VALU_DEP_1)
	v_cndmask_b32_e64 v9, v9, 0xffffff82, vcc_lo
	v_add3_u32 v15, v17, v9, v15
	v_and_b32_e32 v9, 0xfffff, v14
	s_delay_alu instid0(VALU_DEP_2) | instskip(NEXT) | instid1(VALU_DEP_2)
	v_add_nc_u32_e32 v14, 6, v15
	v_add_co_u32 v12, vcc_lo, v9, v12
	v_add_co_ci_u32_e32 v13, vcc_lo, 0, v13, vcc_lo
                                        ; implicit-def: $vgpr9
	s_delay_alu instid0(VALU_DEP_3)
	v_cmpx_ne_u32_e32 0, v14
	s_xor_b32 s0, exec_lo, s0
; %bb.913:                              ;   in Loop: Header=BB12_889 Depth=1
	s_delay_alu instid0(VALU_DEP_2) | instskip(SKIP_1) | instid1(VALU_DEP_1)
	v_cmp_lt_u64_e32 vcc_lo, 0xffffff, v[12:13]
	v_add_nc_u32_e32 v9, 7, v15
	v_cndmask_b32_e32 v9, v14, v9, vcc_lo
	v_cndmask_b32_e64 v14, 0, 1, vcc_lo
	s_delay_alu instid0(VALU_DEP_1)
	v_lshrrev_b64 v[12:13], v14, v[12:13]
; %bb.914:                              ;   in Loop: Header=BB12_889 Depth=1
	s_and_not1_saveexec_b32 s0, s0
; %bb.915:                              ;   in Loop: Header=BB12_889 Depth=1
	s_delay_alu instid0(VALU_DEP_1)
	v_bfe_u32 v9, v12, 23, 1
; %bb.916:                              ;   in Loop: Header=BB12_889 Depth=1
	s_or_b32 exec_lo, exec_lo, s0
	s_delay_alu instid0(VALU_DEP_2) | instskip(NEXT) | instid1(VALU_DEP_2)
	v_lshrrev_b64 v[12:13], 20, v[12:13]
	v_cmp_gt_i32_e32 vcc_lo, 16, v9
	v_cmp_ne_u32_e64 s0, 0, v9
	s_delay_alu instid0(VALU_DEP_3) | instskip(NEXT) | instid1(VALU_DEP_1)
	v_dual_cndmask_b32 v15, 0, v13 :: v_dual_cndmask_b32 v14, 7, v12
                                        ; implicit-def: $vgpr12_vgpr13
	v_cmp_ne_u64_e32 vcc_lo, 0, v[14:15]
	s_delay_alu instid0(VALU_DEP_3) | instskip(NEXT) | instid1(SALU_CYCLE_1)
	s_or_b32 s0, s0, vcc_lo
	s_and_saveexec_b32 s9, s0
	s_delay_alu instid0(SALU_CYCLE_1)
	s_xor_b32 s0, exec_lo, s9
; %bb.917:                              ;   in Loop: Header=BB12_889 Depth=1
	v_min_i32_e32 v9, 15, v9
	s_delay_alu instid0(VALU_DEP_1) | instskip(NEXT) | instid1(VALU_DEP_1)
	v_lshl_or_b32 v1, v9, 3, v1
	v_and_or_b32 v12, v14, 7, v1
                                        ; implicit-def: $vgpr1
; %bb.918:                              ;   in Loop: Header=BB12_889 Depth=1
	s_and_not1_saveexec_b32 s0, s0
; %bb.919:                              ;   in Loop: Header=BB12_889 Depth=1
	v_dual_mov_b32 v13, v2 :: v_dual_mov_b32 v12, v1
; %bb.920:                              ;   in Loop: Header=BB12_889 Depth=1
	s_or_b32 exec_lo, exec_lo, s0
.LBB12_921:                             ;   in Loop: Header=BB12_889 Depth=1
	s_delay_alu instid0(SALU_CYCLE_1)
	s_or_b32 exec_lo, exec_lo, s8
.LBB12_922:                             ;   in Loop: Header=BB12_889 Depth=1
	s_and_not1_saveexec_b32 s0, s7
	s_delay_alu instid0(SALU_CYCLE_1)
	s_or_b32 exec_lo, exec_lo, s0
                                        ; implicit-def: $vgpr13
.LBB12_923:                             ;   in Loop: Header=BB12_889 Depth=1
	s_and_not1_saveexec_b32 s0, s6
; %bb.924:                              ;   in Loop: Header=BB12_889 Depth=1
	v_cmp_eq_u64_e32 vcc_lo, 0, v[9:10]
	v_or_b32_e32 v1, 0x7f, v13
	s_delay_alu instid0(VALU_DEP_1)
	v_cndmask_b32_e32 v12, v1, v12, vcc_lo
; %bb.925:                              ;   in Loop: Header=BB12_889 Depth=1
	s_or_b32 exec_lo, exec_lo, s0
	v_lshlrev_b32_e32 v1, 16, v2
	v_mov_b32_e32 v17, v10
	s_mov_b32 s0, exec_lo
	s_delay_alu instid0(VALU_DEP_2) | instskip(NEXT) | instid1(VALU_DEP_1)
	v_div_scale_f32 v9, null, s40, s40, v1
	v_rcp_f32_e32 v13, v9
	s_waitcnt_depctr 0xfff
	v_fma_f32 v14, -v9, v13, 1.0
	s_delay_alu instid0(VALU_DEP_1) | instskip(SKIP_1) | instid1(VALU_DEP_1)
	v_fmac_f32_e32 v13, v14, v13
	v_div_scale_f32 v14, vcc_lo, v1, s40, v1
	v_mul_f32_e32 v15, v14, v13
	s_delay_alu instid0(VALU_DEP_1) | instskip(NEXT) | instid1(VALU_DEP_1)
	v_fma_f32 v16, -v9, v15, v14
	v_fmac_f32_e32 v15, v16, v13
	s_delay_alu instid0(VALU_DEP_1) | instskip(NEXT) | instid1(VALU_DEP_1)
	v_fma_f32 v9, -v9, v15, v14
	v_div_fmas_f32 v9, v9, v13, v15
	s_delay_alu instid0(VALU_DEP_1) | instskip(NEXT) | instid1(VALU_DEP_1)
	v_div_fixup_f32 v15, v9, s40, v1
	v_and_b32_e32 v16, 0x7f800000, v15
	v_lshrrev_b32_e32 v14, 24, v15
	v_and_b32_e32 v9, 0x7fffff, v15
	s_delay_alu instid0(VALU_DEP_2) | instskip(NEXT) | instid1(VALU_DEP_1)
	v_and_b32_e32 v1, 0x80, v14
	v_or_b32_e32 v13, 0x7e, v1
	v_cmpx_ne_u64_e32 0x7f800000, v[16:17]
	s_xor_b32 s6, exec_lo, s0
	s_cbranch_execz .LBB12_941
; %bb.926:                              ;   in Loop: Header=BB12_889 Depth=1
	v_dual_mov_b32 v17, v10 :: v_dual_and_b32 v16, 0x7fffffff, v15
	s_mov_b32 s0, exec_lo
	s_delay_alu instid0(VALU_DEP_1)
	v_cmpx_gt_u64_e32 0x43e00001, v[16:17]
	s_xor_b32 s7, exec_lo, s0
	s_cbranch_execz .LBB12_940
; %bb.927:                              ;   in Loop: Header=BB12_889 Depth=1
	s_mov_b32 s8, exec_lo
	v_mov_b32_e32 v13, 0
	v_mov_b32_e32 v14, 0
	v_cmpx_ne_u32_e32 0, v15
	s_cbranch_execz .LBB12_939
; %bb.928:                              ;   in Loop: Header=BB12_889 Depth=1
	v_bfe_u32 v17, v15, 23, 8
	v_or_b32_e32 v15, 0x800000, v9
	s_delay_alu instid0(VALU_DEP_2) | instskip(SKIP_1) | instid1(VALU_DEP_2)
	v_sub_nc_u32_e32 v13, 0x79, v17
	v_cmp_gt_u32_e32 vcc_lo, 0x7a, v17
	v_cndmask_b32_e32 v13, 0, v13, vcc_lo
	v_cmp_eq_u32_e32 vcc_lo, 0, v17
	s_delay_alu instid0(VALU_DEP_2) | instskip(SKIP_1) | instid1(VALU_DEP_2)
	v_cndmask_b32_e64 v18, v13, 0x78, vcc_lo
	v_cndmask_b32_e32 v9, v15, v9, vcc_lo
	v_add_nc_u32_e32 v13, 20, v18
	v_add_nc_u32_e32 v15, 19, v18
	s_delay_alu instid0(VALU_DEP_2) | instskip(NEXT) | instid1(VALU_DEP_2)
	v_lshlrev_b64 v[13:14], v13, -1
	v_lshlrev_b64 v[15:16], v15, 1
	s_delay_alu instid0(VALU_DEP_2) | instskip(NEXT) | instid1(VALU_DEP_3)
	v_not_b32_e32 v14, v14
	v_not_b32_e32 v13, v13
	s_delay_alu instid0(VALU_DEP_2) | instskip(NEXT) | instid1(VALU_DEP_2)
	v_and_b32_e32 v22, 0, v14
	v_and_b32_e32 v21, v9, v13
	v_lshrrev_b64 v[13:14], v18, v[9:10]
	s_delay_alu instid0(VALU_DEP_2) | instskip(NEXT) | instid1(VALU_DEP_2)
	v_cmp_eq_u64_e64 s0, v[21:22], v[15:16]
	v_dual_mov_b32 v16, v14 :: v_dual_mov_b32 v15, v13
	s_delay_alu instid0(VALU_DEP_2)
	s_and_saveexec_b32 s9, s0
; %bb.929:                              ;   in Loop: Header=BB12_889 Depth=1
	v_bfe_u32 v9, v13, 20, 1
	s_delay_alu instid0(VALU_DEP_1) | instskip(NEXT) | instid1(VALU_DEP_1)
	v_add_co_u32 v9, s0, v13, v9
	v_add_co_u32 v15, s0, v9, -1
; %bb.930:                              ;   in Loop: Header=BB12_889 Depth=1
	s_or_b32 exec_lo, exec_lo, s9
	v_add_nc_u32_e32 v9, 0xffffff81, v17
	v_lshrrev_b32_e32 v16, 23, v13
	s_mov_b32 s0, exec_lo
	s_delay_alu instid0(VALU_DEP_2) | instskip(NEXT) | instid1(VALU_DEP_1)
	v_cndmask_b32_e64 v9, v9, 0xffffff82, vcc_lo
	v_add3_u32 v16, v18, v9, v16
	v_and_b32_e32 v9, 0xfffff, v15
	s_delay_alu instid0(VALU_DEP_2) | instskip(NEXT) | instid1(VALU_DEP_2)
	v_add_nc_u32_e32 v15, 6, v16
	v_add_co_u32 v13, vcc_lo, v9, v13
	v_add_co_ci_u32_e32 v14, vcc_lo, 0, v14, vcc_lo
                                        ; implicit-def: $vgpr9
	s_delay_alu instid0(VALU_DEP_3)
	v_cmpx_ne_u32_e32 0, v15
	s_xor_b32 s0, exec_lo, s0
; %bb.931:                              ;   in Loop: Header=BB12_889 Depth=1
	s_delay_alu instid0(VALU_DEP_2) | instskip(SKIP_1) | instid1(VALU_DEP_1)
	v_cmp_lt_u64_e32 vcc_lo, 0xffffff, v[13:14]
	v_add_nc_u32_e32 v9, 7, v16
	v_cndmask_b32_e32 v9, v15, v9, vcc_lo
	v_cndmask_b32_e64 v15, 0, 1, vcc_lo
	s_delay_alu instid0(VALU_DEP_1)
	v_lshrrev_b64 v[13:14], v15, v[13:14]
; %bb.932:                              ;   in Loop: Header=BB12_889 Depth=1
	s_and_not1_saveexec_b32 s0, s0
; %bb.933:                              ;   in Loop: Header=BB12_889 Depth=1
	s_delay_alu instid0(VALU_DEP_1)
	v_bfe_u32 v9, v13, 23, 1
; %bb.934:                              ;   in Loop: Header=BB12_889 Depth=1
	s_or_b32 exec_lo, exec_lo, s0
	s_delay_alu instid0(VALU_DEP_2) | instskip(NEXT) | instid1(VALU_DEP_2)
	v_lshrrev_b64 v[13:14], 20, v[13:14]
	v_cmp_gt_i32_e32 vcc_lo, 16, v9
	v_cmp_ne_u32_e64 s0, 0, v9
	s_delay_alu instid0(VALU_DEP_3) | instskip(NEXT) | instid1(VALU_DEP_1)
	v_dual_cndmask_b32 v16, 0, v14 :: v_dual_cndmask_b32 v15, 7, v13
                                        ; implicit-def: $vgpr13_vgpr14
	v_cmp_ne_u64_e32 vcc_lo, 0, v[15:16]
	s_delay_alu instid0(VALU_DEP_3) | instskip(NEXT) | instid1(SALU_CYCLE_1)
	s_or_b32 s0, s0, vcc_lo
	s_and_saveexec_b32 s9, s0
	s_delay_alu instid0(SALU_CYCLE_1)
	s_xor_b32 s0, exec_lo, s9
; %bb.935:                              ;   in Loop: Header=BB12_889 Depth=1
	v_min_i32_e32 v9, 15, v9
	s_delay_alu instid0(VALU_DEP_1) | instskip(NEXT) | instid1(VALU_DEP_1)
	v_lshl_or_b32 v1, v9, 3, v1
	v_and_or_b32 v13, v15, 7, v1
                                        ; implicit-def: $vgpr1
; %bb.936:                              ;   in Loop: Header=BB12_889 Depth=1
	s_and_not1_saveexec_b32 s0, s0
; %bb.937:                              ;   in Loop: Header=BB12_889 Depth=1
	v_dual_mov_b32 v14, v2 :: v_dual_mov_b32 v13, v1
; %bb.938:                              ;   in Loop: Header=BB12_889 Depth=1
	s_or_b32 exec_lo, exec_lo, s0
.LBB12_939:                             ;   in Loop: Header=BB12_889 Depth=1
	s_delay_alu instid0(SALU_CYCLE_1)
	s_or_b32 exec_lo, exec_lo, s8
.LBB12_940:                             ;   in Loop: Header=BB12_889 Depth=1
	s_and_not1_saveexec_b32 s0, s7
	s_delay_alu instid0(SALU_CYCLE_1)
	s_or_b32 exec_lo, exec_lo, s0
                                        ; implicit-def: $vgpr14
.LBB12_941:                             ;   in Loop: Header=BB12_889 Depth=1
	s_and_not1_saveexec_b32 s0, s6
; %bb.942:                              ;   in Loop: Header=BB12_889 Depth=1
	v_cmp_eq_u64_e32 vcc_lo, 0, v[9:10]
	v_or_b32_e32 v1, 0x7f, v14
	s_delay_alu instid0(VALU_DEP_1)
	v_cndmask_b32_e32 v13, v1, v13, vcc_lo
; %bb.943:                              ;   in Loop: Header=BB12_889 Depth=1
	s_or_b32 exec_lo, exec_lo, s0
	v_and_b32_e32 v1, 0xffff0000, v2
	v_mov_b32_e32 v17, v10
	s_mov_b32 s0, exec_lo
	s_delay_alu instid0(VALU_DEP_2) | instskip(NEXT) | instid1(VALU_DEP_1)
	v_div_scale_f32 v2, null, s40, s40, v1
	v_rcp_f32_e32 v9, v2
	s_waitcnt_depctr 0xfff
	v_fma_f32 v14, -v2, v9, 1.0
	s_delay_alu instid0(VALU_DEP_1) | instskip(SKIP_1) | instid1(VALU_DEP_1)
	v_fmac_f32_e32 v9, v14, v9
	v_div_scale_f32 v14, vcc_lo, v1, s40, v1
	v_mul_f32_e32 v15, v14, v9
	s_delay_alu instid0(VALU_DEP_1) | instskip(NEXT) | instid1(VALU_DEP_1)
	v_fma_f32 v16, -v2, v15, v14
	v_fmac_f32_e32 v15, v16, v9
	s_delay_alu instid0(VALU_DEP_1) | instskip(NEXT) | instid1(VALU_DEP_1)
	v_fma_f32 v2, -v2, v15, v14
	v_div_fmas_f32 v2, v2, v9, v15
	s_delay_alu instid0(VALU_DEP_1) | instskip(NEXT) | instid1(VALU_DEP_1)
	v_div_fixup_f32 v15, v2, s40, v1
	v_lshrrev_b32_e32 v2, 24, v15
	v_and_b32_e32 v16, 0x7f800000, v15
	v_and_b32_e32 v9, 0x7fffff, v15
	s_delay_alu instid0(VALU_DEP_3) | instskip(NEXT) | instid1(VALU_DEP_1)
	v_and_b32_e32 v14, 0x80, v2
	v_or_b32_e32 v1, 0x7e, v14
	s_delay_alu instid0(VALU_DEP_4)
	v_cmpx_ne_u64_e32 0x7f800000, v[16:17]
	s_xor_b32 s6, exec_lo, s0
	s_cbranch_execz .LBB12_959
; %bb.944:                              ;   in Loop: Header=BB12_889 Depth=1
	v_dual_mov_b32 v17, v10 :: v_dual_and_b32 v16, 0x7fffffff, v15
	s_mov_b32 s0, exec_lo
	s_delay_alu instid0(VALU_DEP_1)
	v_cmpx_gt_u64_e32 0x43e00001, v[16:17]
	s_xor_b32 s7, exec_lo, s0
	s_cbranch_execz .LBB12_958
; %bb.945:                              ;   in Loop: Header=BB12_889 Depth=1
	s_mov_b32 s8, exec_lo
	v_mov_b32_e32 v1, 0
	v_mov_b32_e32 v2, 0
	v_cmpx_ne_u32_e32 0, v15
	s_cbranch_execz .LBB12_957
; %bb.946:                              ;   in Loop: Header=BB12_889 Depth=1
	v_bfe_u32 v17, v15, 23, 8
	v_or_b32_e32 v15, 0x800000, v9
	s_delay_alu instid0(VALU_DEP_2) | instskip(SKIP_1) | instid1(VALU_DEP_2)
	v_sub_nc_u32_e32 v1, 0x79, v17
	v_cmp_gt_u32_e32 vcc_lo, 0x7a, v17
	v_cndmask_b32_e32 v1, 0, v1, vcc_lo
	v_cmp_eq_u32_e32 vcc_lo, 0, v17
	s_delay_alu instid0(VALU_DEP_2) | instskip(SKIP_1) | instid1(VALU_DEP_2)
	v_cndmask_b32_e64 v18, v1, 0x78, vcc_lo
	v_cndmask_b32_e32 v9, v15, v9, vcc_lo
	v_add_nc_u32_e32 v1, 20, v18
	v_add_nc_u32_e32 v15, 19, v18
	s_delay_alu instid0(VALU_DEP_2) | instskip(NEXT) | instid1(VALU_DEP_2)
	v_lshlrev_b64 v[1:2], v1, -1
	v_lshlrev_b64 v[15:16], v15, 1
	s_delay_alu instid0(VALU_DEP_2) | instskip(NEXT) | instid1(VALU_DEP_3)
	v_not_b32_e32 v2, v2
	v_not_b32_e32 v1, v1
	s_delay_alu instid0(VALU_DEP_2) | instskip(NEXT) | instid1(VALU_DEP_2)
	v_and_b32_e32 v22, 0, v2
	v_and_b32_e32 v21, v9, v1
	v_lshrrev_b64 v[1:2], v18, v[9:10]
	s_delay_alu instid0(VALU_DEP_2) | instskip(NEXT) | instid1(VALU_DEP_2)
	v_cmp_eq_u64_e64 s0, v[21:22], v[15:16]
	v_dual_mov_b32 v16, v2 :: v_dual_mov_b32 v15, v1
	s_delay_alu instid0(VALU_DEP_2)
	s_and_saveexec_b32 s9, s0
; %bb.947:                              ;   in Loop: Header=BB12_889 Depth=1
	v_bfe_u32 v9, v1, 20, 1
	s_delay_alu instid0(VALU_DEP_1) | instskip(NEXT) | instid1(VALU_DEP_1)
	v_add_co_u32 v9, s0, v1, v9
	v_add_co_u32 v15, s0, v9, -1
; %bb.948:                              ;   in Loop: Header=BB12_889 Depth=1
	s_or_b32 exec_lo, exec_lo, s9
	v_add_nc_u32_e32 v9, 0xffffff81, v17
	v_lshrrev_b32_e32 v16, 23, v1
	s_mov_b32 s0, exec_lo
	s_delay_alu instid0(VALU_DEP_2) | instskip(NEXT) | instid1(VALU_DEP_1)
	v_cndmask_b32_e64 v9, v9, 0xffffff82, vcc_lo
	v_add3_u32 v16, v18, v9, v16
	v_and_b32_e32 v9, 0xfffff, v15
	s_delay_alu instid0(VALU_DEP_2) | instskip(NEXT) | instid1(VALU_DEP_2)
	v_add_nc_u32_e32 v15, 6, v16
	v_add_co_u32 v1, vcc_lo, v9, v1
	v_add_co_ci_u32_e32 v2, vcc_lo, 0, v2, vcc_lo
                                        ; implicit-def: $vgpr9
	s_delay_alu instid0(VALU_DEP_3)
	v_cmpx_ne_u32_e32 0, v15
	s_xor_b32 s0, exec_lo, s0
; %bb.949:                              ;   in Loop: Header=BB12_889 Depth=1
	s_delay_alu instid0(VALU_DEP_2) | instskip(SKIP_1) | instid1(VALU_DEP_1)
	v_cmp_lt_u64_e32 vcc_lo, 0xffffff, v[1:2]
	v_add_nc_u32_e32 v9, 7, v16
	v_cndmask_b32_e32 v9, v15, v9, vcc_lo
	v_cndmask_b32_e64 v15, 0, 1, vcc_lo
	s_delay_alu instid0(VALU_DEP_1)
	v_lshrrev_b64 v[1:2], v15, v[1:2]
; %bb.950:                              ;   in Loop: Header=BB12_889 Depth=1
	s_and_not1_saveexec_b32 s0, s0
; %bb.951:                              ;   in Loop: Header=BB12_889 Depth=1
	s_delay_alu instid0(VALU_DEP_1)
	v_bfe_u32 v9, v1, 23, 1
; %bb.952:                              ;   in Loop: Header=BB12_889 Depth=1
	s_or_b32 exec_lo, exec_lo, s0
	s_delay_alu instid0(VALU_DEP_2) | instskip(NEXT) | instid1(VALU_DEP_2)
	v_lshrrev_b64 v[1:2], 20, v[1:2]
	v_cmp_gt_i32_e32 vcc_lo, 16, v9
	v_cmp_ne_u32_e64 s0, 0, v9
	s_delay_alu instid0(VALU_DEP_3) | instskip(NEXT) | instid1(VALU_DEP_1)
	v_dual_cndmask_b32 v16, 0, v2 :: v_dual_cndmask_b32 v15, 7, v1
                                        ; implicit-def: $vgpr1_vgpr2
	v_cmp_ne_u64_e32 vcc_lo, 0, v[15:16]
	s_delay_alu instid0(VALU_DEP_3) | instskip(NEXT) | instid1(SALU_CYCLE_1)
	s_or_b32 s0, s0, vcc_lo
	s_and_saveexec_b32 s9, s0
	s_delay_alu instid0(SALU_CYCLE_1)
	s_xor_b32 s0, exec_lo, s9
; %bb.953:                              ;   in Loop: Header=BB12_889 Depth=1
	v_min_i32_e32 v1, 15, v9
	s_delay_alu instid0(VALU_DEP_1) | instskip(NEXT) | instid1(VALU_DEP_1)
	v_lshl_or_b32 v1, v1, 3, v14
                                        ; implicit-def: $vgpr14
	v_and_or_b32 v1, v15, 7, v1
; %bb.954:                              ;   in Loop: Header=BB12_889 Depth=1
	s_and_not1_saveexec_b32 s0, s0
; %bb.955:                              ;   in Loop: Header=BB12_889 Depth=1
	v_dual_mov_b32 v1, v14 :: v_dual_mov_b32 v2, v15
; %bb.956:                              ;   in Loop: Header=BB12_889 Depth=1
	s_or_b32 exec_lo, exec_lo, s0
.LBB12_957:                             ;   in Loop: Header=BB12_889 Depth=1
	s_delay_alu instid0(SALU_CYCLE_1)
	s_or_b32 exec_lo, exec_lo, s8
.LBB12_958:                             ;   in Loop: Header=BB12_889 Depth=1
	s_and_not1_saveexec_b32 s0, s7
	s_delay_alu instid0(SALU_CYCLE_1)
	s_or_b32 exec_lo, exec_lo, s0
                                        ; implicit-def: $vgpr2
.LBB12_959:                             ;   in Loop: Header=BB12_889 Depth=1
	s_and_not1_saveexec_b32 s0, s6
; %bb.960:                              ;   in Loop: Header=BB12_889 Depth=1
	v_cmp_eq_u64_e32 vcc_lo, 0, v[9:10]
	v_or_b32_e32 v2, 0x7f, v2
	s_delay_alu instid0(VALU_DEP_1)
	v_cndmask_b32_e32 v1, v2, v1, vcc_lo
; %bb.961:                              ;   in Loop: Header=BB12_889 Depth=1
	s_or_b32 exec_lo, exec_lo, s0
	v_lshlrev_b32_e32 v2, 16, v3
	s_mov_b32 s0, exec_lo
	s_delay_alu instid0(VALU_DEP_1) | instskip(NEXT) | instid1(VALU_DEP_1)
	v_div_scale_f32 v9, null, s40, s40, v2
	v_rcp_f32_e32 v14, v9
	s_waitcnt_depctr 0xfff
	v_fma_f32 v15, -v9, v14, 1.0
	s_delay_alu instid0(VALU_DEP_1) | instskip(SKIP_1) | instid1(VALU_DEP_1)
	v_fmac_f32_e32 v14, v15, v14
	v_div_scale_f32 v15, vcc_lo, v2, s40, v2
	v_mul_f32_e32 v16, v15, v14
	s_delay_alu instid0(VALU_DEP_1) | instskip(NEXT) | instid1(VALU_DEP_1)
	v_fma_f32 v17, -v9, v16, v15
	v_fmac_f32_e32 v16, v17, v14
	s_delay_alu instid0(VALU_DEP_1) | instskip(NEXT) | instid1(VALU_DEP_1)
	v_fma_f32 v9, -v9, v16, v15
	v_div_fmas_f32 v9, v9, v14, v16
	s_delay_alu instid0(VALU_DEP_1) | instskip(NEXT) | instid1(VALU_DEP_1)
	v_div_fixup_f32 v16, v9, s40, v2
	v_dual_mov_b32 v18, v10 :: v_dual_and_b32 v9, 0x7fffff, v16
	v_lshrrev_b32_e32 v15, 24, v16
	v_and_b32_e32 v17, 0x7f800000, v16
	s_delay_alu instid0(VALU_DEP_2) | instskip(NEXT) | instid1(VALU_DEP_1)
	v_and_b32_e32 v2, 0x80, v15
	v_or_b32_e32 v14, 0x7e, v2
	s_delay_alu instid0(VALU_DEP_3)
	v_cmpx_ne_u64_e32 0x7f800000, v[17:18]
	s_xor_b32 s6, exec_lo, s0
	s_cbranch_execz .LBB12_977
; %bb.962:                              ;   in Loop: Header=BB12_889 Depth=1
	v_dual_mov_b32 v18, v10 :: v_dual_and_b32 v17, 0x7fffffff, v16
	s_mov_b32 s0, exec_lo
	s_delay_alu instid0(VALU_DEP_1)
	v_cmpx_gt_u64_e32 0x43e00001, v[17:18]
	s_xor_b32 s7, exec_lo, s0
	s_cbranch_execz .LBB12_976
; %bb.963:                              ;   in Loop: Header=BB12_889 Depth=1
	s_mov_b32 s8, exec_lo
	v_mov_b32_e32 v14, 0
	v_mov_b32_e32 v15, 0
	v_cmpx_ne_u32_e32 0, v16
	s_cbranch_execz .LBB12_975
; %bb.964:                              ;   in Loop: Header=BB12_889 Depth=1
	v_bfe_u32 v18, v16, 23, 8
	v_or_b32_e32 v16, 0x800000, v9
	s_delay_alu instid0(VALU_DEP_2) | instskip(SKIP_1) | instid1(VALU_DEP_2)
	v_sub_nc_u32_e32 v14, 0x79, v18
	v_cmp_gt_u32_e32 vcc_lo, 0x7a, v18
	v_cndmask_b32_e32 v14, 0, v14, vcc_lo
	v_cmp_eq_u32_e32 vcc_lo, 0, v18
	v_cndmask_b32_e32 v9, v16, v9, vcc_lo
	s_delay_alu instid0(VALU_DEP_3) | instskip(NEXT) | instid1(VALU_DEP_1)
	v_cndmask_b32_e64 v19, v14, 0x78, vcc_lo
	v_add_nc_u32_e32 v14, 20, v19
	v_add_nc_u32_e32 v16, 19, v19
	s_delay_alu instid0(VALU_DEP_2) | instskip(NEXT) | instid1(VALU_DEP_2)
	v_lshlrev_b64 v[14:15], v14, -1
	v_lshlrev_b64 v[16:17], v16, 1
	s_delay_alu instid0(VALU_DEP_2) | instskip(NEXT) | instid1(VALU_DEP_3)
	v_not_b32_e32 v15, v15
	v_not_b32_e32 v14, v14
	s_delay_alu instid0(VALU_DEP_2) | instskip(NEXT) | instid1(VALU_DEP_2)
	v_and_b32_e32 v22, 0, v15
	v_and_b32_e32 v21, v9, v14
	v_lshrrev_b64 v[14:15], v19, v[9:10]
	s_delay_alu instid0(VALU_DEP_2) | instskip(NEXT) | instid1(VALU_DEP_2)
	v_cmp_eq_u64_e64 s0, v[21:22], v[16:17]
	v_dual_mov_b32 v17, v15 :: v_dual_mov_b32 v16, v14
	s_delay_alu instid0(VALU_DEP_2)
	s_and_saveexec_b32 s9, s0
; %bb.965:                              ;   in Loop: Header=BB12_889 Depth=1
	v_bfe_u32 v9, v14, 20, 1
	s_delay_alu instid0(VALU_DEP_1) | instskip(NEXT) | instid1(VALU_DEP_1)
	v_add_co_u32 v9, s0, v14, v9
	v_add_co_u32 v16, s0, v9, -1
; %bb.966:                              ;   in Loop: Header=BB12_889 Depth=1
	s_or_b32 exec_lo, exec_lo, s9
	v_add_nc_u32_e32 v9, 0xffffff81, v18
	v_lshrrev_b32_e32 v17, 23, v14
	s_mov_b32 s0, exec_lo
	s_delay_alu instid0(VALU_DEP_2) | instskip(NEXT) | instid1(VALU_DEP_1)
	v_cndmask_b32_e64 v9, v9, 0xffffff82, vcc_lo
	v_add3_u32 v17, v19, v9, v17
	v_and_b32_e32 v9, 0xfffff, v16
	s_delay_alu instid0(VALU_DEP_2) | instskip(NEXT) | instid1(VALU_DEP_2)
	v_add_nc_u32_e32 v16, 6, v17
	v_add_co_u32 v14, vcc_lo, v9, v14
	v_add_co_ci_u32_e32 v15, vcc_lo, 0, v15, vcc_lo
                                        ; implicit-def: $vgpr9
	s_delay_alu instid0(VALU_DEP_3)
	v_cmpx_ne_u32_e32 0, v16
	s_xor_b32 s0, exec_lo, s0
; %bb.967:                              ;   in Loop: Header=BB12_889 Depth=1
	s_delay_alu instid0(VALU_DEP_2) | instskip(SKIP_1) | instid1(VALU_DEP_1)
	v_cmp_lt_u64_e32 vcc_lo, 0xffffff, v[14:15]
	v_add_nc_u32_e32 v9, 7, v17
	v_cndmask_b32_e32 v9, v16, v9, vcc_lo
	v_cndmask_b32_e64 v16, 0, 1, vcc_lo
	s_delay_alu instid0(VALU_DEP_1)
	v_lshrrev_b64 v[14:15], v16, v[14:15]
; %bb.968:                              ;   in Loop: Header=BB12_889 Depth=1
	s_and_not1_saveexec_b32 s0, s0
; %bb.969:                              ;   in Loop: Header=BB12_889 Depth=1
	s_delay_alu instid0(VALU_DEP_1)
	v_bfe_u32 v9, v14, 23, 1
; %bb.970:                              ;   in Loop: Header=BB12_889 Depth=1
	s_or_b32 exec_lo, exec_lo, s0
	s_delay_alu instid0(VALU_DEP_2) | instskip(NEXT) | instid1(VALU_DEP_2)
	v_lshrrev_b64 v[14:15], 20, v[14:15]
	v_cmp_gt_i32_e32 vcc_lo, 16, v9
	v_cmp_ne_u32_e64 s0, 0, v9
	s_delay_alu instid0(VALU_DEP_3) | instskip(NEXT) | instid1(VALU_DEP_1)
	v_dual_cndmask_b32 v17, 0, v15 :: v_dual_cndmask_b32 v16, 7, v14
                                        ; implicit-def: $vgpr14_vgpr15
	v_cmp_ne_u64_e32 vcc_lo, 0, v[16:17]
	s_delay_alu instid0(VALU_DEP_3) | instskip(NEXT) | instid1(SALU_CYCLE_1)
	s_or_b32 s0, s0, vcc_lo
	s_and_saveexec_b32 s9, s0
	s_delay_alu instid0(SALU_CYCLE_1)
	s_xor_b32 s0, exec_lo, s9
; %bb.971:                              ;   in Loop: Header=BB12_889 Depth=1
	v_min_i32_e32 v9, 15, v9
	s_delay_alu instid0(VALU_DEP_1) | instskip(NEXT) | instid1(VALU_DEP_1)
	v_lshl_or_b32 v2, v9, 3, v2
	v_and_or_b32 v14, v16, 7, v2
                                        ; implicit-def: $vgpr2
; %bb.972:                              ;   in Loop: Header=BB12_889 Depth=1
	s_and_not1_saveexec_b32 s0, s0
; %bb.973:                              ;   in Loop: Header=BB12_889 Depth=1
	v_dual_mov_b32 v15, v3 :: v_dual_mov_b32 v14, v2
; %bb.974:                              ;   in Loop: Header=BB12_889 Depth=1
	s_or_b32 exec_lo, exec_lo, s0
.LBB12_975:                             ;   in Loop: Header=BB12_889 Depth=1
	s_delay_alu instid0(SALU_CYCLE_1)
	s_or_b32 exec_lo, exec_lo, s8
.LBB12_976:                             ;   in Loop: Header=BB12_889 Depth=1
	s_and_not1_saveexec_b32 s0, s7
	s_delay_alu instid0(SALU_CYCLE_1)
	s_or_b32 exec_lo, exec_lo, s0
                                        ; implicit-def: $vgpr15
.LBB12_977:                             ;   in Loop: Header=BB12_889 Depth=1
	s_and_not1_saveexec_b32 s0, s6
; %bb.978:                              ;   in Loop: Header=BB12_889 Depth=1
	v_cmp_eq_u64_e32 vcc_lo, 0, v[9:10]
	v_or_b32_e32 v2, 0x7f, v15
	s_delay_alu instid0(VALU_DEP_1)
	v_cndmask_b32_e32 v14, v2, v14, vcc_lo
; %bb.979:                              ;   in Loop: Header=BB12_889 Depth=1
	s_or_b32 exec_lo, exec_lo, s0
	v_and_b32_e32 v2, 0xffff0000, v3
	s_mov_b32 s0, exec_lo
	v_mov_b32_e32 v18, v10
	s_delay_alu instid0(VALU_DEP_2) | instskip(NEXT) | instid1(VALU_DEP_1)
	v_div_scale_f32 v3, null, s40, s40, v2
	v_rcp_f32_e32 v9, v3
	s_waitcnt_depctr 0xfff
	v_fma_f32 v15, -v3, v9, 1.0
	s_delay_alu instid0(VALU_DEP_1) | instskip(SKIP_1) | instid1(VALU_DEP_1)
	v_fmac_f32_e32 v9, v15, v9
	v_div_scale_f32 v15, vcc_lo, v2, s40, v2
	v_mul_f32_e32 v16, v15, v9
	s_delay_alu instid0(VALU_DEP_1) | instskip(NEXT) | instid1(VALU_DEP_1)
	v_fma_f32 v17, -v3, v16, v15
	v_fmac_f32_e32 v16, v17, v9
	s_delay_alu instid0(VALU_DEP_1) | instskip(NEXT) | instid1(VALU_DEP_1)
	v_fma_f32 v3, -v3, v16, v15
	v_div_fmas_f32 v3, v3, v9, v16
	s_delay_alu instid0(VALU_DEP_1) | instskip(NEXT) | instid1(VALU_DEP_1)
	v_div_fixup_f32 v16, v3, s40, v2
	v_lshrrev_b32_e32 v3, 24, v16
	v_and_b32_e32 v17, 0x7f800000, v16
	v_and_b32_e32 v9, 0x7fffff, v16
	s_delay_alu instid0(VALU_DEP_3) | instskip(NEXT) | instid1(VALU_DEP_1)
	v_and_b32_e32 v15, 0x80, v3
	v_or_b32_e32 v2, 0x7e, v15
	s_delay_alu instid0(VALU_DEP_4)
	v_cmpx_ne_u64_e32 0x7f800000, v[17:18]
	s_xor_b32 s6, exec_lo, s0
	s_cbranch_execz .LBB12_995
; %bb.980:                              ;   in Loop: Header=BB12_889 Depth=1
	v_dual_mov_b32 v18, v10 :: v_dual_and_b32 v17, 0x7fffffff, v16
	s_mov_b32 s0, exec_lo
	s_delay_alu instid0(VALU_DEP_1)
	v_cmpx_gt_u64_e32 0x43e00001, v[17:18]
	s_xor_b32 s7, exec_lo, s0
	s_cbranch_execz .LBB12_994
; %bb.981:                              ;   in Loop: Header=BB12_889 Depth=1
	s_mov_b32 s8, exec_lo
	v_mov_b32_e32 v2, 0
	v_mov_b32_e32 v3, 0
	v_cmpx_ne_u32_e32 0, v16
	s_cbranch_execz .LBB12_993
; %bb.982:                              ;   in Loop: Header=BB12_889 Depth=1
	v_bfe_u32 v18, v16, 23, 8
	v_or_b32_e32 v16, 0x800000, v9
	s_delay_alu instid0(VALU_DEP_2) | instskip(SKIP_1) | instid1(VALU_DEP_2)
	v_sub_nc_u32_e32 v2, 0x79, v18
	v_cmp_gt_u32_e32 vcc_lo, 0x7a, v18
	v_cndmask_b32_e32 v2, 0, v2, vcc_lo
	v_cmp_eq_u32_e32 vcc_lo, 0, v18
	v_cndmask_b32_e32 v9, v16, v9, vcc_lo
	s_delay_alu instid0(VALU_DEP_3) | instskip(NEXT) | instid1(VALU_DEP_1)
	v_cndmask_b32_e64 v19, v2, 0x78, vcc_lo
	v_add_nc_u32_e32 v2, 20, v19
	v_add_nc_u32_e32 v16, 19, v19
	s_delay_alu instid0(VALU_DEP_2) | instskip(NEXT) | instid1(VALU_DEP_2)
	v_lshlrev_b64 v[2:3], v2, -1
	v_lshlrev_b64 v[16:17], v16, 1
	s_delay_alu instid0(VALU_DEP_2) | instskip(NEXT) | instid1(VALU_DEP_3)
	v_not_b32_e32 v3, v3
	v_not_b32_e32 v2, v2
	s_delay_alu instid0(VALU_DEP_2) | instskip(NEXT) | instid1(VALU_DEP_2)
	v_and_b32_e32 v22, 0, v3
	v_and_b32_e32 v21, v9, v2
	v_lshrrev_b64 v[2:3], v19, v[9:10]
	s_delay_alu instid0(VALU_DEP_2) | instskip(NEXT) | instid1(VALU_DEP_2)
	v_cmp_eq_u64_e64 s0, v[21:22], v[16:17]
	v_dual_mov_b32 v17, v3 :: v_dual_mov_b32 v16, v2
	s_delay_alu instid0(VALU_DEP_2)
	s_and_saveexec_b32 s9, s0
; %bb.983:                              ;   in Loop: Header=BB12_889 Depth=1
	v_bfe_u32 v9, v2, 20, 1
	s_delay_alu instid0(VALU_DEP_1) | instskip(NEXT) | instid1(VALU_DEP_1)
	v_add_co_u32 v9, s0, v2, v9
	v_add_co_u32 v16, s0, v9, -1
; %bb.984:                              ;   in Loop: Header=BB12_889 Depth=1
	s_or_b32 exec_lo, exec_lo, s9
	v_add_nc_u32_e32 v9, 0xffffff81, v18
	v_lshrrev_b32_e32 v17, 23, v2
	s_mov_b32 s0, exec_lo
	s_delay_alu instid0(VALU_DEP_2) | instskip(NEXT) | instid1(VALU_DEP_1)
	v_cndmask_b32_e64 v9, v9, 0xffffff82, vcc_lo
	v_add3_u32 v17, v19, v9, v17
	v_and_b32_e32 v9, 0xfffff, v16
	s_delay_alu instid0(VALU_DEP_2) | instskip(NEXT) | instid1(VALU_DEP_2)
	v_add_nc_u32_e32 v16, 6, v17
	v_add_co_u32 v2, vcc_lo, v9, v2
	v_add_co_ci_u32_e32 v3, vcc_lo, 0, v3, vcc_lo
                                        ; implicit-def: $vgpr9
	s_delay_alu instid0(VALU_DEP_3)
	v_cmpx_ne_u32_e32 0, v16
	s_xor_b32 s0, exec_lo, s0
; %bb.985:                              ;   in Loop: Header=BB12_889 Depth=1
	s_delay_alu instid0(VALU_DEP_2) | instskip(SKIP_1) | instid1(VALU_DEP_1)
	v_cmp_lt_u64_e32 vcc_lo, 0xffffff, v[2:3]
	v_add_nc_u32_e32 v9, 7, v17
	v_cndmask_b32_e32 v9, v16, v9, vcc_lo
	v_cndmask_b32_e64 v16, 0, 1, vcc_lo
	s_delay_alu instid0(VALU_DEP_1)
	v_lshrrev_b64 v[2:3], v16, v[2:3]
; %bb.986:                              ;   in Loop: Header=BB12_889 Depth=1
	s_and_not1_saveexec_b32 s0, s0
; %bb.987:                              ;   in Loop: Header=BB12_889 Depth=1
	s_delay_alu instid0(VALU_DEP_1)
	v_bfe_u32 v9, v2, 23, 1
; %bb.988:                              ;   in Loop: Header=BB12_889 Depth=1
	s_or_b32 exec_lo, exec_lo, s0
	s_delay_alu instid0(VALU_DEP_2) | instskip(NEXT) | instid1(VALU_DEP_2)
	v_lshrrev_b64 v[2:3], 20, v[2:3]
	v_cmp_gt_i32_e32 vcc_lo, 16, v9
	v_cmp_ne_u32_e64 s0, 0, v9
	s_delay_alu instid0(VALU_DEP_3) | instskip(NEXT) | instid1(VALU_DEP_1)
	v_dual_cndmask_b32 v17, 0, v3 :: v_dual_cndmask_b32 v16, 7, v2
                                        ; implicit-def: $vgpr2_vgpr3
	v_cmp_ne_u64_e32 vcc_lo, 0, v[16:17]
	s_delay_alu instid0(VALU_DEP_3) | instskip(NEXT) | instid1(SALU_CYCLE_1)
	s_or_b32 s0, s0, vcc_lo
	s_and_saveexec_b32 s9, s0
	s_delay_alu instid0(SALU_CYCLE_1)
	s_xor_b32 s0, exec_lo, s9
; %bb.989:                              ;   in Loop: Header=BB12_889 Depth=1
	v_min_i32_e32 v2, 15, v9
	s_delay_alu instid0(VALU_DEP_1) | instskip(NEXT) | instid1(VALU_DEP_1)
	v_lshl_or_b32 v2, v2, 3, v15
                                        ; implicit-def: $vgpr15
	v_and_or_b32 v2, v16, 7, v2
; %bb.990:                              ;   in Loop: Header=BB12_889 Depth=1
	s_and_not1_saveexec_b32 s0, s0
; %bb.991:                              ;   in Loop: Header=BB12_889 Depth=1
	v_dual_mov_b32 v2, v15 :: v_dual_mov_b32 v3, v16
; %bb.992:                              ;   in Loop: Header=BB12_889 Depth=1
	s_or_b32 exec_lo, exec_lo, s0
.LBB12_993:                             ;   in Loop: Header=BB12_889 Depth=1
	s_delay_alu instid0(SALU_CYCLE_1)
	s_or_b32 exec_lo, exec_lo, s8
.LBB12_994:                             ;   in Loop: Header=BB12_889 Depth=1
	s_and_not1_saveexec_b32 s0, s7
	s_delay_alu instid0(SALU_CYCLE_1)
	s_or_b32 exec_lo, exec_lo, s0
                                        ; implicit-def: $vgpr3
.LBB12_995:                             ;   in Loop: Header=BB12_889 Depth=1
	s_and_not1_saveexec_b32 s0, s6
; %bb.996:                              ;   in Loop: Header=BB12_889 Depth=1
	v_cmp_eq_u64_e32 vcc_lo, 0, v[9:10]
	v_or_b32_e32 v3, 0x7f, v3
	s_delay_alu instid0(VALU_DEP_1)
	v_cndmask_b32_e32 v2, v3, v2, vcc_lo
; %bb.997:                              ;   in Loop: Header=BB12_889 Depth=1
	s_or_b32 exec_lo, exec_lo, s0
	v_lshlrev_b32_e32 v3, 16, v4
	v_mov_b32_e32 v19, v10
	s_mov_b32 s0, exec_lo
	s_delay_alu instid0(VALU_DEP_2) | instskip(NEXT) | instid1(VALU_DEP_1)
	v_div_scale_f32 v9, null, s40, s40, v3
	v_rcp_f32_e32 v15, v9
	s_waitcnt_depctr 0xfff
	v_fma_f32 v16, -v9, v15, 1.0
	s_delay_alu instid0(VALU_DEP_1) | instskip(SKIP_1) | instid1(VALU_DEP_1)
	v_fmac_f32_e32 v15, v16, v15
	v_div_scale_f32 v16, vcc_lo, v3, s40, v3
	v_mul_f32_e32 v17, v16, v15
	s_delay_alu instid0(VALU_DEP_1) | instskip(NEXT) | instid1(VALU_DEP_1)
	v_fma_f32 v18, -v9, v17, v16
	v_fmac_f32_e32 v17, v18, v15
	s_delay_alu instid0(VALU_DEP_1) | instskip(NEXT) | instid1(VALU_DEP_1)
	v_fma_f32 v9, -v9, v17, v16
	v_div_fmas_f32 v9, v9, v15, v17
	s_delay_alu instid0(VALU_DEP_1) | instskip(NEXT) | instid1(VALU_DEP_1)
	v_div_fixup_f32 v17, v9, s40, v3
	v_and_b32_e32 v18, 0x7f800000, v17
	v_lshrrev_b32_e32 v16, 24, v17
	v_and_b32_e32 v9, 0x7fffff, v17
	s_delay_alu instid0(VALU_DEP_2) | instskip(NEXT) | instid1(VALU_DEP_1)
	v_and_b32_e32 v3, 0x80, v16
	v_or_b32_e32 v15, 0x7e, v3
	v_cmpx_ne_u64_e32 0x7f800000, v[18:19]
	s_xor_b32 s6, exec_lo, s0
	s_cbranch_execz .LBB12_1013
; %bb.998:                              ;   in Loop: Header=BB12_889 Depth=1
	v_dual_mov_b32 v19, v10 :: v_dual_and_b32 v18, 0x7fffffff, v17
	s_mov_b32 s0, exec_lo
	s_delay_alu instid0(VALU_DEP_1)
	v_cmpx_gt_u64_e32 0x43e00001, v[18:19]
	s_xor_b32 s7, exec_lo, s0
	s_cbranch_execz .LBB12_1012
; %bb.999:                              ;   in Loop: Header=BB12_889 Depth=1
	s_mov_b32 s8, exec_lo
	v_mov_b32_e32 v15, 0
	v_mov_b32_e32 v16, 0
	v_cmpx_ne_u32_e32 0, v17
	s_cbranch_execz .LBB12_1011
; %bb.1000:                             ;   in Loop: Header=BB12_889 Depth=1
	v_bfe_u32 v19, v17, 23, 8
	v_or_b32_e32 v17, 0x800000, v9
	s_delay_alu instid0(VALU_DEP_2) | instskip(SKIP_1) | instid1(VALU_DEP_2)
	v_sub_nc_u32_e32 v15, 0x79, v19
	v_cmp_gt_u32_e32 vcc_lo, 0x7a, v19
	v_cndmask_b32_e32 v15, 0, v15, vcc_lo
	v_cmp_eq_u32_e32 vcc_lo, 0, v19
	s_delay_alu instid0(VALU_DEP_2) | instskip(SKIP_1) | instid1(VALU_DEP_2)
	v_cndmask_b32_e64 v21, v15, 0x78, vcc_lo
	v_cndmask_b32_e32 v9, v17, v9, vcc_lo
	v_add_nc_u32_e32 v15, 20, v21
	v_add_nc_u32_e32 v17, 19, v21
	s_delay_alu instid0(VALU_DEP_2) | instskip(NEXT) | instid1(VALU_DEP_2)
	v_lshlrev_b64 v[15:16], v15, -1
	v_lshlrev_b64 v[17:18], v17, 1
	s_delay_alu instid0(VALU_DEP_2) | instskip(NEXT) | instid1(VALU_DEP_3)
	v_not_b32_e32 v16, v16
	v_not_b32_e32 v15, v15
	s_delay_alu instid0(VALU_DEP_2) | instskip(NEXT) | instid1(VALU_DEP_2)
	v_and_b32_e32 v23, 0, v16
	v_and_b32_e32 v22, v9, v15
	v_lshrrev_b64 v[15:16], v21, v[9:10]
	s_delay_alu instid0(VALU_DEP_2) | instskip(NEXT) | instid1(VALU_DEP_2)
	v_cmp_eq_u64_e64 s0, v[22:23], v[17:18]
	v_dual_mov_b32 v18, v16 :: v_dual_mov_b32 v17, v15
	s_delay_alu instid0(VALU_DEP_2)
	s_and_saveexec_b32 s9, s0
; %bb.1001:                             ;   in Loop: Header=BB12_889 Depth=1
	v_bfe_u32 v9, v15, 20, 1
	s_delay_alu instid0(VALU_DEP_1) | instskip(NEXT) | instid1(VALU_DEP_1)
	v_add_co_u32 v9, s0, v15, v9
	v_add_co_u32 v17, s0, v9, -1
; %bb.1002:                             ;   in Loop: Header=BB12_889 Depth=1
	s_or_b32 exec_lo, exec_lo, s9
	v_add_nc_u32_e32 v9, 0xffffff81, v19
	v_lshrrev_b32_e32 v18, 23, v15
	s_mov_b32 s0, exec_lo
	s_delay_alu instid0(VALU_DEP_2) | instskip(NEXT) | instid1(VALU_DEP_1)
	v_cndmask_b32_e64 v9, v9, 0xffffff82, vcc_lo
	v_add3_u32 v18, v21, v9, v18
	v_and_b32_e32 v9, 0xfffff, v17
	s_delay_alu instid0(VALU_DEP_2) | instskip(NEXT) | instid1(VALU_DEP_2)
	v_add_nc_u32_e32 v17, 6, v18
	v_add_co_u32 v15, vcc_lo, v9, v15
	v_add_co_ci_u32_e32 v16, vcc_lo, 0, v16, vcc_lo
                                        ; implicit-def: $vgpr9
	s_delay_alu instid0(VALU_DEP_3)
	v_cmpx_ne_u32_e32 0, v17
	s_xor_b32 s0, exec_lo, s0
; %bb.1003:                             ;   in Loop: Header=BB12_889 Depth=1
	s_delay_alu instid0(VALU_DEP_2) | instskip(SKIP_1) | instid1(VALU_DEP_1)
	v_cmp_lt_u64_e32 vcc_lo, 0xffffff, v[15:16]
	v_add_nc_u32_e32 v9, 7, v18
	v_cndmask_b32_e32 v9, v17, v9, vcc_lo
	v_cndmask_b32_e64 v17, 0, 1, vcc_lo
	s_delay_alu instid0(VALU_DEP_1)
	v_lshrrev_b64 v[15:16], v17, v[15:16]
; %bb.1004:                             ;   in Loop: Header=BB12_889 Depth=1
	s_and_not1_saveexec_b32 s0, s0
; %bb.1005:                             ;   in Loop: Header=BB12_889 Depth=1
	s_delay_alu instid0(VALU_DEP_1)
	v_bfe_u32 v9, v15, 23, 1
; %bb.1006:                             ;   in Loop: Header=BB12_889 Depth=1
	s_or_b32 exec_lo, exec_lo, s0
	s_delay_alu instid0(VALU_DEP_2) | instskip(NEXT) | instid1(VALU_DEP_2)
	v_lshrrev_b64 v[15:16], 20, v[15:16]
	v_cmp_gt_i32_e32 vcc_lo, 16, v9
	v_cmp_ne_u32_e64 s0, 0, v9
	s_delay_alu instid0(VALU_DEP_3) | instskip(NEXT) | instid1(VALU_DEP_1)
	v_dual_cndmask_b32 v18, 0, v16 :: v_dual_cndmask_b32 v17, 7, v15
                                        ; implicit-def: $vgpr15_vgpr16
	v_cmp_ne_u64_e32 vcc_lo, 0, v[17:18]
	s_delay_alu instid0(VALU_DEP_3) | instskip(NEXT) | instid1(SALU_CYCLE_1)
	s_or_b32 s0, s0, vcc_lo
	s_and_saveexec_b32 s9, s0
	s_delay_alu instid0(SALU_CYCLE_1)
	s_xor_b32 s0, exec_lo, s9
; %bb.1007:                             ;   in Loop: Header=BB12_889 Depth=1
	v_min_i32_e32 v9, 15, v9
	s_delay_alu instid0(VALU_DEP_1) | instskip(NEXT) | instid1(VALU_DEP_1)
	v_lshl_or_b32 v3, v9, 3, v3
	v_and_or_b32 v15, v17, 7, v3
                                        ; implicit-def: $vgpr3
; %bb.1008:                             ;   in Loop: Header=BB12_889 Depth=1
	s_and_not1_saveexec_b32 s0, s0
; %bb.1009:                             ;   in Loop: Header=BB12_889 Depth=1
	v_dual_mov_b32 v16, v4 :: v_dual_mov_b32 v15, v3
; %bb.1010:                             ;   in Loop: Header=BB12_889 Depth=1
	s_or_b32 exec_lo, exec_lo, s0
.LBB12_1011:                            ;   in Loop: Header=BB12_889 Depth=1
	s_delay_alu instid0(SALU_CYCLE_1)
	s_or_b32 exec_lo, exec_lo, s8
.LBB12_1012:                            ;   in Loop: Header=BB12_889 Depth=1
	s_and_not1_saveexec_b32 s0, s7
	s_delay_alu instid0(SALU_CYCLE_1)
	s_or_b32 exec_lo, exec_lo, s0
                                        ; implicit-def: $vgpr16
.LBB12_1013:                            ;   in Loop: Header=BB12_889 Depth=1
	s_and_not1_saveexec_b32 s0, s6
; %bb.1014:                             ;   in Loop: Header=BB12_889 Depth=1
	v_cmp_eq_u64_e32 vcc_lo, 0, v[9:10]
	v_or_b32_e32 v3, 0x7f, v16
	s_delay_alu instid0(VALU_DEP_1)
	v_cndmask_b32_e32 v15, v3, v15, vcc_lo
; %bb.1015:                             ;   in Loop: Header=BB12_889 Depth=1
	s_or_b32 exec_lo, exec_lo, s0
	v_and_b32_e32 v3, 0xffff0000, v4
	v_mov_b32_e32 v19, v10
	s_mov_b32 s0, exec_lo
	s_delay_alu instid0(VALU_DEP_2) | instskip(NEXT) | instid1(VALU_DEP_1)
	v_div_scale_f32 v4, null, s40, s40, v3
	v_rcp_f32_e32 v9, v4
	s_waitcnt_depctr 0xfff
	v_fma_f32 v16, -v4, v9, 1.0
	s_delay_alu instid0(VALU_DEP_1) | instskip(SKIP_1) | instid1(VALU_DEP_1)
	v_fmac_f32_e32 v9, v16, v9
	v_div_scale_f32 v16, vcc_lo, v3, s40, v3
	v_mul_f32_e32 v17, v16, v9
	s_delay_alu instid0(VALU_DEP_1) | instskip(NEXT) | instid1(VALU_DEP_1)
	v_fma_f32 v18, -v4, v17, v16
	v_fmac_f32_e32 v17, v18, v9
	s_delay_alu instid0(VALU_DEP_1) | instskip(NEXT) | instid1(VALU_DEP_1)
	v_fma_f32 v4, -v4, v17, v16
	v_div_fmas_f32 v4, v4, v9, v17
	s_delay_alu instid0(VALU_DEP_1) | instskip(NEXT) | instid1(VALU_DEP_1)
	v_div_fixup_f32 v4, v4, s40, v3
	v_and_b32_e32 v18, 0x7f800000, v4
	v_lshrrev_b32_e32 v17, 24, v4
	v_and_b32_e32 v9, 0x7fffff, v4
	s_delay_alu instid0(VALU_DEP_2) | instskip(NEXT) | instid1(VALU_DEP_1)
	v_and_b32_e32 v3, 0x80, v17
	v_or_b32_e32 v16, 0x7e, v3
	v_cmpx_ne_u64_e32 0x7f800000, v[18:19]
	s_xor_b32 s6, exec_lo, s0
	s_cbranch_execz .LBB12_1031
; %bb.1016:                             ;   in Loop: Header=BB12_889 Depth=1
	v_dual_mov_b32 v18, v10 :: v_dual_and_b32 v17, 0x7fffffff, v4
	s_mov_b32 s0, exec_lo
	s_delay_alu instid0(VALU_DEP_1)
	v_cmpx_gt_u64_e32 0x43e00001, v[17:18]
	s_xor_b32 s7, exec_lo, s0
	s_cbranch_execz .LBB12_1030
; %bb.1017:                             ;   in Loop: Header=BB12_889 Depth=1
	s_mov_b32 s8, exec_lo
	v_mov_b32_e32 v16, 0
	v_mov_b32_e32 v17, 0
	v_cmpx_ne_u32_e32 0, v4
	s_cbranch_execz .LBB12_1029
; %bb.1018:                             ;   in Loop: Header=BB12_889 Depth=1
	v_bfe_u32 v4, v4, 23, 8
	v_or_b32_e32 v18, 0x800000, v9
	s_delay_alu instid0(VALU_DEP_2) | instskip(SKIP_1) | instid1(VALU_DEP_2)
	v_sub_nc_u32_e32 v16, 0x79, v4
	v_cmp_gt_u32_e32 vcc_lo, 0x7a, v4
	v_cndmask_b32_e32 v16, 0, v16, vcc_lo
	v_cmp_eq_u32_e32 vcc_lo, 0, v4
	v_cndmask_b32_e32 v9, v18, v9, vcc_lo
	s_delay_alu instid0(VALU_DEP_3) | instskip(NEXT) | instid1(VALU_DEP_1)
	v_cndmask_b32_e64 v21, v16, 0x78, vcc_lo
	v_add_nc_u32_e32 v16, 20, v21
	v_add_nc_u32_e32 v18, 19, v21
	s_delay_alu instid0(VALU_DEP_2) | instskip(NEXT) | instid1(VALU_DEP_2)
	v_lshlrev_b64 v[16:17], v16, -1
	v_lshlrev_b64 v[18:19], v18, 1
	s_delay_alu instid0(VALU_DEP_2) | instskip(NEXT) | instid1(VALU_DEP_3)
	v_not_b32_e32 v17, v17
	v_not_b32_e32 v16, v16
	s_delay_alu instid0(VALU_DEP_2) | instskip(NEXT) | instid1(VALU_DEP_2)
	v_and_b32_e32 v23, 0, v17
	v_and_b32_e32 v22, v9, v16
	v_lshrrev_b64 v[16:17], v21, v[9:10]
	s_delay_alu instid0(VALU_DEP_2) | instskip(NEXT) | instid1(VALU_DEP_2)
	v_cmp_eq_u64_e64 s0, v[22:23], v[18:19]
	v_dual_mov_b32 v19, v17 :: v_dual_mov_b32 v18, v16
	s_delay_alu instid0(VALU_DEP_2)
	s_and_saveexec_b32 s9, s0
; %bb.1019:                             ;   in Loop: Header=BB12_889 Depth=1
	v_bfe_u32 v9, v16, 20, 1
	s_delay_alu instid0(VALU_DEP_1) | instskip(NEXT) | instid1(VALU_DEP_1)
	v_add_co_u32 v9, s0, v16, v9
	v_add_co_u32 v18, s0, v9, -1
; %bb.1020:                             ;   in Loop: Header=BB12_889 Depth=1
	s_or_b32 exec_lo, exec_lo, s9
	v_add_nc_u32_e32 v4, 0xffffff81, v4
	v_lshrrev_b32_e32 v9, 23, v16
	s_mov_b32 s0, exec_lo
	s_delay_alu instid0(VALU_DEP_2) | instskip(NEXT) | instid1(VALU_DEP_1)
	v_cndmask_b32_e64 v4, v4, 0xffffff82, vcc_lo
	v_add3_u32 v9, v21, v4, v9
	v_and_b32_e32 v4, 0xfffff, v18
	s_delay_alu instid0(VALU_DEP_2) | instskip(NEXT) | instid1(VALU_DEP_2)
	v_add_nc_u32_e32 v18, 6, v9
	v_add_co_u32 v16, vcc_lo, v4, v16
	v_add_co_ci_u32_e32 v17, vcc_lo, 0, v17, vcc_lo
                                        ; implicit-def: $vgpr4
	s_delay_alu instid0(VALU_DEP_3)
	v_cmpx_ne_u32_e32 0, v18
	s_xor_b32 s0, exec_lo, s0
; %bb.1021:                             ;   in Loop: Header=BB12_889 Depth=1
	s_delay_alu instid0(VALU_DEP_2) | instskip(SKIP_2) | instid1(VALU_DEP_2)
	v_cmp_lt_u64_e32 vcc_lo, 0xffffff, v[16:17]
	v_add_nc_u32_e32 v4, 7, v9
	v_cndmask_b32_e64 v9, 0, 1, vcc_lo
	v_cndmask_b32_e32 v4, v18, v4, vcc_lo
	s_delay_alu instid0(VALU_DEP_2)
	v_lshrrev_b64 v[16:17], v9, v[16:17]
; %bb.1022:                             ;   in Loop: Header=BB12_889 Depth=1
	s_and_not1_saveexec_b32 s0, s0
; %bb.1023:                             ;   in Loop: Header=BB12_889 Depth=1
	s_delay_alu instid0(VALU_DEP_1)
	v_bfe_u32 v4, v16, 23, 1
; %bb.1024:                             ;   in Loop: Header=BB12_889 Depth=1
	s_or_b32 exec_lo, exec_lo, s0
	s_delay_alu instid0(VALU_DEP_2) | instskip(NEXT) | instid1(VALU_DEP_2)
	v_lshrrev_b64 v[16:17], 20, v[16:17]
	v_cmp_gt_i32_e32 vcc_lo, 16, v4
	v_cmp_ne_u32_e64 s0, 0, v4
	s_delay_alu instid0(VALU_DEP_3) | instskip(NEXT) | instid1(VALU_DEP_1)
	v_dual_cndmask_b32 v19, 0, v17 :: v_dual_cndmask_b32 v18, 7, v16
                                        ; implicit-def: $vgpr16_vgpr17
	v_cmp_ne_u64_e32 vcc_lo, 0, v[18:19]
	s_delay_alu instid0(VALU_DEP_3) | instskip(NEXT) | instid1(SALU_CYCLE_1)
	s_or_b32 s0, s0, vcc_lo
	s_and_saveexec_b32 s9, s0
	s_delay_alu instid0(SALU_CYCLE_1)
	s_xor_b32 s0, exec_lo, s9
; %bb.1025:                             ;   in Loop: Header=BB12_889 Depth=1
	v_min_i32_e32 v4, 15, v4
	s_delay_alu instid0(VALU_DEP_1) | instskip(NEXT) | instid1(VALU_DEP_1)
	v_lshl_or_b32 v3, v4, 3, v3
	v_and_or_b32 v16, v18, 7, v3
                                        ; implicit-def: $vgpr3
; %bb.1026:                             ;   in Loop: Header=BB12_889 Depth=1
	s_and_not1_saveexec_b32 s0, s0
; %bb.1027:                             ;   in Loop: Header=BB12_889 Depth=1
	v_dual_mov_b32 v17, v4 :: v_dual_mov_b32 v16, v3
; %bb.1028:                             ;   in Loop: Header=BB12_889 Depth=1
	s_or_b32 exec_lo, exec_lo, s0
.LBB12_1029:                            ;   in Loop: Header=BB12_889 Depth=1
	s_delay_alu instid0(SALU_CYCLE_1)
	s_or_b32 exec_lo, exec_lo, s8
.LBB12_1030:                            ;   in Loop: Header=BB12_889 Depth=1
	s_and_not1_saveexec_b32 s0, s7
	s_delay_alu instid0(SALU_CYCLE_1)
	s_or_b32 exec_lo, exec_lo, s0
                                        ; implicit-def: $vgpr17
.LBB12_1031:                            ;   in Loop: Header=BB12_889 Depth=1
	s_and_not1_saveexec_b32 s0, s6
	s_cbranch_execz .LBB12_888
; %bb.1032:                             ;   in Loop: Header=BB12_889 Depth=1
	v_cmp_eq_u64_e32 vcc_lo, 0, v[9:10]
	v_or_b32_e32 v3, 0x7f, v17
	s_delay_alu instid0(VALU_DEP_1)
	v_cndmask_b32_e32 v16, v3, v16, vcc_lo
	s_branch .LBB12_888
.LBB12_1033:
	s_or_b32 exec_lo, exec_lo, s2
.LBB12_1034:
	s_and_b32 s0, s35, 15
	s_mov_b32 s1, 0
	s_delay_alu instid0(SALU_CYCLE_1) | instskip(SKIP_2) | instid1(SALU_CYCLE_1)
	s_cmp_lg_u64 s[0:1], 0
	s_cselect_b32 s0, -1, 0
	s_xor_b32 s1, s41, -1
	s_or_b32 s0, s1, s0
	s_delay_alu instid0(SALU_CYCLE_1)
	s_and_b32 vcc_lo, exec_lo, s0
	s_mov_b32 s0, -1
	s_cbranch_vccz .LBB12_1230
; %bb.1035:
	s_sub_i32 s0, 0, s35
	s_mov_b32 s1, exec_lo
	s_bfe_u32 s0, s0, 0x30001
	s_delay_alu instid0(SALU_CYCLE_1) | instskip(NEXT) | instid1(SALU_CYCLE_1)
	s_min_i32 s16, s0, s39
	v_cmpx_gt_i32_e64 s16, v0
	s_cbranch_execz .LBB12_1056
; %bb.1036:
	v_dual_mov_b32 v2, 0 :: v_dual_lshlrev_b32 v3, 1, v0
	s_add_u32 s0, s18, s14
	s_addc_u32 s2, s19, s15
	s_lshl_b32 s3, s27, 1
	s_delay_alu instid0(VALU_DEP_1) | instskip(SKIP_1) | instid1(VALU_DEP_1)
	v_mov_b32_e32 v1, v2
	v_add_co_u32 v3, s0, s0, v3
	v_add_co_ci_u32_e64 v4, null, s2, 0, s0
	s_delay_alu instid0(VALU_DEP_3)
	v_dual_mov_b32 v6, v1 :: v_dual_mov_b32 v5, v0
	s_mov_b32 s2, 0
	s_branch .LBB12_1038
.LBB12_1037:                            ;   in Loop: Header=BB12_1038 Depth=1
	s_or_b32 exec_lo, exec_lo, s0
	v_add_co_u32 v9, vcc_lo, s37, v5
	v_add_co_ci_u32_e32 v10, vcc_lo, s38, v6, vcc_lo
	v_add_co_u32 v5, vcc_lo, v5, s27
	v_add_co_ci_u32_e32 v6, vcc_lo, 0, v6, vcc_lo
	v_add_co_u32 v3, s0, v3, s3
	s_delay_alu instid0(VALU_DEP_3) | instskip(SKIP_3) | instid1(SALU_CYCLE_1)
	v_cmp_le_i32_e32 vcc_lo, s16, v5
	v_add_co_ci_u32_e64 v4, s0, 0, v4, s0
	global_store_b8 v[9:10], v8, off
	s_or_b32 s2, vcc_lo, s2
	s_and_not1_b32 exec_lo, exec_lo, s2
	s_cbranch_execz .LBB12_1056
.LBB12_1038:                            ; =>This Inner Loop Header: Depth=1
	global_load_u16 v1, v[3:4], off
	s_mov_b32 s0, exec_lo
	v_mov_b32_e32 v13, v2
	s_waitcnt vmcnt(0)
	v_lshlrev_b32_e32 v1, 16, v1
	s_delay_alu instid0(VALU_DEP_1) | instskip(NEXT) | instid1(VALU_DEP_1)
	v_div_scale_f32 v7, null, s26, s26, v1
	v_rcp_f32_e32 v8, v7
	s_waitcnt_depctr 0xfff
	v_fma_f32 v9, -v7, v8, 1.0
	s_delay_alu instid0(VALU_DEP_1) | instskip(SKIP_1) | instid1(VALU_DEP_1)
	v_fmac_f32_e32 v8, v9, v8
	v_div_scale_f32 v9, vcc_lo, v1, s26, v1
	v_mul_f32_e32 v10, v9, v8
	s_delay_alu instid0(VALU_DEP_1) | instskip(NEXT) | instid1(VALU_DEP_1)
	v_fma_f32 v11, -v7, v10, v9
	v_fmac_f32_e32 v10, v11, v8
	s_delay_alu instid0(VALU_DEP_1) | instskip(NEXT) | instid1(VALU_DEP_1)
	v_fma_f32 v7, -v7, v10, v9
	v_div_fmas_f32 v7, v7, v8, v10
	s_delay_alu instid0(VALU_DEP_1) | instskip(NEXT) | instid1(VALU_DEP_1)
	v_div_fixup_f32 v7, v7, s26, v1
	v_lshrrev_b32_e32 v9, 24, v7
	v_and_b32_e32 v12, 0x7f800000, v7
	v_and_b32_e32 v1, 0x7fffff, v7
	s_delay_alu instid0(VALU_DEP_3) | instskip(NEXT) | instid1(VALU_DEP_1)
	v_and_b32_e32 v11, 0x80, v9
	v_or_b32_e32 v8, 0x7e, v11
	s_delay_alu instid0(VALU_DEP_4)
	v_cmpx_ne_u64_e32 0x7f800000, v[12:13]
	s_xor_b32 s4, exec_lo, s0
	s_cbranch_execz .LBB12_1054
; %bb.1039:                             ;   in Loop: Header=BB12_1038 Depth=1
	v_dual_mov_b32 v10, v2 :: v_dual_and_b32 v9, 0x7fffffff, v7
	s_mov_b32 s0, exec_lo
	s_delay_alu instid0(VALU_DEP_1)
	v_cmpx_gt_u64_e32 0x43e00001, v[9:10]
	s_xor_b32 s5, exec_lo, s0
	s_cbranch_execz .LBB12_1053
; %bb.1040:                             ;   in Loop: Header=BB12_1038 Depth=1
	v_mov_b32_e32 v8, 0
	s_mov_b32 s6, exec_lo
	v_cmpx_ne_u32_e32 0, v7
	s_cbranch_execz .LBB12_1052
; %bb.1041:                             ;   in Loop: Header=BB12_1038 Depth=1
	v_bfe_u32 v12, v7, 23, 8
	v_or_b32_e32 v9, 0x800000, v1
	s_delay_alu instid0(VALU_DEP_2) | instskip(SKIP_1) | instid1(VALU_DEP_2)
	v_sub_nc_u32_e32 v7, 0x79, v12
	v_cmp_gt_u32_e32 vcc_lo, 0x7a, v12
	v_cndmask_b32_e32 v7, 0, v7, vcc_lo
	v_cmp_eq_u32_e32 vcc_lo, 0, v12
	s_delay_alu instid0(VALU_DEP_2) | instskip(SKIP_1) | instid1(VALU_DEP_2)
	v_cndmask_b32_e64 v13, v7, 0x78, vcc_lo
	v_cndmask_b32_e32 v1, v9, v1, vcc_lo
	v_add_nc_u32_e32 v7, 20, v13
	v_add_nc_u32_e32 v9, 19, v13
	s_delay_alu instid0(VALU_DEP_2) | instskip(NEXT) | instid1(VALU_DEP_2)
	v_lshlrev_b64 v[7:8], v7, -1
	v_lshlrev_b64 v[9:10], v9, 1
	s_delay_alu instid0(VALU_DEP_2) | instskip(NEXT) | instid1(VALU_DEP_3)
	v_not_b32_e32 v8, v8
	v_not_b32_e32 v7, v7
	s_delay_alu instid0(VALU_DEP_2) | instskip(NEXT) | instid1(VALU_DEP_2)
	v_and_b32_e32 v15, 0, v8
	v_and_b32_e32 v14, v1, v7
	v_lshrrev_b64 v[7:8], v13, v[1:2]
	s_delay_alu instid0(VALU_DEP_2) | instskip(NEXT) | instid1(VALU_DEP_2)
	v_cmp_eq_u64_e64 s0, v[14:15], v[9:10]
	v_dual_mov_b32 v10, v8 :: v_dual_mov_b32 v9, v7
	s_delay_alu instid0(VALU_DEP_2)
	s_and_saveexec_b32 s7, s0
; %bb.1042:                             ;   in Loop: Header=BB12_1038 Depth=1
	v_bfe_u32 v1, v7, 20, 1
	s_delay_alu instid0(VALU_DEP_1) | instskip(NEXT) | instid1(VALU_DEP_1)
	v_add_co_u32 v1, s0, v7, v1
	v_add_co_u32 v9, s0, v1, -1
; %bb.1043:                             ;   in Loop: Header=BB12_1038 Depth=1
	s_or_b32 exec_lo, exec_lo, s7
	v_add_nc_u32_e32 v1, 0xffffff81, v12
	v_lshrrev_b32_e32 v10, 23, v7
	s_mov_b32 s0, exec_lo
	s_delay_alu instid0(VALU_DEP_2) | instskip(NEXT) | instid1(VALU_DEP_1)
	v_cndmask_b32_e64 v1, v1, 0xffffff82, vcc_lo
	v_add3_u32 v10, v13, v1, v10
	v_and_b32_e32 v1, 0xfffff, v9
	s_delay_alu instid0(VALU_DEP_2) | instskip(NEXT) | instid1(VALU_DEP_2)
	v_add_nc_u32_e32 v9, 6, v10
	v_add_co_u32 v7, vcc_lo, v1, v7
	v_add_co_ci_u32_e32 v8, vcc_lo, 0, v8, vcc_lo
                                        ; implicit-def: $vgpr1
	s_delay_alu instid0(VALU_DEP_3)
	v_cmpx_ne_u32_e32 0, v9
	s_xor_b32 s0, exec_lo, s0
; %bb.1044:                             ;   in Loop: Header=BB12_1038 Depth=1
	s_delay_alu instid0(VALU_DEP_2) | instskip(SKIP_1) | instid1(VALU_DEP_1)
	v_cmp_lt_u64_e32 vcc_lo, 0xffffff, v[7:8]
	v_add_nc_u32_e32 v1, 7, v10
	v_cndmask_b32_e32 v1, v9, v1, vcc_lo
	v_cndmask_b32_e64 v9, 0, 1, vcc_lo
	s_delay_alu instid0(VALU_DEP_1)
	v_lshrrev_b64 v[7:8], v9, v[7:8]
; %bb.1045:                             ;   in Loop: Header=BB12_1038 Depth=1
	s_and_not1_saveexec_b32 s0, s0
; %bb.1046:                             ;   in Loop: Header=BB12_1038 Depth=1
	s_delay_alu instid0(VALU_DEP_1)
	v_bfe_u32 v1, v7, 23, 1
; %bb.1047:                             ;   in Loop: Header=BB12_1038 Depth=1
	s_or_b32 exec_lo, exec_lo, s0
	s_delay_alu instid0(VALU_DEP_2) | instskip(NEXT) | instid1(VALU_DEP_2)
	v_lshrrev_b64 v[7:8], 20, v[7:8]
	v_cmp_gt_i32_e32 vcc_lo, 16, v1
	v_cmp_ne_u32_e64 s0, 0, v1
	s_delay_alu instid0(VALU_DEP_3) | instskip(NEXT) | instid1(VALU_DEP_1)
	v_dual_cndmask_b32 v8, 0, v8 :: v_dual_cndmask_b32 v7, 7, v7
	v_cmp_ne_u64_e32 vcc_lo, 0, v[7:8]
                                        ; implicit-def: $vgpr8
	s_delay_alu instid0(VALU_DEP_3) | instskip(NEXT) | instid1(SALU_CYCLE_1)
	s_or_b32 s0, s0, vcc_lo
	s_and_saveexec_b32 s7, s0
	s_delay_alu instid0(SALU_CYCLE_1)
	s_xor_b32 s0, exec_lo, s7
; %bb.1048:                             ;   in Loop: Header=BB12_1038 Depth=1
	v_min_i32_e32 v1, 15, v1
	s_delay_alu instid0(VALU_DEP_1) | instskip(NEXT) | instid1(VALU_DEP_1)
	v_lshl_or_b32 v1, v1, 3, v11
                                        ; implicit-def: $vgpr11
	v_and_or_b32 v8, v7, 7, v1
; %bb.1049:                             ;   in Loop: Header=BB12_1038 Depth=1
	s_and_not1_saveexec_b32 s0, s0
; %bb.1050:                             ;   in Loop: Header=BB12_1038 Depth=1
	v_mov_b32_e32 v8, v11
; %bb.1051:                             ;   in Loop: Header=BB12_1038 Depth=1
	s_or_b32 exec_lo, exec_lo, s0
.LBB12_1052:                            ;   in Loop: Header=BB12_1038 Depth=1
	s_delay_alu instid0(SALU_CYCLE_1)
	s_or_b32 exec_lo, exec_lo, s6
.LBB12_1053:                            ;   in Loop: Header=BB12_1038 Depth=1
	s_and_not1_saveexec_b32 s0, s5
	s_delay_alu instid0(SALU_CYCLE_1)
	s_or_b32 exec_lo, exec_lo, s0
                                        ; implicit-def: $vgpr9
.LBB12_1054:                            ;   in Loop: Header=BB12_1038 Depth=1
	s_and_not1_saveexec_b32 s0, s4
	s_cbranch_execz .LBB12_1037
; %bb.1055:                             ;   in Loop: Header=BB12_1038 Depth=1
	v_cmp_eq_u64_e32 vcc_lo, 0, v[1:2]
	v_or_b32_e32 v7, 0x7f, v9
	s_delay_alu instid0(VALU_DEP_1)
	v_cndmask_b32_e32 v8, v7, v8, vcc_lo
	s_branch .LBB12_1037
.LBB12_1056:
	s_or_b32 exec_lo, exec_lo, s1
	s_sub_i32 s20, s39, s16
	s_ashr_i32 s17, s16, 31
	s_ashr_i32 s0, s20, 31
	s_mov_b32 s2, exec_lo
	s_lshr_b32 s0, s0, 29
	s_delay_alu instid0(SALU_CYCLE_1) | instskip(NEXT) | instid1(SALU_CYCLE_1)
	s_add_i32 s0, s20, s0
	s_ashr_i32 s1, s0, 3
	s_delay_alu instid0(SALU_CYCLE_1)
	v_cmpx_gt_i32_e64 s1, v0
	s_cbranch_execz .LBB12_1203
; %bb.1057:
	s_add_u32 s0, s16, s30
	s_addc_u32 s3, s17, s31
	v_dual_mov_b32 v10, 0 :: v_dual_lshlrev_b32 v1, 3, v0
	s_add_u32 s0, s0, s34
	s_addc_u32 s3, s3, s33
	s_add_u32 s0, s22, s0
	s_addc_u32 s3, s23, s3
	v_add_co_u32 v5, s0, s0, v1
	s_lshl_b64 s[4:5], s[16:17], 1
	v_add_co_ci_u32_e64 v6, null, s3, 0, s0
	s_lshl_b32 s3, s27, 3
	v_dual_mov_b32 v20, v0 :: v_dual_lshlrev_b32 v1, 4, v0
	s_add_u32 s0, s18, s4
	s_addc_u32 s4, s19, s5
	s_add_u32 s0, s0, s14
	s_addc_u32 s4, s4, s15
	v_add_co_u32 v7, s0, s0, v1
	s_delay_alu instid0(VALU_DEP_1)
	v_add_co_ci_u32_e64 v8, null, s4, 0, s0
	s_mov_b32 s4, 0
	s_lshl_b32 s5, s27, 4
	s_branch .LBB12_1059
.LBB12_1058:                            ;   in Loop: Header=BB12_1059 Depth=1
	s_or_b32 exec_lo, exec_lo, s0
	v_lshlrev_b32_e32 v3, 16, v15
	v_lshlrev_b32_e32 v4, 16, v13
	;; [unrolled: 1-line block ×5, first 2 shown]
	v_and_b32_e32 v3, 0xff0000, v3
	v_perm_b32 v1, v1, v4, 0x4020c0c
	v_and_b32_e32 v4, 0xff, v14
	v_and_b32_e32 v11, 0xff, v11
	;; [unrolled: 1-line block ×3, first 2 shown]
	v_or_b32_e32 v3, v9, v3
	v_and_or_b32 v1, 0xff00, v12, v1
	v_add_nc_u32_e32 v20, s27, v20
	s_delay_alu instid0(VALU_DEP_3) | instskip(NEXT) | instid1(VALU_DEP_3)
	v_or3_b32 v2, v3, v2, v4
	v_or_b32_e32 v1, v1, v11
	s_delay_alu instid0(VALU_DEP_3) | instskip(SKIP_2) | instid1(VALU_DEP_1)
	v_cmp_le_i32_e32 vcc_lo, s1, v20
	global_store_b64 v[5:6], v[1:2], off
	v_add_co_u32 v5, s0, v5, s3
	v_add_co_ci_u32_e64 v6, s0, 0, v6, s0
	v_add_co_u32 v7, s0, v7, s5
	s_delay_alu instid0(VALU_DEP_1) | instskip(SKIP_1) | instid1(SALU_CYCLE_1)
	v_add_co_ci_u32_e64 v8, s0, 0, v8, s0
	s_or_b32 s4, vcc_lo, s4
	s_and_not1_b32 exec_lo, exec_lo, s4
	s_cbranch_execz .LBB12_1203
.LBB12_1059:                            ; =>This Inner Loop Header: Depth=1
	global_load_b128 v[1:4], v[7:8], off
	s_mov_b32 s0, exec_lo
	s_waitcnt vmcnt(0)
	v_dual_mov_b32 v16, v10 :: v_dual_lshlrev_b32 v9, 16, v1
	s_delay_alu instid0(VALU_DEP_1) | instskip(NEXT) | instid1(VALU_DEP_1)
	v_div_scale_f32 v11, null, s26, s26, v9
	v_rcp_f32_e32 v12, v11
	s_waitcnt_depctr 0xfff
	v_fma_f32 v13, -v11, v12, 1.0
	s_delay_alu instid0(VALU_DEP_1) | instskip(SKIP_1) | instid1(VALU_DEP_1)
	v_fmac_f32_e32 v12, v13, v12
	v_div_scale_f32 v13, vcc_lo, v9, s26, v9
	v_mul_f32_e32 v14, v13, v12
	s_delay_alu instid0(VALU_DEP_1) | instskip(NEXT) | instid1(VALU_DEP_1)
	v_fma_f32 v15, -v11, v14, v13
	v_fmac_f32_e32 v14, v15, v12
	s_delay_alu instid0(VALU_DEP_1) | instskip(NEXT) | instid1(VALU_DEP_1)
	v_fma_f32 v11, -v11, v14, v13
	v_div_fmas_f32 v11, v11, v12, v14
	s_delay_alu instid0(VALU_DEP_1) | instskip(NEXT) | instid1(VALU_DEP_1)
	v_div_fixup_f32 v14, v11, s26, v9
	v_lshrrev_b32_e32 v12, 24, v14
	v_and_b32_e32 v15, 0x7f800000, v14
	v_and_b32_e32 v9, 0x7fffff, v14
	s_delay_alu instid0(VALU_DEP_3) | instskip(NEXT) | instid1(VALU_DEP_1)
	v_and_b32_e32 v13, 0x80, v12
	v_or_b32_e32 v11, 0x7e, v13
	s_delay_alu instid0(VALU_DEP_4)
	v_cmpx_ne_u64_e32 0x7f800000, v[15:16]
	s_xor_b32 s6, exec_lo, s0
	s_cbranch_execz .LBB12_1075
; %bb.1060:                             ;   in Loop: Header=BB12_1059 Depth=1
	v_dual_mov_b32 v16, v10 :: v_dual_and_b32 v15, 0x7fffffff, v14
	s_mov_b32 s0, exec_lo
	s_delay_alu instid0(VALU_DEP_1)
	v_cmpx_gt_u64_e32 0x43e00001, v[15:16]
	s_xor_b32 s7, exec_lo, s0
	s_cbranch_execz .LBB12_1074
; %bb.1061:                             ;   in Loop: Header=BB12_1059 Depth=1
	s_mov_b32 s8, exec_lo
	v_mov_b32_e32 v11, 0
	v_mov_b32_e32 v12, 0
	v_cmpx_ne_u32_e32 0, v14
	s_cbranch_execz .LBB12_1073
; %bb.1062:                             ;   in Loop: Header=BB12_1059 Depth=1
	v_bfe_u32 v16, v14, 23, 8
	v_or_b32_e32 v14, 0x800000, v9
	s_delay_alu instid0(VALU_DEP_2) | instskip(SKIP_1) | instid1(VALU_DEP_2)
	v_sub_nc_u32_e32 v11, 0x79, v16
	v_cmp_gt_u32_e32 vcc_lo, 0x7a, v16
	v_cndmask_b32_e32 v11, 0, v11, vcc_lo
	v_cmp_eq_u32_e32 vcc_lo, 0, v16
	s_delay_alu instid0(VALU_DEP_2) | instskip(SKIP_1) | instid1(VALU_DEP_2)
	v_cndmask_b32_e64 v17, v11, 0x78, vcc_lo
	v_cndmask_b32_e32 v9, v14, v9, vcc_lo
	v_add_nc_u32_e32 v11, 20, v17
	v_add_nc_u32_e32 v14, 19, v17
	s_delay_alu instid0(VALU_DEP_2) | instskip(NEXT) | instid1(VALU_DEP_2)
	v_lshlrev_b64 v[11:12], v11, -1
	v_lshlrev_b64 v[14:15], v14, 1
	s_delay_alu instid0(VALU_DEP_2) | instskip(NEXT) | instid1(VALU_DEP_3)
	v_not_b32_e32 v12, v12
	v_not_b32_e32 v11, v11
	s_delay_alu instid0(VALU_DEP_2) | instskip(NEXT) | instid1(VALU_DEP_2)
	v_and_b32_e32 v19, 0, v12
	v_and_b32_e32 v18, v9, v11
	v_lshrrev_b64 v[11:12], v17, v[9:10]
	s_delay_alu instid0(VALU_DEP_2) | instskip(NEXT) | instid1(VALU_DEP_2)
	v_cmp_eq_u64_e64 s0, v[18:19], v[14:15]
	v_dual_mov_b32 v15, v12 :: v_dual_mov_b32 v14, v11
	s_delay_alu instid0(VALU_DEP_2)
	s_and_saveexec_b32 s9, s0
; %bb.1063:                             ;   in Loop: Header=BB12_1059 Depth=1
	v_bfe_u32 v9, v11, 20, 1
	s_delay_alu instid0(VALU_DEP_1) | instskip(NEXT) | instid1(VALU_DEP_1)
	v_add_co_u32 v9, s0, v11, v9
	v_add_co_u32 v14, s0, v9, -1
; %bb.1064:                             ;   in Loop: Header=BB12_1059 Depth=1
	s_or_b32 exec_lo, exec_lo, s9
	v_add_nc_u32_e32 v9, 0xffffff81, v16
	v_lshrrev_b32_e32 v15, 23, v11
	s_mov_b32 s0, exec_lo
	s_delay_alu instid0(VALU_DEP_2) | instskip(NEXT) | instid1(VALU_DEP_1)
	v_cndmask_b32_e64 v9, v9, 0xffffff82, vcc_lo
	v_add3_u32 v15, v17, v9, v15
	v_and_b32_e32 v9, 0xfffff, v14
	s_delay_alu instid0(VALU_DEP_2) | instskip(NEXT) | instid1(VALU_DEP_2)
	v_add_nc_u32_e32 v14, 6, v15
	v_add_co_u32 v11, vcc_lo, v9, v11
	v_add_co_ci_u32_e32 v12, vcc_lo, 0, v12, vcc_lo
                                        ; implicit-def: $vgpr9
	s_delay_alu instid0(VALU_DEP_3)
	v_cmpx_ne_u32_e32 0, v14
	s_xor_b32 s0, exec_lo, s0
; %bb.1065:                             ;   in Loop: Header=BB12_1059 Depth=1
	s_delay_alu instid0(VALU_DEP_2) | instskip(SKIP_1) | instid1(VALU_DEP_1)
	v_cmp_lt_u64_e32 vcc_lo, 0xffffff, v[11:12]
	v_add_nc_u32_e32 v9, 7, v15
	v_cndmask_b32_e32 v9, v14, v9, vcc_lo
	v_cndmask_b32_e64 v14, 0, 1, vcc_lo
	s_delay_alu instid0(VALU_DEP_1)
	v_lshrrev_b64 v[11:12], v14, v[11:12]
; %bb.1066:                             ;   in Loop: Header=BB12_1059 Depth=1
	s_and_not1_saveexec_b32 s0, s0
; %bb.1067:                             ;   in Loop: Header=BB12_1059 Depth=1
	s_delay_alu instid0(VALU_DEP_1)
	v_bfe_u32 v9, v11, 23, 1
; %bb.1068:                             ;   in Loop: Header=BB12_1059 Depth=1
	s_or_b32 exec_lo, exec_lo, s0
	s_delay_alu instid0(VALU_DEP_2) | instskip(NEXT) | instid1(VALU_DEP_2)
	v_lshrrev_b64 v[11:12], 20, v[11:12]
	v_cmp_gt_i32_e32 vcc_lo, 16, v9
	v_cmp_ne_u32_e64 s0, 0, v9
	s_delay_alu instid0(VALU_DEP_3) | instskip(NEXT) | instid1(VALU_DEP_1)
	v_dual_cndmask_b32 v15, 0, v12 :: v_dual_cndmask_b32 v14, 7, v11
                                        ; implicit-def: $vgpr11_vgpr12
	v_cmp_ne_u64_e32 vcc_lo, 0, v[14:15]
	s_delay_alu instid0(VALU_DEP_3) | instskip(NEXT) | instid1(SALU_CYCLE_1)
	s_or_b32 s0, s0, vcc_lo
	s_and_saveexec_b32 s9, s0
	s_delay_alu instid0(SALU_CYCLE_1)
	s_xor_b32 s0, exec_lo, s9
; %bb.1069:                             ;   in Loop: Header=BB12_1059 Depth=1
	v_min_i32_e32 v9, 15, v9
	s_delay_alu instid0(VALU_DEP_1) | instskip(NEXT) | instid1(VALU_DEP_1)
	v_lshl_or_b32 v9, v9, 3, v13
                                        ; implicit-def: $vgpr13
	v_and_or_b32 v11, v14, 7, v9
; %bb.1070:                             ;   in Loop: Header=BB12_1059 Depth=1
	s_and_not1_saveexec_b32 s0, s0
; %bb.1071:                             ;   in Loop: Header=BB12_1059 Depth=1
	v_dual_mov_b32 v11, v13 :: v_dual_mov_b32 v12, v14
; %bb.1072:                             ;   in Loop: Header=BB12_1059 Depth=1
	s_or_b32 exec_lo, exec_lo, s0
.LBB12_1073:                            ;   in Loop: Header=BB12_1059 Depth=1
	s_delay_alu instid0(SALU_CYCLE_1)
	s_or_b32 exec_lo, exec_lo, s8
.LBB12_1074:                            ;   in Loop: Header=BB12_1059 Depth=1
	s_and_not1_saveexec_b32 s0, s7
	s_delay_alu instid0(SALU_CYCLE_1)
	s_or_b32 exec_lo, exec_lo, s0
                                        ; implicit-def: $vgpr12
.LBB12_1075:                            ;   in Loop: Header=BB12_1059 Depth=1
	s_and_not1_saveexec_b32 s0, s6
; %bb.1076:                             ;   in Loop: Header=BB12_1059 Depth=1
	v_cmp_eq_u64_e32 vcc_lo, 0, v[9:10]
	v_or_b32_e32 v12, 0x7f, v12
	s_delay_alu instid0(VALU_DEP_1)
	v_cndmask_b32_e32 v11, v12, v11, vcc_lo
; %bb.1077:                             ;   in Loop: Header=BB12_1059 Depth=1
	s_or_b32 exec_lo, exec_lo, s0
	v_and_b32_e32 v1, 0xffff0000, v1
	s_mov_b32 s0, exec_lo
	v_mov_b32_e32 v16, v10
	s_delay_alu instid0(VALU_DEP_2) | instskip(NEXT) | instid1(VALU_DEP_1)
	v_div_scale_f32 v9, null, s26, s26, v1
	v_rcp_f32_e32 v12, v9
	s_waitcnt_depctr 0xfff
	v_fma_f32 v13, -v9, v12, 1.0
	s_delay_alu instid0(VALU_DEP_1) | instskip(SKIP_1) | instid1(VALU_DEP_1)
	v_fmac_f32_e32 v12, v13, v12
	v_div_scale_f32 v13, vcc_lo, v1, s26, v1
	v_mul_f32_e32 v14, v13, v12
	s_delay_alu instid0(VALU_DEP_1) | instskip(NEXT) | instid1(VALU_DEP_1)
	v_fma_f32 v15, -v9, v14, v13
	v_fmac_f32_e32 v14, v15, v12
	s_delay_alu instid0(VALU_DEP_1) | instskip(NEXT) | instid1(VALU_DEP_1)
	v_fma_f32 v9, -v9, v14, v13
	v_div_fmas_f32 v9, v9, v12, v14
	s_delay_alu instid0(VALU_DEP_1) | instskip(NEXT) | instid1(VALU_DEP_1)
	v_div_fixup_f32 v14, v9, s26, v1
	v_lshrrev_b32_e32 v13, 24, v14
	v_and_b32_e32 v15, 0x7f800000, v14
	v_and_b32_e32 v9, 0x7fffff, v14
	s_delay_alu instid0(VALU_DEP_3) | instskip(NEXT) | instid1(VALU_DEP_1)
	v_and_b32_e32 v1, 0x80, v13
	v_or_b32_e32 v12, 0x7e, v1
	s_delay_alu instid0(VALU_DEP_4)
	v_cmpx_ne_u64_e32 0x7f800000, v[15:16]
	s_xor_b32 s6, exec_lo, s0
	s_cbranch_execz .LBB12_1093
; %bb.1078:                             ;   in Loop: Header=BB12_1059 Depth=1
	v_dual_mov_b32 v16, v10 :: v_dual_and_b32 v15, 0x7fffffff, v14
	s_mov_b32 s0, exec_lo
	s_delay_alu instid0(VALU_DEP_1)
	v_cmpx_gt_u64_e32 0x43e00001, v[15:16]
	s_xor_b32 s7, exec_lo, s0
	s_cbranch_execz .LBB12_1092
; %bb.1079:                             ;   in Loop: Header=BB12_1059 Depth=1
	s_mov_b32 s8, exec_lo
	v_mov_b32_e32 v12, 0
	v_mov_b32_e32 v13, 0
	v_cmpx_ne_u32_e32 0, v14
	s_cbranch_execz .LBB12_1091
; %bb.1080:                             ;   in Loop: Header=BB12_1059 Depth=1
	v_bfe_u32 v16, v14, 23, 8
	v_or_b32_e32 v14, 0x800000, v9
	s_delay_alu instid0(VALU_DEP_2) | instskip(SKIP_1) | instid1(VALU_DEP_2)
	v_sub_nc_u32_e32 v12, 0x79, v16
	v_cmp_gt_u32_e32 vcc_lo, 0x7a, v16
	v_cndmask_b32_e32 v12, 0, v12, vcc_lo
	v_cmp_eq_u32_e32 vcc_lo, 0, v16
	v_cndmask_b32_e32 v9, v14, v9, vcc_lo
	s_delay_alu instid0(VALU_DEP_3) | instskip(NEXT) | instid1(VALU_DEP_1)
	v_cndmask_b32_e64 v17, v12, 0x78, vcc_lo
	v_add_nc_u32_e32 v12, 20, v17
	v_add_nc_u32_e32 v14, 19, v17
	s_delay_alu instid0(VALU_DEP_2) | instskip(NEXT) | instid1(VALU_DEP_2)
	v_lshlrev_b64 v[12:13], v12, -1
	v_lshlrev_b64 v[14:15], v14, 1
	s_delay_alu instid0(VALU_DEP_2) | instskip(NEXT) | instid1(VALU_DEP_3)
	v_not_b32_e32 v13, v13
	v_not_b32_e32 v12, v12
	s_delay_alu instid0(VALU_DEP_2) | instskip(NEXT) | instid1(VALU_DEP_2)
	v_and_b32_e32 v19, 0, v13
	v_and_b32_e32 v18, v9, v12
	v_lshrrev_b64 v[12:13], v17, v[9:10]
	s_delay_alu instid0(VALU_DEP_2) | instskip(NEXT) | instid1(VALU_DEP_2)
	v_cmp_eq_u64_e64 s0, v[18:19], v[14:15]
	v_dual_mov_b32 v15, v13 :: v_dual_mov_b32 v14, v12
	s_delay_alu instid0(VALU_DEP_2)
	s_and_saveexec_b32 s9, s0
; %bb.1081:                             ;   in Loop: Header=BB12_1059 Depth=1
	v_bfe_u32 v9, v12, 20, 1
	s_delay_alu instid0(VALU_DEP_1) | instskip(NEXT) | instid1(VALU_DEP_1)
	v_add_co_u32 v9, s0, v12, v9
	v_add_co_u32 v14, s0, v9, -1
; %bb.1082:                             ;   in Loop: Header=BB12_1059 Depth=1
	s_or_b32 exec_lo, exec_lo, s9
	v_add_nc_u32_e32 v9, 0xffffff81, v16
	v_lshrrev_b32_e32 v15, 23, v12
	s_mov_b32 s0, exec_lo
	s_delay_alu instid0(VALU_DEP_2) | instskip(NEXT) | instid1(VALU_DEP_1)
	v_cndmask_b32_e64 v9, v9, 0xffffff82, vcc_lo
	v_add3_u32 v15, v17, v9, v15
	v_and_b32_e32 v9, 0xfffff, v14
	s_delay_alu instid0(VALU_DEP_2) | instskip(NEXT) | instid1(VALU_DEP_2)
	v_add_nc_u32_e32 v14, 6, v15
	v_add_co_u32 v12, vcc_lo, v9, v12
	v_add_co_ci_u32_e32 v13, vcc_lo, 0, v13, vcc_lo
                                        ; implicit-def: $vgpr9
	s_delay_alu instid0(VALU_DEP_3)
	v_cmpx_ne_u32_e32 0, v14
	s_xor_b32 s0, exec_lo, s0
; %bb.1083:                             ;   in Loop: Header=BB12_1059 Depth=1
	s_delay_alu instid0(VALU_DEP_2) | instskip(SKIP_1) | instid1(VALU_DEP_1)
	v_cmp_lt_u64_e32 vcc_lo, 0xffffff, v[12:13]
	v_add_nc_u32_e32 v9, 7, v15
	v_cndmask_b32_e32 v9, v14, v9, vcc_lo
	v_cndmask_b32_e64 v14, 0, 1, vcc_lo
	s_delay_alu instid0(VALU_DEP_1)
	v_lshrrev_b64 v[12:13], v14, v[12:13]
; %bb.1084:                             ;   in Loop: Header=BB12_1059 Depth=1
	s_and_not1_saveexec_b32 s0, s0
; %bb.1085:                             ;   in Loop: Header=BB12_1059 Depth=1
	s_delay_alu instid0(VALU_DEP_1)
	v_bfe_u32 v9, v12, 23, 1
; %bb.1086:                             ;   in Loop: Header=BB12_1059 Depth=1
	s_or_b32 exec_lo, exec_lo, s0
	s_delay_alu instid0(VALU_DEP_2) | instskip(NEXT) | instid1(VALU_DEP_2)
	v_lshrrev_b64 v[12:13], 20, v[12:13]
	v_cmp_gt_i32_e32 vcc_lo, 16, v9
	v_cmp_ne_u32_e64 s0, 0, v9
	s_delay_alu instid0(VALU_DEP_3) | instskip(NEXT) | instid1(VALU_DEP_1)
	v_dual_cndmask_b32 v15, 0, v13 :: v_dual_cndmask_b32 v14, 7, v12
                                        ; implicit-def: $vgpr12_vgpr13
	v_cmp_ne_u64_e32 vcc_lo, 0, v[14:15]
	s_delay_alu instid0(VALU_DEP_3) | instskip(NEXT) | instid1(SALU_CYCLE_1)
	s_or_b32 s0, s0, vcc_lo
	s_and_saveexec_b32 s9, s0
	s_delay_alu instid0(SALU_CYCLE_1)
	s_xor_b32 s0, exec_lo, s9
; %bb.1087:                             ;   in Loop: Header=BB12_1059 Depth=1
	v_min_i32_e32 v9, 15, v9
	s_delay_alu instid0(VALU_DEP_1) | instskip(NEXT) | instid1(VALU_DEP_1)
	v_lshl_or_b32 v1, v9, 3, v1
	v_and_or_b32 v12, v14, 7, v1
                                        ; implicit-def: $vgpr1
; %bb.1088:                             ;   in Loop: Header=BB12_1059 Depth=1
	s_and_not1_saveexec_b32 s0, s0
; %bb.1089:                             ;   in Loop: Header=BB12_1059 Depth=1
	v_dual_mov_b32 v13, v2 :: v_dual_mov_b32 v12, v1
; %bb.1090:                             ;   in Loop: Header=BB12_1059 Depth=1
	s_or_b32 exec_lo, exec_lo, s0
.LBB12_1091:                            ;   in Loop: Header=BB12_1059 Depth=1
	s_delay_alu instid0(SALU_CYCLE_1)
	s_or_b32 exec_lo, exec_lo, s8
.LBB12_1092:                            ;   in Loop: Header=BB12_1059 Depth=1
	s_and_not1_saveexec_b32 s0, s7
	s_delay_alu instid0(SALU_CYCLE_1)
	s_or_b32 exec_lo, exec_lo, s0
                                        ; implicit-def: $vgpr13
.LBB12_1093:                            ;   in Loop: Header=BB12_1059 Depth=1
	s_and_not1_saveexec_b32 s0, s6
; %bb.1094:                             ;   in Loop: Header=BB12_1059 Depth=1
	v_cmp_eq_u64_e32 vcc_lo, 0, v[9:10]
	v_or_b32_e32 v1, 0x7f, v13
	s_delay_alu instid0(VALU_DEP_1)
	v_cndmask_b32_e32 v12, v1, v12, vcc_lo
; %bb.1095:                             ;   in Loop: Header=BB12_1059 Depth=1
	s_or_b32 exec_lo, exec_lo, s0
	v_lshlrev_b32_e32 v1, 16, v2
	v_mov_b32_e32 v17, v10
	s_mov_b32 s0, exec_lo
	s_delay_alu instid0(VALU_DEP_2) | instskip(NEXT) | instid1(VALU_DEP_1)
	v_div_scale_f32 v9, null, s26, s26, v1
	v_rcp_f32_e32 v13, v9
	s_waitcnt_depctr 0xfff
	v_fma_f32 v14, -v9, v13, 1.0
	s_delay_alu instid0(VALU_DEP_1) | instskip(SKIP_1) | instid1(VALU_DEP_1)
	v_fmac_f32_e32 v13, v14, v13
	v_div_scale_f32 v14, vcc_lo, v1, s26, v1
	v_mul_f32_e32 v15, v14, v13
	s_delay_alu instid0(VALU_DEP_1) | instskip(NEXT) | instid1(VALU_DEP_1)
	v_fma_f32 v16, -v9, v15, v14
	v_fmac_f32_e32 v15, v16, v13
	s_delay_alu instid0(VALU_DEP_1) | instskip(NEXT) | instid1(VALU_DEP_1)
	v_fma_f32 v9, -v9, v15, v14
	v_div_fmas_f32 v9, v9, v13, v15
	s_delay_alu instid0(VALU_DEP_1) | instskip(NEXT) | instid1(VALU_DEP_1)
	v_div_fixup_f32 v15, v9, s26, v1
	v_and_b32_e32 v16, 0x7f800000, v15
	v_lshrrev_b32_e32 v14, 24, v15
	v_and_b32_e32 v9, 0x7fffff, v15
	s_delay_alu instid0(VALU_DEP_2) | instskip(NEXT) | instid1(VALU_DEP_1)
	v_and_b32_e32 v1, 0x80, v14
	v_or_b32_e32 v13, 0x7e, v1
	v_cmpx_ne_u64_e32 0x7f800000, v[16:17]
	s_xor_b32 s6, exec_lo, s0
	s_cbranch_execz .LBB12_1111
; %bb.1096:                             ;   in Loop: Header=BB12_1059 Depth=1
	v_dual_mov_b32 v17, v10 :: v_dual_and_b32 v16, 0x7fffffff, v15
	s_mov_b32 s0, exec_lo
	s_delay_alu instid0(VALU_DEP_1)
	v_cmpx_gt_u64_e32 0x43e00001, v[16:17]
	s_xor_b32 s7, exec_lo, s0
	s_cbranch_execz .LBB12_1110
; %bb.1097:                             ;   in Loop: Header=BB12_1059 Depth=1
	s_mov_b32 s8, exec_lo
	v_mov_b32_e32 v13, 0
	v_mov_b32_e32 v14, 0
	v_cmpx_ne_u32_e32 0, v15
	s_cbranch_execz .LBB12_1109
; %bb.1098:                             ;   in Loop: Header=BB12_1059 Depth=1
	v_bfe_u32 v17, v15, 23, 8
	v_or_b32_e32 v15, 0x800000, v9
	s_delay_alu instid0(VALU_DEP_2) | instskip(SKIP_1) | instid1(VALU_DEP_2)
	v_sub_nc_u32_e32 v13, 0x79, v17
	v_cmp_gt_u32_e32 vcc_lo, 0x7a, v17
	v_cndmask_b32_e32 v13, 0, v13, vcc_lo
	v_cmp_eq_u32_e32 vcc_lo, 0, v17
	s_delay_alu instid0(VALU_DEP_2) | instskip(SKIP_1) | instid1(VALU_DEP_2)
	v_cndmask_b32_e64 v18, v13, 0x78, vcc_lo
	v_cndmask_b32_e32 v9, v15, v9, vcc_lo
	v_add_nc_u32_e32 v13, 20, v18
	v_add_nc_u32_e32 v15, 19, v18
	s_delay_alu instid0(VALU_DEP_2) | instskip(NEXT) | instid1(VALU_DEP_2)
	v_lshlrev_b64 v[13:14], v13, -1
	v_lshlrev_b64 v[15:16], v15, 1
	s_delay_alu instid0(VALU_DEP_2) | instskip(NEXT) | instid1(VALU_DEP_3)
	v_not_b32_e32 v14, v14
	v_not_b32_e32 v13, v13
	s_delay_alu instid0(VALU_DEP_2) | instskip(NEXT) | instid1(VALU_DEP_2)
	v_and_b32_e32 v22, 0, v14
	v_and_b32_e32 v21, v9, v13
	v_lshrrev_b64 v[13:14], v18, v[9:10]
	s_delay_alu instid0(VALU_DEP_2) | instskip(NEXT) | instid1(VALU_DEP_2)
	v_cmp_eq_u64_e64 s0, v[21:22], v[15:16]
	v_dual_mov_b32 v16, v14 :: v_dual_mov_b32 v15, v13
	s_delay_alu instid0(VALU_DEP_2)
	s_and_saveexec_b32 s9, s0
; %bb.1099:                             ;   in Loop: Header=BB12_1059 Depth=1
	v_bfe_u32 v9, v13, 20, 1
	s_delay_alu instid0(VALU_DEP_1) | instskip(NEXT) | instid1(VALU_DEP_1)
	v_add_co_u32 v9, s0, v13, v9
	v_add_co_u32 v15, s0, v9, -1
; %bb.1100:                             ;   in Loop: Header=BB12_1059 Depth=1
	s_or_b32 exec_lo, exec_lo, s9
	v_add_nc_u32_e32 v9, 0xffffff81, v17
	v_lshrrev_b32_e32 v16, 23, v13
	s_mov_b32 s0, exec_lo
	s_delay_alu instid0(VALU_DEP_2) | instskip(NEXT) | instid1(VALU_DEP_1)
	v_cndmask_b32_e64 v9, v9, 0xffffff82, vcc_lo
	v_add3_u32 v16, v18, v9, v16
	v_and_b32_e32 v9, 0xfffff, v15
	s_delay_alu instid0(VALU_DEP_2) | instskip(NEXT) | instid1(VALU_DEP_2)
	v_add_nc_u32_e32 v15, 6, v16
	v_add_co_u32 v13, vcc_lo, v9, v13
	v_add_co_ci_u32_e32 v14, vcc_lo, 0, v14, vcc_lo
                                        ; implicit-def: $vgpr9
	s_delay_alu instid0(VALU_DEP_3)
	v_cmpx_ne_u32_e32 0, v15
	s_xor_b32 s0, exec_lo, s0
; %bb.1101:                             ;   in Loop: Header=BB12_1059 Depth=1
	s_delay_alu instid0(VALU_DEP_2) | instskip(SKIP_1) | instid1(VALU_DEP_1)
	v_cmp_lt_u64_e32 vcc_lo, 0xffffff, v[13:14]
	v_add_nc_u32_e32 v9, 7, v16
	v_cndmask_b32_e32 v9, v15, v9, vcc_lo
	v_cndmask_b32_e64 v15, 0, 1, vcc_lo
	s_delay_alu instid0(VALU_DEP_1)
	v_lshrrev_b64 v[13:14], v15, v[13:14]
; %bb.1102:                             ;   in Loop: Header=BB12_1059 Depth=1
	s_and_not1_saveexec_b32 s0, s0
; %bb.1103:                             ;   in Loop: Header=BB12_1059 Depth=1
	s_delay_alu instid0(VALU_DEP_1)
	v_bfe_u32 v9, v13, 23, 1
; %bb.1104:                             ;   in Loop: Header=BB12_1059 Depth=1
	s_or_b32 exec_lo, exec_lo, s0
	s_delay_alu instid0(VALU_DEP_2) | instskip(NEXT) | instid1(VALU_DEP_2)
	v_lshrrev_b64 v[13:14], 20, v[13:14]
	v_cmp_gt_i32_e32 vcc_lo, 16, v9
	v_cmp_ne_u32_e64 s0, 0, v9
	s_delay_alu instid0(VALU_DEP_3) | instskip(NEXT) | instid1(VALU_DEP_1)
	v_dual_cndmask_b32 v16, 0, v14 :: v_dual_cndmask_b32 v15, 7, v13
                                        ; implicit-def: $vgpr13_vgpr14
	v_cmp_ne_u64_e32 vcc_lo, 0, v[15:16]
	s_delay_alu instid0(VALU_DEP_3) | instskip(NEXT) | instid1(SALU_CYCLE_1)
	s_or_b32 s0, s0, vcc_lo
	s_and_saveexec_b32 s9, s0
	s_delay_alu instid0(SALU_CYCLE_1)
	s_xor_b32 s0, exec_lo, s9
; %bb.1105:                             ;   in Loop: Header=BB12_1059 Depth=1
	v_min_i32_e32 v9, 15, v9
	s_delay_alu instid0(VALU_DEP_1) | instskip(NEXT) | instid1(VALU_DEP_1)
	v_lshl_or_b32 v1, v9, 3, v1
	v_and_or_b32 v13, v15, 7, v1
                                        ; implicit-def: $vgpr1
; %bb.1106:                             ;   in Loop: Header=BB12_1059 Depth=1
	s_and_not1_saveexec_b32 s0, s0
; %bb.1107:                             ;   in Loop: Header=BB12_1059 Depth=1
	v_dual_mov_b32 v14, v2 :: v_dual_mov_b32 v13, v1
; %bb.1108:                             ;   in Loop: Header=BB12_1059 Depth=1
	s_or_b32 exec_lo, exec_lo, s0
.LBB12_1109:                            ;   in Loop: Header=BB12_1059 Depth=1
	s_delay_alu instid0(SALU_CYCLE_1)
	s_or_b32 exec_lo, exec_lo, s8
.LBB12_1110:                            ;   in Loop: Header=BB12_1059 Depth=1
	s_and_not1_saveexec_b32 s0, s7
	s_delay_alu instid0(SALU_CYCLE_1)
	s_or_b32 exec_lo, exec_lo, s0
                                        ; implicit-def: $vgpr14
.LBB12_1111:                            ;   in Loop: Header=BB12_1059 Depth=1
	s_and_not1_saveexec_b32 s0, s6
; %bb.1112:                             ;   in Loop: Header=BB12_1059 Depth=1
	v_cmp_eq_u64_e32 vcc_lo, 0, v[9:10]
	v_or_b32_e32 v1, 0x7f, v14
	s_delay_alu instid0(VALU_DEP_1)
	v_cndmask_b32_e32 v13, v1, v13, vcc_lo
; %bb.1113:                             ;   in Loop: Header=BB12_1059 Depth=1
	s_or_b32 exec_lo, exec_lo, s0
	v_and_b32_e32 v1, 0xffff0000, v2
	v_mov_b32_e32 v17, v10
	s_mov_b32 s0, exec_lo
	s_delay_alu instid0(VALU_DEP_2) | instskip(NEXT) | instid1(VALU_DEP_1)
	v_div_scale_f32 v2, null, s26, s26, v1
	v_rcp_f32_e32 v9, v2
	s_waitcnt_depctr 0xfff
	v_fma_f32 v14, -v2, v9, 1.0
	s_delay_alu instid0(VALU_DEP_1) | instskip(SKIP_1) | instid1(VALU_DEP_1)
	v_fmac_f32_e32 v9, v14, v9
	v_div_scale_f32 v14, vcc_lo, v1, s26, v1
	v_mul_f32_e32 v15, v14, v9
	s_delay_alu instid0(VALU_DEP_1) | instskip(NEXT) | instid1(VALU_DEP_1)
	v_fma_f32 v16, -v2, v15, v14
	v_fmac_f32_e32 v15, v16, v9
	s_delay_alu instid0(VALU_DEP_1) | instskip(NEXT) | instid1(VALU_DEP_1)
	v_fma_f32 v2, -v2, v15, v14
	v_div_fmas_f32 v2, v2, v9, v15
	s_delay_alu instid0(VALU_DEP_1) | instskip(NEXT) | instid1(VALU_DEP_1)
	v_div_fixup_f32 v15, v2, s26, v1
	v_lshrrev_b32_e32 v2, 24, v15
	v_and_b32_e32 v16, 0x7f800000, v15
	v_and_b32_e32 v9, 0x7fffff, v15
	s_delay_alu instid0(VALU_DEP_3) | instskip(NEXT) | instid1(VALU_DEP_1)
	v_and_b32_e32 v14, 0x80, v2
	v_or_b32_e32 v1, 0x7e, v14
	s_delay_alu instid0(VALU_DEP_4)
	v_cmpx_ne_u64_e32 0x7f800000, v[16:17]
	s_xor_b32 s6, exec_lo, s0
	s_cbranch_execz .LBB12_1129
; %bb.1114:                             ;   in Loop: Header=BB12_1059 Depth=1
	v_dual_mov_b32 v17, v10 :: v_dual_and_b32 v16, 0x7fffffff, v15
	s_mov_b32 s0, exec_lo
	s_delay_alu instid0(VALU_DEP_1)
	v_cmpx_gt_u64_e32 0x43e00001, v[16:17]
	s_xor_b32 s7, exec_lo, s0
	s_cbranch_execz .LBB12_1128
; %bb.1115:                             ;   in Loop: Header=BB12_1059 Depth=1
	s_mov_b32 s8, exec_lo
	v_mov_b32_e32 v1, 0
	v_mov_b32_e32 v2, 0
	v_cmpx_ne_u32_e32 0, v15
	s_cbranch_execz .LBB12_1127
; %bb.1116:                             ;   in Loop: Header=BB12_1059 Depth=1
	v_bfe_u32 v17, v15, 23, 8
	v_or_b32_e32 v15, 0x800000, v9
	s_delay_alu instid0(VALU_DEP_2) | instskip(SKIP_1) | instid1(VALU_DEP_2)
	v_sub_nc_u32_e32 v1, 0x79, v17
	v_cmp_gt_u32_e32 vcc_lo, 0x7a, v17
	v_cndmask_b32_e32 v1, 0, v1, vcc_lo
	v_cmp_eq_u32_e32 vcc_lo, 0, v17
	s_delay_alu instid0(VALU_DEP_2) | instskip(SKIP_1) | instid1(VALU_DEP_2)
	v_cndmask_b32_e64 v18, v1, 0x78, vcc_lo
	v_cndmask_b32_e32 v9, v15, v9, vcc_lo
	v_add_nc_u32_e32 v1, 20, v18
	v_add_nc_u32_e32 v15, 19, v18
	s_delay_alu instid0(VALU_DEP_2) | instskip(NEXT) | instid1(VALU_DEP_2)
	v_lshlrev_b64 v[1:2], v1, -1
	v_lshlrev_b64 v[15:16], v15, 1
	s_delay_alu instid0(VALU_DEP_2) | instskip(NEXT) | instid1(VALU_DEP_3)
	v_not_b32_e32 v2, v2
	v_not_b32_e32 v1, v1
	s_delay_alu instid0(VALU_DEP_2) | instskip(NEXT) | instid1(VALU_DEP_2)
	v_and_b32_e32 v22, 0, v2
	v_and_b32_e32 v21, v9, v1
	v_lshrrev_b64 v[1:2], v18, v[9:10]
	s_delay_alu instid0(VALU_DEP_2) | instskip(NEXT) | instid1(VALU_DEP_2)
	v_cmp_eq_u64_e64 s0, v[21:22], v[15:16]
	v_dual_mov_b32 v16, v2 :: v_dual_mov_b32 v15, v1
	s_delay_alu instid0(VALU_DEP_2)
	s_and_saveexec_b32 s9, s0
; %bb.1117:                             ;   in Loop: Header=BB12_1059 Depth=1
	v_bfe_u32 v9, v1, 20, 1
	s_delay_alu instid0(VALU_DEP_1) | instskip(NEXT) | instid1(VALU_DEP_1)
	v_add_co_u32 v9, s0, v1, v9
	v_add_co_u32 v15, s0, v9, -1
; %bb.1118:                             ;   in Loop: Header=BB12_1059 Depth=1
	s_or_b32 exec_lo, exec_lo, s9
	v_add_nc_u32_e32 v9, 0xffffff81, v17
	v_lshrrev_b32_e32 v16, 23, v1
	s_mov_b32 s0, exec_lo
	s_delay_alu instid0(VALU_DEP_2) | instskip(NEXT) | instid1(VALU_DEP_1)
	v_cndmask_b32_e64 v9, v9, 0xffffff82, vcc_lo
	v_add3_u32 v16, v18, v9, v16
	v_and_b32_e32 v9, 0xfffff, v15
	s_delay_alu instid0(VALU_DEP_2) | instskip(NEXT) | instid1(VALU_DEP_2)
	v_add_nc_u32_e32 v15, 6, v16
	v_add_co_u32 v1, vcc_lo, v9, v1
	v_add_co_ci_u32_e32 v2, vcc_lo, 0, v2, vcc_lo
                                        ; implicit-def: $vgpr9
	s_delay_alu instid0(VALU_DEP_3)
	v_cmpx_ne_u32_e32 0, v15
	s_xor_b32 s0, exec_lo, s0
; %bb.1119:                             ;   in Loop: Header=BB12_1059 Depth=1
	s_delay_alu instid0(VALU_DEP_2) | instskip(SKIP_1) | instid1(VALU_DEP_1)
	v_cmp_lt_u64_e32 vcc_lo, 0xffffff, v[1:2]
	v_add_nc_u32_e32 v9, 7, v16
	v_cndmask_b32_e32 v9, v15, v9, vcc_lo
	v_cndmask_b32_e64 v15, 0, 1, vcc_lo
	s_delay_alu instid0(VALU_DEP_1)
	v_lshrrev_b64 v[1:2], v15, v[1:2]
; %bb.1120:                             ;   in Loop: Header=BB12_1059 Depth=1
	s_and_not1_saveexec_b32 s0, s0
; %bb.1121:                             ;   in Loop: Header=BB12_1059 Depth=1
	s_delay_alu instid0(VALU_DEP_1)
	v_bfe_u32 v9, v1, 23, 1
; %bb.1122:                             ;   in Loop: Header=BB12_1059 Depth=1
	s_or_b32 exec_lo, exec_lo, s0
	s_delay_alu instid0(VALU_DEP_2) | instskip(NEXT) | instid1(VALU_DEP_2)
	v_lshrrev_b64 v[1:2], 20, v[1:2]
	v_cmp_gt_i32_e32 vcc_lo, 16, v9
	v_cmp_ne_u32_e64 s0, 0, v9
	s_delay_alu instid0(VALU_DEP_3) | instskip(NEXT) | instid1(VALU_DEP_1)
	v_dual_cndmask_b32 v16, 0, v2 :: v_dual_cndmask_b32 v15, 7, v1
                                        ; implicit-def: $vgpr1_vgpr2
	v_cmp_ne_u64_e32 vcc_lo, 0, v[15:16]
	s_delay_alu instid0(VALU_DEP_3) | instskip(NEXT) | instid1(SALU_CYCLE_1)
	s_or_b32 s0, s0, vcc_lo
	s_and_saveexec_b32 s9, s0
	s_delay_alu instid0(SALU_CYCLE_1)
	s_xor_b32 s0, exec_lo, s9
; %bb.1123:                             ;   in Loop: Header=BB12_1059 Depth=1
	v_min_i32_e32 v1, 15, v9
	s_delay_alu instid0(VALU_DEP_1) | instskip(NEXT) | instid1(VALU_DEP_1)
	v_lshl_or_b32 v1, v1, 3, v14
                                        ; implicit-def: $vgpr14
	v_and_or_b32 v1, v15, 7, v1
; %bb.1124:                             ;   in Loop: Header=BB12_1059 Depth=1
	s_and_not1_saveexec_b32 s0, s0
; %bb.1125:                             ;   in Loop: Header=BB12_1059 Depth=1
	v_dual_mov_b32 v1, v14 :: v_dual_mov_b32 v2, v15
; %bb.1126:                             ;   in Loop: Header=BB12_1059 Depth=1
	s_or_b32 exec_lo, exec_lo, s0
.LBB12_1127:                            ;   in Loop: Header=BB12_1059 Depth=1
	s_delay_alu instid0(SALU_CYCLE_1)
	s_or_b32 exec_lo, exec_lo, s8
.LBB12_1128:                            ;   in Loop: Header=BB12_1059 Depth=1
	s_and_not1_saveexec_b32 s0, s7
	s_delay_alu instid0(SALU_CYCLE_1)
	s_or_b32 exec_lo, exec_lo, s0
                                        ; implicit-def: $vgpr2
.LBB12_1129:                            ;   in Loop: Header=BB12_1059 Depth=1
	s_and_not1_saveexec_b32 s0, s6
; %bb.1130:                             ;   in Loop: Header=BB12_1059 Depth=1
	v_cmp_eq_u64_e32 vcc_lo, 0, v[9:10]
	v_or_b32_e32 v2, 0x7f, v2
	s_delay_alu instid0(VALU_DEP_1)
	v_cndmask_b32_e32 v1, v2, v1, vcc_lo
; %bb.1131:                             ;   in Loop: Header=BB12_1059 Depth=1
	s_or_b32 exec_lo, exec_lo, s0
	v_lshlrev_b32_e32 v2, 16, v3
	s_mov_b32 s0, exec_lo
	s_delay_alu instid0(VALU_DEP_1) | instskip(NEXT) | instid1(VALU_DEP_1)
	v_div_scale_f32 v9, null, s26, s26, v2
	v_rcp_f32_e32 v14, v9
	s_waitcnt_depctr 0xfff
	v_fma_f32 v15, -v9, v14, 1.0
	s_delay_alu instid0(VALU_DEP_1) | instskip(SKIP_1) | instid1(VALU_DEP_1)
	v_fmac_f32_e32 v14, v15, v14
	v_div_scale_f32 v15, vcc_lo, v2, s26, v2
	v_mul_f32_e32 v16, v15, v14
	s_delay_alu instid0(VALU_DEP_1) | instskip(NEXT) | instid1(VALU_DEP_1)
	v_fma_f32 v17, -v9, v16, v15
	v_fmac_f32_e32 v16, v17, v14
	s_delay_alu instid0(VALU_DEP_1) | instskip(NEXT) | instid1(VALU_DEP_1)
	v_fma_f32 v9, -v9, v16, v15
	v_div_fmas_f32 v9, v9, v14, v16
	s_delay_alu instid0(VALU_DEP_1) | instskip(NEXT) | instid1(VALU_DEP_1)
	v_div_fixup_f32 v16, v9, s26, v2
	v_dual_mov_b32 v18, v10 :: v_dual_and_b32 v9, 0x7fffff, v16
	v_lshrrev_b32_e32 v15, 24, v16
	v_and_b32_e32 v17, 0x7f800000, v16
	s_delay_alu instid0(VALU_DEP_2) | instskip(NEXT) | instid1(VALU_DEP_1)
	v_and_b32_e32 v2, 0x80, v15
	v_or_b32_e32 v14, 0x7e, v2
	s_delay_alu instid0(VALU_DEP_3)
	v_cmpx_ne_u64_e32 0x7f800000, v[17:18]
	s_xor_b32 s6, exec_lo, s0
	s_cbranch_execz .LBB12_1147
; %bb.1132:                             ;   in Loop: Header=BB12_1059 Depth=1
	v_dual_mov_b32 v18, v10 :: v_dual_and_b32 v17, 0x7fffffff, v16
	s_mov_b32 s0, exec_lo
	s_delay_alu instid0(VALU_DEP_1)
	v_cmpx_gt_u64_e32 0x43e00001, v[17:18]
	s_xor_b32 s7, exec_lo, s0
	s_cbranch_execz .LBB12_1146
; %bb.1133:                             ;   in Loop: Header=BB12_1059 Depth=1
	s_mov_b32 s8, exec_lo
	v_mov_b32_e32 v14, 0
	v_mov_b32_e32 v15, 0
	v_cmpx_ne_u32_e32 0, v16
	s_cbranch_execz .LBB12_1145
; %bb.1134:                             ;   in Loop: Header=BB12_1059 Depth=1
	v_bfe_u32 v18, v16, 23, 8
	v_or_b32_e32 v16, 0x800000, v9
	s_delay_alu instid0(VALU_DEP_2) | instskip(SKIP_1) | instid1(VALU_DEP_2)
	v_sub_nc_u32_e32 v14, 0x79, v18
	v_cmp_gt_u32_e32 vcc_lo, 0x7a, v18
	v_cndmask_b32_e32 v14, 0, v14, vcc_lo
	v_cmp_eq_u32_e32 vcc_lo, 0, v18
	v_cndmask_b32_e32 v9, v16, v9, vcc_lo
	s_delay_alu instid0(VALU_DEP_3) | instskip(NEXT) | instid1(VALU_DEP_1)
	v_cndmask_b32_e64 v19, v14, 0x78, vcc_lo
	v_add_nc_u32_e32 v14, 20, v19
	v_add_nc_u32_e32 v16, 19, v19
	s_delay_alu instid0(VALU_DEP_2) | instskip(NEXT) | instid1(VALU_DEP_2)
	v_lshlrev_b64 v[14:15], v14, -1
	v_lshlrev_b64 v[16:17], v16, 1
	s_delay_alu instid0(VALU_DEP_2) | instskip(NEXT) | instid1(VALU_DEP_3)
	v_not_b32_e32 v15, v15
	v_not_b32_e32 v14, v14
	s_delay_alu instid0(VALU_DEP_2) | instskip(NEXT) | instid1(VALU_DEP_2)
	v_and_b32_e32 v22, 0, v15
	v_and_b32_e32 v21, v9, v14
	v_lshrrev_b64 v[14:15], v19, v[9:10]
	s_delay_alu instid0(VALU_DEP_2) | instskip(NEXT) | instid1(VALU_DEP_2)
	v_cmp_eq_u64_e64 s0, v[21:22], v[16:17]
	v_dual_mov_b32 v17, v15 :: v_dual_mov_b32 v16, v14
	s_delay_alu instid0(VALU_DEP_2)
	s_and_saveexec_b32 s9, s0
; %bb.1135:                             ;   in Loop: Header=BB12_1059 Depth=1
	v_bfe_u32 v9, v14, 20, 1
	s_delay_alu instid0(VALU_DEP_1) | instskip(NEXT) | instid1(VALU_DEP_1)
	v_add_co_u32 v9, s0, v14, v9
	v_add_co_u32 v16, s0, v9, -1
; %bb.1136:                             ;   in Loop: Header=BB12_1059 Depth=1
	s_or_b32 exec_lo, exec_lo, s9
	v_add_nc_u32_e32 v9, 0xffffff81, v18
	v_lshrrev_b32_e32 v17, 23, v14
	s_mov_b32 s0, exec_lo
	s_delay_alu instid0(VALU_DEP_2) | instskip(NEXT) | instid1(VALU_DEP_1)
	v_cndmask_b32_e64 v9, v9, 0xffffff82, vcc_lo
	v_add3_u32 v17, v19, v9, v17
	v_and_b32_e32 v9, 0xfffff, v16
	s_delay_alu instid0(VALU_DEP_2) | instskip(NEXT) | instid1(VALU_DEP_2)
	v_add_nc_u32_e32 v16, 6, v17
	v_add_co_u32 v14, vcc_lo, v9, v14
	v_add_co_ci_u32_e32 v15, vcc_lo, 0, v15, vcc_lo
                                        ; implicit-def: $vgpr9
	s_delay_alu instid0(VALU_DEP_3)
	v_cmpx_ne_u32_e32 0, v16
	s_xor_b32 s0, exec_lo, s0
; %bb.1137:                             ;   in Loop: Header=BB12_1059 Depth=1
	s_delay_alu instid0(VALU_DEP_2) | instskip(SKIP_1) | instid1(VALU_DEP_1)
	v_cmp_lt_u64_e32 vcc_lo, 0xffffff, v[14:15]
	v_add_nc_u32_e32 v9, 7, v17
	v_cndmask_b32_e32 v9, v16, v9, vcc_lo
	v_cndmask_b32_e64 v16, 0, 1, vcc_lo
	s_delay_alu instid0(VALU_DEP_1)
	v_lshrrev_b64 v[14:15], v16, v[14:15]
; %bb.1138:                             ;   in Loop: Header=BB12_1059 Depth=1
	s_and_not1_saveexec_b32 s0, s0
; %bb.1139:                             ;   in Loop: Header=BB12_1059 Depth=1
	s_delay_alu instid0(VALU_DEP_1)
	v_bfe_u32 v9, v14, 23, 1
; %bb.1140:                             ;   in Loop: Header=BB12_1059 Depth=1
	s_or_b32 exec_lo, exec_lo, s0
	s_delay_alu instid0(VALU_DEP_2) | instskip(NEXT) | instid1(VALU_DEP_2)
	v_lshrrev_b64 v[14:15], 20, v[14:15]
	v_cmp_gt_i32_e32 vcc_lo, 16, v9
	v_cmp_ne_u32_e64 s0, 0, v9
	s_delay_alu instid0(VALU_DEP_3) | instskip(NEXT) | instid1(VALU_DEP_1)
	v_dual_cndmask_b32 v17, 0, v15 :: v_dual_cndmask_b32 v16, 7, v14
                                        ; implicit-def: $vgpr14_vgpr15
	v_cmp_ne_u64_e32 vcc_lo, 0, v[16:17]
	s_delay_alu instid0(VALU_DEP_3) | instskip(NEXT) | instid1(SALU_CYCLE_1)
	s_or_b32 s0, s0, vcc_lo
	s_and_saveexec_b32 s9, s0
	s_delay_alu instid0(SALU_CYCLE_1)
	s_xor_b32 s0, exec_lo, s9
; %bb.1141:                             ;   in Loop: Header=BB12_1059 Depth=1
	v_min_i32_e32 v9, 15, v9
	s_delay_alu instid0(VALU_DEP_1) | instskip(NEXT) | instid1(VALU_DEP_1)
	v_lshl_or_b32 v2, v9, 3, v2
	v_and_or_b32 v14, v16, 7, v2
                                        ; implicit-def: $vgpr2
; %bb.1142:                             ;   in Loop: Header=BB12_1059 Depth=1
	s_and_not1_saveexec_b32 s0, s0
; %bb.1143:                             ;   in Loop: Header=BB12_1059 Depth=1
	v_dual_mov_b32 v15, v3 :: v_dual_mov_b32 v14, v2
; %bb.1144:                             ;   in Loop: Header=BB12_1059 Depth=1
	s_or_b32 exec_lo, exec_lo, s0
.LBB12_1145:                            ;   in Loop: Header=BB12_1059 Depth=1
	s_delay_alu instid0(SALU_CYCLE_1)
	s_or_b32 exec_lo, exec_lo, s8
.LBB12_1146:                            ;   in Loop: Header=BB12_1059 Depth=1
	s_and_not1_saveexec_b32 s0, s7
	s_delay_alu instid0(SALU_CYCLE_1)
	s_or_b32 exec_lo, exec_lo, s0
                                        ; implicit-def: $vgpr15
.LBB12_1147:                            ;   in Loop: Header=BB12_1059 Depth=1
	s_and_not1_saveexec_b32 s0, s6
; %bb.1148:                             ;   in Loop: Header=BB12_1059 Depth=1
	v_cmp_eq_u64_e32 vcc_lo, 0, v[9:10]
	v_or_b32_e32 v2, 0x7f, v15
	s_delay_alu instid0(VALU_DEP_1)
	v_cndmask_b32_e32 v14, v2, v14, vcc_lo
; %bb.1149:                             ;   in Loop: Header=BB12_1059 Depth=1
	s_or_b32 exec_lo, exec_lo, s0
	v_and_b32_e32 v2, 0xffff0000, v3
	s_mov_b32 s0, exec_lo
	v_mov_b32_e32 v18, v10
	s_delay_alu instid0(VALU_DEP_2) | instskip(NEXT) | instid1(VALU_DEP_1)
	v_div_scale_f32 v3, null, s26, s26, v2
	v_rcp_f32_e32 v9, v3
	s_waitcnt_depctr 0xfff
	v_fma_f32 v15, -v3, v9, 1.0
	s_delay_alu instid0(VALU_DEP_1) | instskip(SKIP_1) | instid1(VALU_DEP_1)
	v_fmac_f32_e32 v9, v15, v9
	v_div_scale_f32 v15, vcc_lo, v2, s26, v2
	v_mul_f32_e32 v16, v15, v9
	s_delay_alu instid0(VALU_DEP_1) | instskip(NEXT) | instid1(VALU_DEP_1)
	v_fma_f32 v17, -v3, v16, v15
	v_fmac_f32_e32 v16, v17, v9
	s_delay_alu instid0(VALU_DEP_1) | instskip(NEXT) | instid1(VALU_DEP_1)
	v_fma_f32 v3, -v3, v16, v15
	v_div_fmas_f32 v3, v3, v9, v16
	s_delay_alu instid0(VALU_DEP_1) | instskip(NEXT) | instid1(VALU_DEP_1)
	v_div_fixup_f32 v16, v3, s26, v2
	v_lshrrev_b32_e32 v3, 24, v16
	v_and_b32_e32 v17, 0x7f800000, v16
	v_and_b32_e32 v9, 0x7fffff, v16
	s_delay_alu instid0(VALU_DEP_3) | instskip(NEXT) | instid1(VALU_DEP_1)
	v_and_b32_e32 v15, 0x80, v3
	v_or_b32_e32 v2, 0x7e, v15
	s_delay_alu instid0(VALU_DEP_4)
	v_cmpx_ne_u64_e32 0x7f800000, v[17:18]
	s_xor_b32 s6, exec_lo, s0
	s_cbranch_execz .LBB12_1165
; %bb.1150:                             ;   in Loop: Header=BB12_1059 Depth=1
	v_dual_mov_b32 v18, v10 :: v_dual_and_b32 v17, 0x7fffffff, v16
	s_mov_b32 s0, exec_lo
	s_delay_alu instid0(VALU_DEP_1)
	v_cmpx_gt_u64_e32 0x43e00001, v[17:18]
	s_xor_b32 s7, exec_lo, s0
	s_cbranch_execz .LBB12_1164
; %bb.1151:                             ;   in Loop: Header=BB12_1059 Depth=1
	s_mov_b32 s8, exec_lo
	v_mov_b32_e32 v2, 0
	v_mov_b32_e32 v3, 0
	v_cmpx_ne_u32_e32 0, v16
	s_cbranch_execz .LBB12_1163
; %bb.1152:                             ;   in Loop: Header=BB12_1059 Depth=1
	v_bfe_u32 v18, v16, 23, 8
	v_or_b32_e32 v16, 0x800000, v9
	s_delay_alu instid0(VALU_DEP_2) | instskip(SKIP_1) | instid1(VALU_DEP_2)
	v_sub_nc_u32_e32 v2, 0x79, v18
	v_cmp_gt_u32_e32 vcc_lo, 0x7a, v18
	v_cndmask_b32_e32 v2, 0, v2, vcc_lo
	v_cmp_eq_u32_e32 vcc_lo, 0, v18
	v_cndmask_b32_e32 v9, v16, v9, vcc_lo
	s_delay_alu instid0(VALU_DEP_3) | instskip(NEXT) | instid1(VALU_DEP_1)
	v_cndmask_b32_e64 v19, v2, 0x78, vcc_lo
	v_add_nc_u32_e32 v2, 20, v19
	v_add_nc_u32_e32 v16, 19, v19
	s_delay_alu instid0(VALU_DEP_2) | instskip(NEXT) | instid1(VALU_DEP_2)
	v_lshlrev_b64 v[2:3], v2, -1
	v_lshlrev_b64 v[16:17], v16, 1
	s_delay_alu instid0(VALU_DEP_2) | instskip(NEXT) | instid1(VALU_DEP_3)
	v_not_b32_e32 v3, v3
	v_not_b32_e32 v2, v2
	s_delay_alu instid0(VALU_DEP_2) | instskip(NEXT) | instid1(VALU_DEP_2)
	v_and_b32_e32 v22, 0, v3
	v_and_b32_e32 v21, v9, v2
	v_lshrrev_b64 v[2:3], v19, v[9:10]
	s_delay_alu instid0(VALU_DEP_2) | instskip(NEXT) | instid1(VALU_DEP_2)
	v_cmp_eq_u64_e64 s0, v[21:22], v[16:17]
	v_dual_mov_b32 v17, v3 :: v_dual_mov_b32 v16, v2
	s_delay_alu instid0(VALU_DEP_2)
	s_and_saveexec_b32 s9, s0
; %bb.1153:                             ;   in Loop: Header=BB12_1059 Depth=1
	v_bfe_u32 v9, v2, 20, 1
	s_delay_alu instid0(VALU_DEP_1) | instskip(NEXT) | instid1(VALU_DEP_1)
	v_add_co_u32 v9, s0, v2, v9
	v_add_co_u32 v16, s0, v9, -1
; %bb.1154:                             ;   in Loop: Header=BB12_1059 Depth=1
	s_or_b32 exec_lo, exec_lo, s9
	v_add_nc_u32_e32 v9, 0xffffff81, v18
	v_lshrrev_b32_e32 v17, 23, v2
	s_mov_b32 s0, exec_lo
	s_delay_alu instid0(VALU_DEP_2) | instskip(NEXT) | instid1(VALU_DEP_1)
	v_cndmask_b32_e64 v9, v9, 0xffffff82, vcc_lo
	v_add3_u32 v17, v19, v9, v17
	v_and_b32_e32 v9, 0xfffff, v16
	s_delay_alu instid0(VALU_DEP_2) | instskip(NEXT) | instid1(VALU_DEP_2)
	v_add_nc_u32_e32 v16, 6, v17
	v_add_co_u32 v2, vcc_lo, v9, v2
	v_add_co_ci_u32_e32 v3, vcc_lo, 0, v3, vcc_lo
                                        ; implicit-def: $vgpr9
	s_delay_alu instid0(VALU_DEP_3)
	v_cmpx_ne_u32_e32 0, v16
	s_xor_b32 s0, exec_lo, s0
; %bb.1155:                             ;   in Loop: Header=BB12_1059 Depth=1
	s_delay_alu instid0(VALU_DEP_2) | instskip(SKIP_1) | instid1(VALU_DEP_1)
	v_cmp_lt_u64_e32 vcc_lo, 0xffffff, v[2:3]
	v_add_nc_u32_e32 v9, 7, v17
	v_cndmask_b32_e32 v9, v16, v9, vcc_lo
	v_cndmask_b32_e64 v16, 0, 1, vcc_lo
	s_delay_alu instid0(VALU_DEP_1)
	v_lshrrev_b64 v[2:3], v16, v[2:3]
; %bb.1156:                             ;   in Loop: Header=BB12_1059 Depth=1
	s_and_not1_saveexec_b32 s0, s0
; %bb.1157:                             ;   in Loop: Header=BB12_1059 Depth=1
	s_delay_alu instid0(VALU_DEP_1)
	v_bfe_u32 v9, v2, 23, 1
; %bb.1158:                             ;   in Loop: Header=BB12_1059 Depth=1
	s_or_b32 exec_lo, exec_lo, s0
	s_delay_alu instid0(VALU_DEP_2) | instskip(NEXT) | instid1(VALU_DEP_2)
	v_lshrrev_b64 v[2:3], 20, v[2:3]
	v_cmp_gt_i32_e32 vcc_lo, 16, v9
	v_cmp_ne_u32_e64 s0, 0, v9
	s_delay_alu instid0(VALU_DEP_3) | instskip(NEXT) | instid1(VALU_DEP_1)
	v_dual_cndmask_b32 v17, 0, v3 :: v_dual_cndmask_b32 v16, 7, v2
                                        ; implicit-def: $vgpr2_vgpr3
	v_cmp_ne_u64_e32 vcc_lo, 0, v[16:17]
	s_delay_alu instid0(VALU_DEP_3) | instskip(NEXT) | instid1(SALU_CYCLE_1)
	s_or_b32 s0, s0, vcc_lo
	s_and_saveexec_b32 s9, s0
	s_delay_alu instid0(SALU_CYCLE_1)
	s_xor_b32 s0, exec_lo, s9
; %bb.1159:                             ;   in Loop: Header=BB12_1059 Depth=1
	v_min_i32_e32 v2, 15, v9
	s_delay_alu instid0(VALU_DEP_1) | instskip(NEXT) | instid1(VALU_DEP_1)
	v_lshl_or_b32 v2, v2, 3, v15
                                        ; implicit-def: $vgpr15
	v_and_or_b32 v2, v16, 7, v2
; %bb.1160:                             ;   in Loop: Header=BB12_1059 Depth=1
	s_and_not1_saveexec_b32 s0, s0
; %bb.1161:                             ;   in Loop: Header=BB12_1059 Depth=1
	v_dual_mov_b32 v2, v15 :: v_dual_mov_b32 v3, v16
; %bb.1162:                             ;   in Loop: Header=BB12_1059 Depth=1
	s_or_b32 exec_lo, exec_lo, s0
.LBB12_1163:                            ;   in Loop: Header=BB12_1059 Depth=1
	s_delay_alu instid0(SALU_CYCLE_1)
	s_or_b32 exec_lo, exec_lo, s8
.LBB12_1164:                            ;   in Loop: Header=BB12_1059 Depth=1
	s_and_not1_saveexec_b32 s0, s7
	s_delay_alu instid0(SALU_CYCLE_1)
	s_or_b32 exec_lo, exec_lo, s0
                                        ; implicit-def: $vgpr3
.LBB12_1165:                            ;   in Loop: Header=BB12_1059 Depth=1
	s_and_not1_saveexec_b32 s0, s6
; %bb.1166:                             ;   in Loop: Header=BB12_1059 Depth=1
	v_cmp_eq_u64_e32 vcc_lo, 0, v[9:10]
	v_or_b32_e32 v3, 0x7f, v3
	s_delay_alu instid0(VALU_DEP_1)
	v_cndmask_b32_e32 v2, v3, v2, vcc_lo
; %bb.1167:                             ;   in Loop: Header=BB12_1059 Depth=1
	s_or_b32 exec_lo, exec_lo, s0
	v_lshlrev_b32_e32 v3, 16, v4
	v_mov_b32_e32 v19, v10
	s_mov_b32 s0, exec_lo
	s_delay_alu instid0(VALU_DEP_2) | instskip(NEXT) | instid1(VALU_DEP_1)
	v_div_scale_f32 v9, null, s26, s26, v3
	v_rcp_f32_e32 v15, v9
	s_waitcnt_depctr 0xfff
	v_fma_f32 v16, -v9, v15, 1.0
	s_delay_alu instid0(VALU_DEP_1) | instskip(SKIP_1) | instid1(VALU_DEP_1)
	v_fmac_f32_e32 v15, v16, v15
	v_div_scale_f32 v16, vcc_lo, v3, s26, v3
	v_mul_f32_e32 v17, v16, v15
	s_delay_alu instid0(VALU_DEP_1) | instskip(NEXT) | instid1(VALU_DEP_1)
	v_fma_f32 v18, -v9, v17, v16
	v_fmac_f32_e32 v17, v18, v15
	s_delay_alu instid0(VALU_DEP_1) | instskip(NEXT) | instid1(VALU_DEP_1)
	v_fma_f32 v9, -v9, v17, v16
	v_div_fmas_f32 v9, v9, v15, v17
	s_delay_alu instid0(VALU_DEP_1) | instskip(NEXT) | instid1(VALU_DEP_1)
	v_div_fixup_f32 v17, v9, s26, v3
	v_and_b32_e32 v18, 0x7f800000, v17
	v_lshrrev_b32_e32 v16, 24, v17
	v_and_b32_e32 v9, 0x7fffff, v17
	s_delay_alu instid0(VALU_DEP_2) | instskip(NEXT) | instid1(VALU_DEP_1)
	v_and_b32_e32 v3, 0x80, v16
	v_or_b32_e32 v15, 0x7e, v3
	v_cmpx_ne_u64_e32 0x7f800000, v[18:19]
	s_xor_b32 s6, exec_lo, s0
	s_cbranch_execz .LBB12_1183
; %bb.1168:                             ;   in Loop: Header=BB12_1059 Depth=1
	v_dual_mov_b32 v19, v10 :: v_dual_and_b32 v18, 0x7fffffff, v17
	s_mov_b32 s0, exec_lo
	s_delay_alu instid0(VALU_DEP_1)
	v_cmpx_gt_u64_e32 0x43e00001, v[18:19]
	s_xor_b32 s7, exec_lo, s0
	s_cbranch_execz .LBB12_1182
; %bb.1169:                             ;   in Loop: Header=BB12_1059 Depth=1
	s_mov_b32 s8, exec_lo
	v_mov_b32_e32 v15, 0
	v_mov_b32_e32 v16, 0
	v_cmpx_ne_u32_e32 0, v17
	s_cbranch_execz .LBB12_1181
; %bb.1170:                             ;   in Loop: Header=BB12_1059 Depth=1
	v_bfe_u32 v19, v17, 23, 8
	v_or_b32_e32 v17, 0x800000, v9
	s_delay_alu instid0(VALU_DEP_2) | instskip(SKIP_1) | instid1(VALU_DEP_2)
	v_sub_nc_u32_e32 v15, 0x79, v19
	v_cmp_gt_u32_e32 vcc_lo, 0x7a, v19
	v_cndmask_b32_e32 v15, 0, v15, vcc_lo
	v_cmp_eq_u32_e32 vcc_lo, 0, v19
	s_delay_alu instid0(VALU_DEP_2) | instskip(SKIP_1) | instid1(VALU_DEP_2)
	v_cndmask_b32_e64 v21, v15, 0x78, vcc_lo
	v_cndmask_b32_e32 v9, v17, v9, vcc_lo
	v_add_nc_u32_e32 v15, 20, v21
	v_add_nc_u32_e32 v17, 19, v21
	s_delay_alu instid0(VALU_DEP_2) | instskip(NEXT) | instid1(VALU_DEP_2)
	v_lshlrev_b64 v[15:16], v15, -1
	v_lshlrev_b64 v[17:18], v17, 1
	s_delay_alu instid0(VALU_DEP_2) | instskip(NEXT) | instid1(VALU_DEP_3)
	v_not_b32_e32 v16, v16
	v_not_b32_e32 v15, v15
	s_delay_alu instid0(VALU_DEP_2) | instskip(NEXT) | instid1(VALU_DEP_2)
	v_and_b32_e32 v23, 0, v16
	v_and_b32_e32 v22, v9, v15
	v_lshrrev_b64 v[15:16], v21, v[9:10]
	s_delay_alu instid0(VALU_DEP_2) | instskip(NEXT) | instid1(VALU_DEP_2)
	v_cmp_eq_u64_e64 s0, v[22:23], v[17:18]
	v_dual_mov_b32 v18, v16 :: v_dual_mov_b32 v17, v15
	s_delay_alu instid0(VALU_DEP_2)
	s_and_saveexec_b32 s9, s0
; %bb.1171:                             ;   in Loop: Header=BB12_1059 Depth=1
	v_bfe_u32 v9, v15, 20, 1
	s_delay_alu instid0(VALU_DEP_1) | instskip(NEXT) | instid1(VALU_DEP_1)
	v_add_co_u32 v9, s0, v15, v9
	v_add_co_u32 v17, s0, v9, -1
; %bb.1172:                             ;   in Loop: Header=BB12_1059 Depth=1
	s_or_b32 exec_lo, exec_lo, s9
	v_add_nc_u32_e32 v9, 0xffffff81, v19
	v_lshrrev_b32_e32 v18, 23, v15
	s_mov_b32 s0, exec_lo
	s_delay_alu instid0(VALU_DEP_2) | instskip(NEXT) | instid1(VALU_DEP_1)
	v_cndmask_b32_e64 v9, v9, 0xffffff82, vcc_lo
	v_add3_u32 v18, v21, v9, v18
	v_and_b32_e32 v9, 0xfffff, v17
	s_delay_alu instid0(VALU_DEP_2) | instskip(NEXT) | instid1(VALU_DEP_2)
	v_add_nc_u32_e32 v17, 6, v18
	v_add_co_u32 v15, vcc_lo, v9, v15
	v_add_co_ci_u32_e32 v16, vcc_lo, 0, v16, vcc_lo
                                        ; implicit-def: $vgpr9
	s_delay_alu instid0(VALU_DEP_3)
	v_cmpx_ne_u32_e32 0, v17
	s_xor_b32 s0, exec_lo, s0
; %bb.1173:                             ;   in Loop: Header=BB12_1059 Depth=1
	s_delay_alu instid0(VALU_DEP_2) | instskip(SKIP_1) | instid1(VALU_DEP_1)
	v_cmp_lt_u64_e32 vcc_lo, 0xffffff, v[15:16]
	v_add_nc_u32_e32 v9, 7, v18
	v_cndmask_b32_e32 v9, v17, v9, vcc_lo
	v_cndmask_b32_e64 v17, 0, 1, vcc_lo
	s_delay_alu instid0(VALU_DEP_1)
	v_lshrrev_b64 v[15:16], v17, v[15:16]
; %bb.1174:                             ;   in Loop: Header=BB12_1059 Depth=1
	s_and_not1_saveexec_b32 s0, s0
; %bb.1175:                             ;   in Loop: Header=BB12_1059 Depth=1
	s_delay_alu instid0(VALU_DEP_1)
	v_bfe_u32 v9, v15, 23, 1
; %bb.1176:                             ;   in Loop: Header=BB12_1059 Depth=1
	s_or_b32 exec_lo, exec_lo, s0
	s_delay_alu instid0(VALU_DEP_2) | instskip(NEXT) | instid1(VALU_DEP_2)
	v_lshrrev_b64 v[15:16], 20, v[15:16]
	v_cmp_gt_i32_e32 vcc_lo, 16, v9
	v_cmp_ne_u32_e64 s0, 0, v9
	s_delay_alu instid0(VALU_DEP_3) | instskip(NEXT) | instid1(VALU_DEP_1)
	v_dual_cndmask_b32 v18, 0, v16 :: v_dual_cndmask_b32 v17, 7, v15
                                        ; implicit-def: $vgpr15_vgpr16
	v_cmp_ne_u64_e32 vcc_lo, 0, v[17:18]
	s_delay_alu instid0(VALU_DEP_3) | instskip(NEXT) | instid1(SALU_CYCLE_1)
	s_or_b32 s0, s0, vcc_lo
	s_and_saveexec_b32 s9, s0
	s_delay_alu instid0(SALU_CYCLE_1)
	s_xor_b32 s0, exec_lo, s9
; %bb.1177:                             ;   in Loop: Header=BB12_1059 Depth=1
	v_min_i32_e32 v9, 15, v9
	s_delay_alu instid0(VALU_DEP_1) | instskip(NEXT) | instid1(VALU_DEP_1)
	v_lshl_or_b32 v3, v9, 3, v3
	v_and_or_b32 v15, v17, 7, v3
                                        ; implicit-def: $vgpr3
; %bb.1178:                             ;   in Loop: Header=BB12_1059 Depth=1
	s_and_not1_saveexec_b32 s0, s0
; %bb.1179:                             ;   in Loop: Header=BB12_1059 Depth=1
	v_dual_mov_b32 v16, v4 :: v_dual_mov_b32 v15, v3
; %bb.1180:                             ;   in Loop: Header=BB12_1059 Depth=1
	s_or_b32 exec_lo, exec_lo, s0
.LBB12_1181:                            ;   in Loop: Header=BB12_1059 Depth=1
	s_delay_alu instid0(SALU_CYCLE_1)
	s_or_b32 exec_lo, exec_lo, s8
.LBB12_1182:                            ;   in Loop: Header=BB12_1059 Depth=1
	s_and_not1_saveexec_b32 s0, s7
	s_delay_alu instid0(SALU_CYCLE_1)
	s_or_b32 exec_lo, exec_lo, s0
                                        ; implicit-def: $vgpr16
.LBB12_1183:                            ;   in Loop: Header=BB12_1059 Depth=1
	s_and_not1_saveexec_b32 s0, s6
; %bb.1184:                             ;   in Loop: Header=BB12_1059 Depth=1
	v_cmp_eq_u64_e32 vcc_lo, 0, v[9:10]
	v_or_b32_e32 v3, 0x7f, v16
	s_delay_alu instid0(VALU_DEP_1)
	v_cndmask_b32_e32 v15, v3, v15, vcc_lo
; %bb.1185:                             ;   in Loop: Header=BB12_1059 Depth=1
	s_or_b32 exec_lo, exec_lo, s0
	v_and_b32_e32 v3, 0xffff0000, v4
	v_mov_b32_e32 v19, v10
	s_mov_b32 s0, exec_lo
	s_delay_alu instid0(VALU_DEP_2) | instskip(NEXT) | instid1(VALU_DEP_1)
	v_div_scale_f32 v4, null, s26, s26, v3
	v_rcp_f32_e32 v9, v4
	s_waitcnt_depctr 0xfff
	v_fma_f32 v16, -v4, v9, 1.0
	s_delay_alu instid0(VALU_DEP_1) | instskip(SKIP_1) | instid1(VALU_DEP_1)
	v_fmac_f32_e32 v9, v16, v9
	v_div_scale_f32 v16, vcc_lo, v3, s26, v3
	v_mul_f32_e32 v17, v16, v9
	s_delay_alu instid0(VALU_DEP_1) | instskip(NEXT) | instid1(VALU_DEP_1)
	v_fma_f32 v18, -v4, v17, v16
	v_fmac_f32_e32 v17, v18, v9
	s_delay_alu instid0(VALU_DEP_1) | instskip(NEXT) | instid1(VALU_DEP_1)
	v_fma_f32 v4, -v4, v17, v16
	v_div_fmas_f32 v4, v4, v9, v17
	s_delay_alu instid0(VALU_DEP_1) | instskip(NEXT) | instid1(VALU_DEP_1)
	v_div_fixup_f32 v4, v4, s26, v3
	v_and_b32_e32 v18, 0x7f800000, v4
	v_lshrrev_b32_e32 v17, 24, v4
	v_and_b32_e32 v9, 0x7fffff, v4
	s_delay_alu instid0(VALU_DEP_2) | instskip(NEXT) | instid1(VALU_DEP_1)
	v_and_b32_e32 v3, 0x80, v17
	v_or_b32_e32 v16, 0x7e, v3
	v_cmpx_ne_u64_e32 0x7f800000, v[18:19]
	s_xor_b32 s6, exec_lo, s0
	s_cbranch_execz .LBB12_1201
; %bb.1186:                             ;   in Loop: Header=BB12_1059 Depth=1
	v_dual_mov_b32 v18, v10 :: v_dual_and_b32 v17, 0x7fffffff, v4
	s_mov_b32 s0, exec_lo
	s_delay_alu instid0(VALU_DEP_1)
	v_cmpx_gt_u64_e32 0x43e00001, v[17:18]
	s_xor_b32 s7, exec_lo, s0
	s_cbranch_execz .LBB12_1200
; %bb.1187:                             ;   in Loop: Header=BB12_1059 Depth=1
	s_mov_b32 s8, exec_lo
	v_mov_b32_e32 v16, 0
	v_mov_b32_e32 v17, 0
	v_cmpx_ne_u32_e32 0, v4
	s_cbranch_execz .LBB12_1199
; %bb.1188:                             ;   in Loop: Header=BB12_1059 Depth=1
	v_bfe_u32 v4, v4, 23, 8
	v_or_b32_e32 v18, 0x800000, v9
	s_delay_alu instid0(VALU_DEP_2) | instskip(SKIP_1) | instid1(VALU_DEP_2)
	v_sub_nc_u32_e32 v16, 0x79, v4
	v_cmp_gt_u32_e32 vcc_lo, 0x7a, v4
	v_cndmask_b32_e32 v16, 0, v16, vcc_lo
	v_cmp_eq_u32_e32 vcc_lo, 0, v4
	v_cndmask_b32_e32 v9, v18, v9, vcc_lo
	s_delay_alu instid0(VALU_DEP_3) | instskip(NEXT) | instid1(VALU_DEP_1)
	v_cndmask_b32_e64 v21, v16, 0x78, vcc_lo
	v_add_nc_u32_e32 v16, 20, v21
	v_add_nc_u32_e32 v18, 19, v21
	s_delay_alu instid0(VALU_DEP_2) | instskip(NEXT) | instid1(VALU_DEP_2)
	v_lshlrev_b64 v[16:17], v16, -1
	v_lshlrev_b64 v[18:19], v18, 1
	s_delay_alu instid0(VALU_DEP_2) | instskip(NEXT) | instid1(VALU_DEP_3)
	v_not_b32_e32 v17, v17
	v_not_b32_e32 v16, v16
	s_delay_alu instid0(VALU_DEP_2) | instskip(NEXT) | instid1(VALU_DEP_2)
	v_and_b32_e32 v23, 0, v17
	v_and_b32_e32 v22, v9, v16
	v_lshrrev_b64 v[16:17], v21, v[9:10]
	s_delay_alu instid0(VALU_DEP_2) | instskip(NEXT) | instid1(VALU_DEP_2)
	v_cmp_eq_u64_e64 s0, v[22:23], v[18:19]
	v_dual_mov_b32 v19, v17 :: v_dual_mov_b32 v18, v16
	s_delay_alu instid0(VALU_DEP_2)
	s_and_saveexec_b32 s9, s0
; %bb.1189:                             ;   in Loop: Header=BB12_1059 Depth=1
	v_bfe_u32 v9, v16, 20, 1
	s_delay_alu instid0(VALU_DEP_1) | instskip(NEXT) | instid1(VALU_DEP_1)
	v_add_co_u32 v9, s0, v16, v9
	v_add_co_u32 v18, s0, v9, -1
; %bb.1190:                             ;   in Loop: Header=BB12_1059 Depth=1
	s_or_b32 exec_lo, exec_lo, s9
	v_add_nc_u32_e32 v4, 0xffffff81, v4
	v_lshrrev_b32_e32 v9, 23, v16
	s_mov_b32 s0, exec_lo
	s_delay_alu instid0(VALU_DEP_2) | instskip(NEXT) | instid1(VALU_DEP_1)
	v_cndmask_b32_e64 v4, v4, 0xffffff82, vcc_lo
	v_add3_u32 v9, v21, v4, v9
	v_and_b32_e32 v4, 0xfffff, v18
	s_delay_alu instid0(VALU_DEP_2) | instskip(NEXT) | instid1(VALU_DEP_2)
	v_add_nc_u32_e32 v18, 6, v9
	v_add_co_u32 v16, vcc_lo, v4, v16
	v_add_co_ci_u32_e32 v17, vcc_lo, 0, v17, vcc_lo
                                        ; implicit-def: $vgpr4
	s_delay_alu instid0(VALU_DEP_3)
	v_cmpx_ne_u32_e32 0, v18
	s_xor_b32 s0, exec_lo, s0
; %bb.1191:                             ;   in Loop: Header=BB12_1059 Depth=1
	s_delay_alu instid0(VALU_DEP_2) | instskip(SKIP_2) | instid1(VALU_DEP_2)
	v_cmp_lt_u64_e32 vcc_lo, 0xffffff, v[16:17]
	v_add_nc_u32_e32 v4, 7, v9
	v_cndmask_b32_e64 v9, 0, 1, vcc_lo
	v_cndmask_b32_e32 v4, v18, v4, vcc_lo
	s_delay_alu instid0(VALU_DEP_2)
	v_lshrrev_b64 v[16:17], v9, v[16:17]
; %bb.1192:                             ;   in Loop: Header=BB12_1059 Depth=1
	s_and_not1_saveexec_b32 s0, s0
; %bb.1193:                             ;   in Loop: Header=BB12_1059 Depth=1
	s_delay_alu instid0(VALU_DEP_1)
	v_bfe_u32 v4, v16, 23, 1
; %bb.1194:                             ;   in Loop: Header=BB12_1059 Depth=1
	s_or_b32 exec_lo, exec_lo, s0
	s_delay_alu instid0(VALU_DEP_2) | instskip(NEXT) | instid1(VALU_DEP_2)
	v_lshrrev_b64 v[16:17], 20, v[16:17]
	v_cmp_gt_i32_e32 vcc_lo, 16, v4
	v_cmp_ne_u32_e64 s0, 0, v4
	s_delay_alu instid0(VALU_DEP_3) | instskip(NEXT) | instid1(VALU_DEP_1)
	v_dual_cndmask_b32 v19, 0, v17 :: v_dual_cndmask_b32 v18, 7, v16
                                        ; implicit-def: $vgpr16_vgpr17
	v_cmp_ne_u64_e32 vcc_lo, 0, v[18:19]
	s_delay_alu instid0(VALU_DEP_3) | instskip(NEXT) | instid1(SALU_CYCLE_1)
	s_or_b32 s0, s0, vcc_lo
	s_and_saveexec_b32 s9, s0
	s_delay_alu instid0(SALU_CYCLE_1)
	s_xor_b32 s0, exec_lo, s9
; %bb.1195:                             ;   in Loop: Header=BB12_1059 Depth=1
	v_min_i32_e32 v4, 15, v4
	s_delay_alu instid0(VALU_DEP_1) | instskip(NEXT) | instid1(VALU_DEP_1)
	v_lshl_or_b32 v3, v4, 3, v3
	v_and_or_b32 v16, v18, 7, v3
                                        ; implicit-def: $vgpr3
; %bb.1196:                             ;   in Loop: Header=BB12_1059 Depth=1
	s_and_not1_saveexec_b32 s0, s0
; %bb.1197:                             ;   in Loop: Header=BB12_1059 Depth=1
	v_dual_mov_b32 v17, v4 :: v_dual_mov_b32 v16, v3
; %bb.1198:                             ;   in Loop: Header=BB12_1059 Depth=1
	s_or_b32 exec_lo, exec_lo, s0
.LBB12_1199:                            ;   in Loop: Header=BB12_1059 Depth=1
	s_delay_alu instid0(SALU_CYCLE_1)
	s_or_b32 exec_lo, exec_lo, s8
.LBB12_1200:                            ;   in Loop: Header=BB12_1059 Depth=1
	s_and_not1_saveexec_b32 s0, s7
	s_delay_alu instid0(SALU_CYCLE_1)
	s_or_b32 exec_lo, exec_lo, s0
                                        ; implicit-def: $vgpr17
.LBB12_1201:                            ;   in Loop: Header=BB12_1059 Depth=1
	s_and_not1_saveexec_b32 s0, s6
	s_cbranch_execz .LBB12_1058
; %bb.1202:                             ;   in Loop: Header=BB12_1059 Depth=1
	v_cmp_eq_u64_e32 vcc_lo, 0, v[9:10]
	v_or_b32_e32 v3, 0x7f, v17
	s_delay_alu instid0(VALU_DEP_1)
	v_cndmask_b32_e32 v16, v3, v16, vcc_lo
	s_branch .LBB12_1058
.LBB12_1203:
	s_or_b32 exec_lo, exec_lo, s2
	v_lshl_add_u32 v1, s1, 3, v0
	s_mov_b32 s21, exec_lo
	s_delay_alu instid0(VALU_DEP_1)
	v_cmpx_gt_i32_e64 s20, v1
	s_cbranch_execz .LBB12_1229
; %bb.1204:
	v_cvt_f32_u32_e32 v2, s27
	s_sub_i32 s0, 0, s27
	v_add_nc_u32_e32 v4, s27, v1
	s_cmp_eq_u32 s27, 1
	s_mov_b32 s25, 0
	v_rcp_iflag_f32_e32 v2, v2
	s_delay_alu instid0(VALU_DEP_1) | instskip(SKIP_3) | instid1(VALU_DEP_1)
	v_cmp_gt_i32_e32 vcc_lo, s20, v4
	v_max_i32_e32 v5, s20, v4
	s_waitcnt_depctr 0xfff
	v_mul_f32_e32 v2, 0x4f7ffffe, v2
	v_cvt_u32_f32_e32 v2, v2
	s_delay_alu instid0(VALU_DEP_1) | instskip(SKIP_1) | instid1(VALU_DEP_1)
	v_mul_lo_u32 v3, s0, v2
	v_add_co_ci_u32_e64 v4, s0, s27, v1, vcc_lo
	v_sub_nc_u32_e32 v4, v5, v4
	s_delay_alu instid0(VALU_DEP_3) | instskip(NEXT) | instid1(VALU_DEP_1)
	v_mul_hi_u32 v3, v2, v3
	v_add_nc_u32_e32 v2, v2, v3
	s_delay_alu instid0(VALU_DEP_1) | instskip(NEXT) | instid1(VALU_DEP_1)
	v_mul_hi_u32 v2, v4, v2
	v_mul_lo_u32 v3, v2, s27
	s_delay_alu instid0(VALU_DEP_1) | instskip(SKIP_1) | instid1(VALU_DEP_2)
	v_sub_nc_u32_e32 v3, v4, v3
	v_add_nc_u32_e32 v4, 1, v2
	v_subrev_nc_u32_e32 v5, s27, v3
	v_cmp_le_u32_e64 s0, s27, v3
	s_delay_alu instid0(VALU_DEP_1) | instskip(NEXT) | instid1(VALU_DEP_3)
	v_cndmask_b32_e64 v2, v2, v4, s0
	v_cndmask_b32_e64 v3, v3, v5, s0
	s_delay_alu instid0(VALU_DEP_2) | instskip(NEXT) | instid1(VALU_DEP_2)
	v_add_nc_u32_e32 v4, 1, v2
	v_cmp_le_u32_e64 s0, s27, v3
	s_delay_alu instid0(VALU_DEP_1) | instskip(SKIP_1) | instid1(VALU_DEP_1)
	v_cndmask_b32_e64 v2, v2, v4, s0
	s_cselect_b32 s0, -1, 0
	v_add_co_ci_u32_e32 v6, vcc_lo, 1, v2, vcc_lo
	s_delay_alu instid0(VALU_DEP_1)
	v_cmp_lt_u32_e32 vcc_lo, 1, v6
	s_and_b32 s1, vcc_lo, s0
	s_mov_b32 s0, -1
	s_and_saveexec_b32 s24, s1
	s_cbranch_execz .LBB12_1208
; %bb.1205:
	v_dual_mov_b32 v4, v1 :: v_dual_and_b32 v7, -2, v6
	s_lshl_b64 s[0:1], s[16:17], 1
	v_mov_b32_e32 v3, 0
	s_add_u32 s28, s35, s0
	s_delay_alu instid0(VALU_DEP_2)
	v_mov_b32_e32 v8, v7
	s_addc_u32 s29, s36, s1
	s_add_u32 s35, s37, s16
	s_addc_u32 s36, s38, s17
	s_mov_b32 s37, s26
.LBB12_1206:                            ; =>This Inner Loop Header: Depth=1
	v_ashrrev_i32_e32 v5, 31, v4
	v_add_nc_u32_e32 v8, -2, v8
	s_delay_alu instid0(VALU_DEP_2) | instskip(NEXT) | instid1(VALU_DEP_1)
	v_lshlrev_b64 v[9:10], 1, v[4:5]
	v_add_co_u32 v9, vcc_lo, s28, v9
	s_delay_alu instid0(VALU_DEP_2) | instskip(SKIP_3) | instid1(VALU_DEP_1)
	v_add_co_ci_u32_e32 v10, vcc_lo, s29, v10, vcc_lo
	global_load_b32 v2, v[9:10], off
	s_waitcnt vmcnt(0)
	v_and_b32_e32 v9, 0xffff0000, v2
	v_div_scale_f32 v11, null, s37, s37, v9
	v_div_scale_f32 v18, vcc_lo, v9, s37, v9
	s_delay_alu instid0(VALU_DEP_2) | instskip(SKIP_2) | instid1(VALU_DEP_1)
	v_rcp_f32_e32 v15, v11
	s_waitcnt_depctr 0xfff
	v_fma_f32 v10, -v11, v15, 1.0
	v_dual_fmac_f32 v15, v10, v15 :: v_dual_lshlrev_b32 v2, 16, v2
	s_delay_alu instid0(VALU_DEP_1) | instskip(SKIP_1) | instid1(VALU_DEP_3)
	v_div_scale_f32 v13, null, s26, s26, v2
	v_div_scale_f32 v19, s0, v2, s26, v2
	v_mul_f32_e32 v20, v18, v15
	s_delay_alu instid0(VALU_DEP_3) | instskip(SKIP_3) | instid1(VALU_DEP_1)
	v_rcp_f32_e32 v17, v13
	v_mov_b32_e32 v10, v3
	s_waitcnt_depctr 0xfff
	v_fma_f32 v12, -v13, v17, 1.0
	v_fmac_f32_e32 v17, v12, v17
	v_fma_f32 v12, -v11, v20, v18
	s_delay_alu instid0(VALU_DEP_1) | instskip(NEXT) | instid1(VALU_DEP_1)
	v_dual_mul_f32 v21, v19, v17 :: v_dual_fmac_f32 v20, v12, v15
	v_fma_f32 v14, -v13, v21, v19
	s_delay_alu instid0(VALU_DEP_2) | instskip(NEXT) | instid1(VALU_DEP_2)
	v_fma_f32 v11, -v11, v20, v18
	v_dual_mov_b32 v12, v3 :: v_dual_fmac_f32 v21, v14, v17
	s_delay_alu instid0(VALU_DEP_2) | instskip(SKIP_1) | instid1(VALU_DEP_2)
	v_div_fmas_f32 v11, v11, v15, v20
	s_mov_b32 vcc_lo, s0
	v_fma_f32 v13, -v13, v21, v19
	s_delay_alu instid0(VALU_DEP_2)
	v_div_fixup_f32 v15, v11, s37, v9
	v_mov_b32_e32 v16, v3
	v_mov_b32_e32 v18, v3
	;; [unrolled: 1-line block ×3, first 2 shown]
	v_div_fmas_f32 v13, v13, v17, v21
	v_and_b32_e32 v9, 0x7fffff, v15
	v_and_b32_e32 v11, 0x7f800000, v15
	;; [unrolled: 1-line block ×3, first 2 shown]
	v_bfe_u32 v23, v15, 23, 8
	v_div_fixup_f32 v20, v13, s26, v2
	v_mov_b32_e32 v22, v3
	v_cmp_ne_u64_e64 s3, 0x7f800000, v[11:12]
	v_cmp_lt_u64_e64 s4, 0x43e00000, v[17:18]
	v_cmp_gt_u64_e64 s5, 0x43e00001, v[17:18]
	v_and_b32_e32 v13, 0x7f800000, v20
	v_bfe_u32 v26, v20, 23, 8
	v_sub_nc_u32_e32 v12, 0x79, v23
	v_cmp_gt_u32_e64 s13, 0x7a, v23
	v_dual_mov_b32 v19, v3 :: v_dual_and_b32 v2, 0x7fffff, v20
	v_cmp_eq_u32_e64 s6, 0, v23
	v_or_b32_e32 v17, 0x800000, v9
	v_cmp_ne_u64_e64 s8, 0x7f800000, v[13:14]
	v_sub_nc_u32_e32 v13, 0x79, v26
	v_cndmask_b32_e64 v12, 0, v12, s13
	s_and_b32 s5, s3, s5
	s_and_b32 s13, s3, s4
	v_cmp_gt_u32_e64 s3, 0x7a, v26
	v_mov_b32_e32 v24, v3
	v_lshrrev_b32_e32 v25, 24, v15
	v_cmp_eq_u32_e32 vcc_lo, 0, v15
	v_cmp_ne_u32_e64 s0, 0, v15
	v_and_b32_e32 v15, 0x7fffffff, v20
	v_lshrrev_b32_e32 v27, 24, v20
	v_cmp_eq_u32_e64 s1, 0, v20
	v_cmp_ne_u32_e64 s2, 0, v20
	v_cmp_eq_u64_e64 s7, 0, v[9:10]
	v_cmp_eq_u32_e64 s11, 0, v26
	v_or_b32_e32 v14, 0x800000, v2
	v_cndmask_b32_e64 v20, v17, v9, s6
	v_cndmask_b32_e64 v9, 0, v13, s3
	;; [unrolled: 1-line block ×3, first 2 shown]
	v_cmp_eq_u64_e64 s12, 0, v[2:3]
	v_cndmask_b32_e64 v18, v14, v2, s11
	v_add_nc_u32_e32 v10, 0xffffff81, v26
	v_cndmask_b32_e64 v2, v9, 0x78, s11
	v_add_nc_u32_e32 v9, 20, v33
	v_dual_mov_b32 v21, v3 :: v_dual_and_b32 v28, 0x80, v25
	s_delay_alu instid0(VALU_DEP_4) | instskip(NEXT) | instid1(VALU_DEP_4)
	v_cndmask_b32_e64 v34, v10, 0xffffff82, s11
	v_add_nc_u32_e32 v12, 20, v2
	s_delay_alu instid0(VALU_DEP_4)
	v_lshlrev_b64 v[9:10], v9, -1
	v_and_b32_e32 v30, 0x80, v27
	v_add_nc_u32_e32 v11, 0xffffff81, v23
	v_cmp_lt_u64_e64 s9, 0x43e00000, v[15:16]
	v_lshlrev_b64 v[12:13], v12, -1
	v_cmp_gt_u64_e64 s10, 0x43e00001, v[15:16]
	v_add_nc_u32_e32 v15, 19, v33
	v_cndmask_b32_e64 v32, v11, 0xffffff82, s6
	v_lshrrev_b64 v[10:11], v33, v[20:21]
	v_add_nc_u32_e32 v21, 19, v2
	v_not_b32_e32 v9, v9
	v_lshlrev_b64 v[15:16], v15, 1
	v_not_b32_e32 v12, v12
	v_or_b32_e32 v29, 0x7f, v25
	v_lshlrev_b64 v[25:26], v21, 1
	v_and_b32_e32 v21, v20, v9
	v_lshrrev_b64 v[13:14], v2, v[18:19]
	v_bfe_u32 v35, v10, 20, 1
	v_and_b32_e32 v23, v18, v12
	s_and_b32 s6, s8, s10
	s_and_b32 s10, s5, s0
	v_cmp_ne_u64_e64 s0, v[21:22], v[15:16]
	v_lshrrev_b32_e32 v9, 23, v13
	v_bfe_u32 v20, v13, 20, 1
	v_lshrrev_b32_e32 v19, 23, v10
	v_add3_u32 v15, v10, v35, -1
	s_and_b32 s11, s6, s2
	v_cmp_ne_u64_e64 s2, v[23:24], v[25:26]
	s_and_b32 s0, s10, s0
	v_add3_u32 v2, v2, v34, v9
	v_add3_u32 v9, v13, v20, -1
	v_add3_u32 v12, v33, v32, v19
	v_cndmask_b32_e64 v15, v15, v10, s0
	s_and_b32 s0, s11, s2
	v_add_nc_u32_e32 v19, 6, v2
	v_cndmask_b32_e64 v9, v9, v13, s0
	v_add_nc_u32_e32 v16, 6, v12
	v_add_nc_u32_e32 v18, 7, v12
	v_and_b32_e32 v12, 0xfffff, v15
	v_add_nc_u32_e32 v2, 7, v2
	v_and_b32_e32 v15, 0xfffff, v9
	v_cmp_ne_u32_e64 s0, 0, v16
	v_or_b32_e32 v31, 0x7e, v28
	v_add_co_u32 v9, s2, v12, v10
	s_delay_alu instid0(VALU_DEP_1) | instskip(SKIP_1) | instid1(VALU_DEP_1)
	v_add_co_ci_u32_e64 v10, s2, 0, v11, s2
	v_add_co_u32 v11, s2, v15, v13
	v_add_co_ci_u32_e64 v12, s2, 0, v14, s2
	s_delay_alu instid0(VALU_DEP_3) | instskip(SKIP_2) | instid1(VALU_DEP_4)
	v_cmp_lt_u64_e64 s3, 0xffffff, v[9:10]
	v_bfe_u32 v14, v9, 23, 1
	v_cmp_ne_u32_e64 s2, 0, v19
	v_cmp_lt_u64_e64 s4, 0xffffff, v[11:12]
	s_and_b32 s0, s10, s0
	v_bfe_u32 v15, v11, 23, 1
	v_cndmask_b32_e64 v13, v16, v18, s3
	v_or_b32_e32 v27, 0x7f, v27
	v_or_b32_e32 v17, 0x7e, v30
	v_cndmask_b32_e64 v2, v19, v2, s4
	s_and_b32 s1, s6, s1
	v_cndmask_b32_e64 v13, v14, v13, s0
	s_and_b32 s0, s0, s3
	s_delay_alu instid0(SALU_CYCLE_1)
	v_cndmask_b32_e64 v14, 0, 1, s0
	s_and_b32 s0, s11, s2
	s_and_b32 s2, s8, s9
	v_cndmask_b32_e64 v2, v15, v2, s0
	s_and_b32 s0, s0, s4
	v_lshrrev_b64 v[9:10], v14, v[9:10]
	v_cndmask_b32_e64 v15, 0, 1, s0
	s_or_b32 s0, s13, s7
	s_delay_alu instid0(SALU_CYCLE_1) | instskip(SKIP_1) | instid1(VALU_DEP_2)
	v_cndmask_b32_e64 v16, v29, v31, s0
	s_or_b32 s0, s2, s12
	v_lshrrev_b64 v[11:12], v15, v[11:12]
	v_cndmask_b32_e64 v14, v27, v17, s0
	s_and_b32 s0, s5, vcc_lo
	v_lshrrev_b64 v[9:10], 20, v[9:10]
	v_cndmask_b32_e64 v15, v16, 0, s0
	v_cmp_gt_i32_e64 s0, 16, v13
	v_lshrrev_b64 v[11:12], 20, v[11:12]
	v_cmp_gt_i32_e64 s2, 16, v2
	v_cmp_eq_u32_e32 vcc_lo, 0, v13
	v_min_i32_e32 v13, 15, v13
	v_cndmask_b32_e64 v10, 0, v10, s0
	v_cndmask_b32_e64 v9, 7, v9, s0
	;; [unrolled: 1-line block ×4, first 2 shown]
	v_min_i32_e32 v16, 15, v2
	v_cmp_eq_u32_e64 s0, 0, v2
	v_cmp_eq_u64_e64 s2, 0, v[9:10]
	v_lshl_or_b32 v2, v13, 3, v28
	v_cmp_eq_u64_e64 s3, 0, v[11:12]
	v_lshl_or_b32 v13, v16, 3, v30
	v_cndmask_b32_e64 v10, v14, 0, s1
	s_and_b32 s1, vcc_lo, s2
	v_and_or_b32 v2, v9, 7, v2
	s_delay_alu instid0(VALU_DEP_4)
	s_and_b32 s0, s0, s3
	s_and_b32 vcc_lo, s10, s1
	v_and_or_b32 v9, v11, 7, v13
	v_cndmask_b32_e32 v11, v15, v28, vcc_lo
	s_and_b32 vcc_lo, s11, s0
	s_xor_b32 s2, s1, -1
	v_cndmask_b32_e32 v10, v10, v30, vcc_lo
	s_xor_b32 s0, s0, -1
	s_and_b32 vcc_lo, s10, s2
	v_cndmask_b32_e32 v2, v11, v2, vcc_lo
	s_and_b32 vcc_lo, s11, s0
	v_cndmask_b32_e32 v9, v10, v9, vcc_lo
	v_cmp_eq_u32_e32 vcc_lo, 0, v8
	s_delay_alu instid0(VALU_DEP_3) | instskip(NEXT) | instid1(VALU_DEP_3)
	v_lshlrev_b16 v2, 8, v2
	v_and_b32_e32 v11, 0xff, v9
	v_add_co_u32 v9, s0, s35, v4
	s_delay_alu instid0(VALU_DEP_1) | instskip(NEXT) | instid1(VALU_DEP_3)
	v_add_co_ci_u32_e64 v10, s0, s36, v5, s0
	v_or_b32_e32 v2, v11, v2
	v_add_nc_u32_e32 v4, 2, v4
	s_or_b32 s25, vcc_lo, s25
	global_store_b16 v[9:10], v2, off
	s_and_not1_b32 exec_lo, exec_lo, s25
	s_cbranch_execnz .LBB12_1206
; %bb.1207:
	s_or_b32 exec_lo, exec_lo, s25
	v_cmp_ne_u32_e32 vcc_lo, v6, v7
	v_add_nc_u32_e32 v1, v1, v7
	s_or_not1_b32 s0, vcc_lo, exec_lo
.LBB12_1208:
	s_or_b32 exec_lo, exec_lo, s24
	s_delay_alu instid0(SALU_CYCLE_1)
	s_and_b32 exec_lo, exec_lo, s0
	s_cbranch_execz .LBB12_1229
; %bb.1209:
	v_ashrrev_i32_e32 v2, 31, v1
	s_lshl_b64 s[0:1], s[16:17], 1
	v_mov_b32_e32 v3, 0
	s_add_u32 s0, s14, s0
	s_addc_u32 s1, s15, s1
	v_lshlrev_b64 v[4:5], 1, v[1:2]
	s_add_u32 s0, s18, s0
	s_addc_u32 s1, s19, s1
	s_mov_b32 s4, 0
	s_delay_alu instid0(VALU_DEP_1) | instskip(NEXT) | instid1(VALU_DEP_2)
	v_add_co_u32 v4, vcc_lo, s0, v4
	v_add_co_ci_u32_e32 v5, vcc_lo, s1, v5, vcc_lo
	s_lshl_b32 s1, s27, 1
	s_add_u32 s0, s16, s30
	s_addc_u32 s2, s17, s31
	s_add_u32 s0, s0, s34
	s_addc_u32 s2, s2, s33
	;; [unrolled: 2-line block ×3, first 2 shown]
	v_add_co_u32 v10, vcc_lo, s0, v1
	v_add_co_ci_u32_e32 v11, vcc_lo, s2, v2, vcc_lo
	s_mov_b64 s[2:3], 0
	s_branch .LBB12_1211
.LBB12_1210:                            ;   in Loop: Header=BB12_1211 Depth=1
	s_or_b32 exec_lo, exec_lo, s0
	v_add_co_u32 v8, vcc_lo, v10, s2
	s_add_u32 s2, s2, s27
	v_add_co_ci_u32_e32 v9, vcc_lo, s3, v11, vcc_lo
	v_add_nc_u32_e32 v2, s2, v1
	v_add_co_u32 v4, s0, v4, s1
	s_delay_alu instid0(VALU_DEP_1) | instskip(NEXT) | instid1(VALU_DEP_3)
	v_add_co_ci_u32_e64 v5, s0, 0, v5, s0
	v_cmp_le_i32_e32 vcc_lo, s20, v2
	s_addc_u32 s3, s3, 0
	global_store_b8 v[8:9], v7, off
	s_or_b32 s4, vcc_lo, s4
	s_delay_alu instid0(SALU_CYCLE_1)
	s_and_not1_b32 exec_lo, exec_lo, s4
	s_cbranch_execz .LBB12_1229
.LBB12_1211:                            ; =>This Inner Loop Header: Depth=1
	global_load_u16 v2, v[4:5], off
	s_mov_b32 s0, exec_lo
	v_mov_b32_e32 v14, v3
	s_waitcnt vmcnt(0)
	v_lshlrev_b32_e32 v2, 16, v2
	s_delay_alu instid0(VALU_DEP_1) | instskip(NEXT) | instid1(VALU_DEP_1)
	v_div_scale_f32 v6, null, s26, s26, v2
	v_rcp_f32_e32 v7, v6
	s_waitcnt_depctr 0xfff
	v_fma_f32 v8, -v6, v7, 1.0
	s_delay_alu instid0(VALU_DEP_1) | instskip(SKIP_1) | instid1(VALU_DEP_1)
	v_fmac_f32_e32 v7, v8, v7
	v_div_scale_f32 v8, vcc_lo, v2, s26, v2
	v_mul_f32_e32 v9, v8, v7
	s_delay_alu instid0(VALU_DEP_1) | instskip(NEXT) | instid1(VALU_DEP_1)
	v_fma_f32 v12, -v6, v9, v8
	v_fmac_f32_e32 v9, v12, v7
	s_delay_alu instid0(VALU_DEP_1) | instskip(NEXT) | instid1(VALU_DEP_1)
	v_fma_f32 v6, -v6, v9, v8
	v_div_fmas_f32 v6, v6, v7, v9
	s_delay_alu instid0(VALU_DEP_1) | instskip(NEXT) | instid1(VALU_DEP_1)
	v_div_fixup_f32 v6, v6, s26, v2
	v_lshrrev_b32_e32 v8, 24, v6
	v_and_b32_e32 v13, 0x7f800000, v6
	v_and_b32_e32 v2, 0x7fffff, v6
	s_delay_alu instid0(VALU_DEP_3) | instskip(NEXT) | instid1(VALU_DEP_1)
	v_and_b32_e32 v12, 0x80, v8
	v_or_b32_e32 v7, 0x7e, v12
	s_delay_alu instid0(VALU_DEP_4)
	v_cmpx_ne_u64_e32 0x7f800000, v[13:14]
	s_xor_b32 s5, exec_lo, s0
	s_cbranch_execz .LBB12_1227
; %bb.1212:                             ;   in Loop: Header=BB12_1211 Depth=1
	v_dual_mov_b32 v9, v3 :: v_dual_and_b32 v8, 0x7fffffff, v6
	s_mov_b32 s0, exec_lo
	s_delay_alu instid0(VALU_DEP_1)
	v_cmpx_gt_u64_e32 0x43e00001, v[8:9]
	s_xor_b32 s6, exec_lo, s0
	s_cbranch_execz .LBB12_1226
; %bb.1213:                             ;   in Loop: Header=BB12_1211 Depth=1
	v_mov_b32_e32 v7, 0
	s_mov_b32 s7, exec_lo
	v_cmpx_ne_u32_e32 0, v6
	s_cbranch_execz .LBB12_1225
; %bb.1214:                             ;   in Loop: Header=BB12_1211 Depth=1
	v_bfe_u32 v13, v6, 23, 8
	v_or_b32_e32 v8, 0x800000, v2
	s_delay_alu instid0(VALU_DEP_2) | instskip(SKIP_1) | instid1(VALU_DEP_2)
	v_sub_nc_u32_e32 v6, 0x79, v13
	v_cmp_gt_u32_e32 vcc_lo, 0x7a, v13
	v_cndmask_b32_e32 v6, 0, v6, vcc_lo
	v_cmp_eq_u32_e32 vcc_lo, 0, v13
	s_delay_alu instid0(VALU_DEP_2) | instskip(SKIP_1) | instid1(VALU_DEP_2)
	v_cndmask_b32_e64 v14, v6, 0x78, vcc_lo
	v_cndmask_b32_e32 v2, v8, v2, vcc_lo
	v_add_nc_u32_e32 v6, 20, v14
	v_add_nc_u32_e32 v8, 19, v14
	s_delay_alu instid0(VALU_DEP_2) | instskip(NEXT) | instid1(VALU_DEP_2)
	v_lshlrev_b64 v[6:7], v6, -1
	v_lshlrev_b64 v[8:9], v8, 1
	s_delay_alu instid0(VALU_DEP_2) | instskip(NEXT) | instid1(VALU_DEP_3)
	v_not_b32_e32 v7, v7
	v_not_b32_e32 v6, v6
	s_delay_alu instid0(VALU_DEP_2) | instskip(NEXT) | instid1(VALU_DEP_2)
	v_and_b32_e32 v16, 0, v7
	v_and_b32_e32 v15, v2, v6
	v_lshrrev_b64 v[6:7], v14, v[2:3]
	s_delay_alu instid0(VALU_DEP_2) | instskip(NEXT) | instid1(VALU_DEP_2)
	v_cmp_eq_u64_e64 s0, v[15:16], v[8:9]
	v_dual_mov_b32 v9, v7 :: v_dual_mov_b32 v8, v6
	s_delay_alu instid0(VALU_DEP_2)
	s_and_saveexec_b32 s8, s0
; %bb.1215:                             ;   in Loop: Header=BB12_1211 Depth=1
	v_bfe_u32 v2, v6, 20, 1
	s_delay_alu instid0(VALU_DEP_1) | instskip(NEXT) | instid1(VALU_DEP_1)
	v_add_co_u32 v2, s0, v6, v2
	v_add_co_u32 v8, s0, v2, -1
; %bb.1216:                             ;   in Loop: Header=BB12_1211 Depth=1
	s_or_b32 exec_lo, exec_lo, s8
	v_add_nc_u32_e32 v2, 0xffffff81, v13
	v_lshrrev_b32_e32 v9, 23, v6
	s_mov_b32 s0, exec_lo
	s_delay_alu instid0(VALU_DEP_2) | instskip(NEXT) | instid1(VALU_DEP_1)
	v_cndmask_b32_e64 v2, v2, 0xffffff82, vcc_lo
	v_add3_u32 v9, v14, v2, v9
	v_and_b32_e32 v2, 0xfffff, v8
	s_delay_alu instid0(VALU_DEP_2) | instskip(NEXT) | instid1(VALU_DEP_2)
	v_add_nc_u32_e32 v8, 6, v9
	v_add_co_u32 v6, vcc_lo, v2, v6
	v_add_co_ci_u32_e32 v7, vcc_lo, 0, v7, vcc_lo
                                        ; implicit-def: $vgpr2
	s_delay_alu instid0(VALU_DEP_3)
	v_cmpx_ne_u32_e32 0, v8
	s_xor_b32 s0, exec_lo, s0
; %bb.1217:                             ;   in Loop: Header=BB12_1211 Depth=1
	s_delay_alu instid0(VALU_DEP_2) | instskip(SKIP_1) | instid1(VALU_DEP_1)
	v_cmp_lt_u64_e32 vcc_lo, 0xffffff, v[6:7]
	v_add_nc_u32_e32 v2, 7, v9
	v_cndmask_b32_e32 v2, v8, v2, vcc_lo
	v_cndmask_b32_e64 v8, 0, 1, vcc_lo
	s_delay_alu instid0(VALU_DEP_1)
	v_lshrrev_b64 v[6:7], v8, v[6:7]
; %bb.1218:                             ;   in Loop: Header=BB12_1211 Depth=1
	s_and_not1_saveexec_b32 s0, s0
; %bb.1219:                             ;   in Loop: Header=BB12_1211 Depth=1
	s_delay_alu instid0(VALU_DEP_1)
	v_bfe_u32 v2, v6, 23, 1
; %bb.1220:                             ;   in Loop: Header=BB12_1211 Depth=1
	s_or_b32 exec_lo, exec_lo, s0
	s_delay_alu instid0(VALU_DEP_2) | instskip(NEXT) | instid1(VALU_DEP_2)
	v_lshrrev_b64 v[6:7], 20, v[6:7]
	v_cmp_gt_i32_e32 vcc_lo, 16, v2
	v_cmp_ne_u32_e64 s0, 0, v2
	s_delay_alu instid0(VALU_DEP_3) | instskip(NEXT) | instid1(VALU_DEP_1)
	v_dual_cndmask_b32 v7, 0, v7 :: v_dual_cndmask_b32 v6, 7, v6
	v_cmp_ne_u64_e32 vcc_lo, 0, v[6:7]
                                        ; implicit-def: $vgpr7
	s_delay_alu instid0(VALU_DEP_3) | instskip(NEXT) | instid1(SALU_CYCLE_1)
	s_or_b32 s0, s0, vcc_lo
	s_and_saveexec_b32 s8, s0
	s_delay_alu instid0(SALU_CYCLE_1)
	s_xor_b32 s0, exec_lo, s8
; %bb.1221:                             ;   in Loop: Header=BB12_1211 Depth=1
	v_min_i32_e32 v2, 15, v2
	s_delay_alu instid0(VALU_DEP_1) | instskip(NEXT) | instid1(VALU_DEP_1)
	v_lshl_or_b32 v2, v2, 3, v12
                                        ; implicit-def: $vgpr12
	v_and_or_b32 v7, v6, 7, v2
; %bb.1222:                             ;   in Loop: Header=BB12_1211 Depth=1
	s_and_not1_saveexec_b32 s0, s0
; %bb.1223:                             ;   in Loop: Header=BB12_1211 Depth=1
	v_mov_b32_e32 v7, v12
; %bb.1224:                             ;   in Loop: Header=BB12_1211 Depth=1
	s_or_b32 exec_lo, exec_lo, s0
.LBB12_1225:                            ;   in Loop: Header=BB12_1211 Depth=1
	s_delay_alu instid0(SALU_CYCLE_1)
	s_or_b32 exec_lo, exec_lo, s7
.LBB12_1226:                            ;   in Loop: Header=BB12_1211 Depth=1
	s_and_not1_saveexec_b32 s0, s6
	s_delay_alu instid0(SALU_CYCLE_1)
	s_or_b32 exec_lo, exec_lo, s0
                                        ; implicit-def: $vgpr8
.LBB12_1227:                            ;   in Loop: Header=BB12_1211 Depth=1
	s_and_not1_saveexec_b32 s0, s5
	s_cbranch_execz .LBB12_1210
; %bb.1228:                             ;   in Loop: Header=BB12_1211 Depth=1
	v_cmp_eq_u64_e32 vcc_lo, 0, v[2:3]
	v_or_b32_e32 v6, 0x7f, v8
	s_delay_alu instid0(VALU_DEP_1)
	v_cndmask_b32_e32 v7, v6, v7, vcc_lo
	s_branch .LBB12_1210
.LBB12_1229:
	s_or_b32 exec_lo, exec_lo, s21
	s_mov_b32 s0, 0
.LBB12_1230:
	s_delay_alu instid0(SALU_CYCLE_1)
	s_and_b32 vcc_lo, exec_lo, s0
	s_cbranch_vccz .LBB12_1378
; %bb.1231:
	s_ashr_i32 s1, s39, 3
	s_mov_b32 s0, exec_lo
	v_cmpx_gt_i32_e64 s1, v0
	s_cbranch_execz .LBB12_1378
; %bb.1232:
	v_dual_mov_b32 v10, 0 :: v_dual_lshlrev_b32 v1, 3, v0
	s_add_u32 s0, s30, s34
	s_addc_u32 s2, s31, s33
	s_add_u32 s0, s22, s0
	s_addc_u32 s2, s23, s2
	v_add_co_u32 v5, s0, s0, v1
	v_lshlrev_b32_e32 v1, 4, v0
	v_add_co_ci_u32_e64 v6, null, s2, 0, s0
	s_lshl_b32 s2, s27, 3
	s_add_u32 s0, s18, s14
	s_addc_u32 s3, s19, s15
	v_add_co_u32 v7, s0, s0, v1
	s_delay_alu instid0(VALU_DEP_1)
	v_add_co_ci_u32_e64 v8, null, s3, 0, s0
	s_mov_b32 s3, 0
	s_lshl_b32 s4, s27, 4
	s_branch .LBB12_1234
.LBB12_1233:                            ;   in Loop: Header=BB12_1234 Depth=1
	s_or_b32 exec_lo, exec_lo, s0
	v_lshlrev_b32_e32 v3, 16, v15
	v_lshlrev_b32_e32 v4, 16, v13
	;; [unrolled: 1-line block ×5, first 2 shown]
	v_and_b32_e32 v3, 0xff0000, v3
	v_perm_b32 v1, v1, v4, 0x4020c0c
	v_and_b32_e32 v4, 0xff, v14
	v_and_b32_e32 v11, 0xff, v11
	;; [unrolled: 1-line block ×3, first 2 shown]
	v_or_b32_e32 v3, v9, v3
	v_and_or_b32 v1, 0xff00, v12, v1
	v_add_nc_u32_e32 v0, s27, v0
	s_delay_alu instid0(VALU_DEP_3) | instskip(NEXT) | instid1(VALU_DEP_3)
	v_or3_b32 v2, v3, v2, v4
	v_or_b32_e32 v1, v1, v11
	s_delay_alu instid0(VALU_DEP_3) | instskip(SKIP_2) | instid1(VALU_DEP_1)
	v_cmp_le_i32_e32 vcc_lo, s1, v0
	global_store_b64 v[5:6], v[1:2], off
	v_add_co_u32 v5, s0, v5, s2
	v_add_co_ci_u32_e64 v6, s0, 0, v6, s0
	v_add_co_u32 v7, s0, v7, s4
	s_delay_alu instid0(VALU_DEP_1) | instskip(SKIP_1) | instid1(SALU_CYCLE_1)
	v_add_co_ci_u32_e64 v8, s0, 0, v8, s0
	s_or_b32 s3, vcc_lo, s3
	s_and_not1_b32 exec_lo, exec_lo, s3
	s_cbranch_execz .LBB12_1378
.LBB12_1234:                            ; =>This Inner Loop Header: Depth=1
	global_load_b128 v[1:4], v[7:8], off
	s_mov_b32 s0, exec_lo
	s_waitcnt vmcnt(0)
	v_dual_mov_b32 v16, v10 :: v_dual_lshlrev_b32 v9, 16, v1
	s_delay_alu instid0(VALU_DEP_1) | instskip(NEXT) | instid1(VALU_DEP_1)
	v_div_scale_f32 v11, null, s26, s26, v9
	v_rcp_f32_e32 v12, v11
	s_waitcnt_depctr 0xfff
	v_fma_f32 v13, -v11, v12, 1.0
	s_delay_alu instid0(VALU_DEP_1) | instskip(SKIP_1) | instid1(VALU_DEP_1)
	v_fmac_f32_e32 v12, v13, v12
	v_div_scale_f32 v13, vcc_lo, v9, s26, v9
	v_mul_f32_e32 v14, v13, v12
	s_delay_alu instid0(VALU_DEP_1) | instskip(NEXT) | instid1(VALU_DEP_1)
	v_fma_f32 v15, -v11, v14, v13
	v_fmac_f32_e32 v14, v15, v12
	s_delay_alu instid0(VALU_DEP_1) | instskip(NEXT) | instid1(VALU_DEP_1)
	v_fma_f32 v11, -v11, v14, v13
	v_div_fmas_f32 v11, v11, v12, v14
	s_delay_alu instid0(VALU_DEP_1) | instskip(NEXT) | instid1(VALU_DEP_1)
	v_div_fixup_f32 v14, v11, s26, v9
	v_lshrrev_b32_e32 v12, 24, v14
	v_and_b32_e32 v15, 0x7f800000, v14
	v_and_b32_e32 v9, 0x7fffff, v14
	s_delay_alu instid0(VALU_DEP_3) | instskip(NEXT) | instid1(VALU_DEP_1)
	v_and_b32_e32 v13, 0x80, v12
	v_or_b32_e32 v11, 0x7e, v13
	s_delay_alu instid0(VALU_DEP_4)
	v_cmpx_ne_u64_e32 0x7f800000, v[15:16]
	s_xor_b32 s5, exec_lo, s0
	s_cbranch_execz .LBB12_1250
; %bb.1235:                             ;   in Loop: Header=BB12_1234 Depth=1
	v_dual_mov_b32 v16, v10 :: v_dual_and_b32 v15, 0x7fffffff, v14
	s_mov_b32 s0, exec_lo
	s_delay_alu instid0(VALU_DEP_1)
	v_cmpx_gt_u64_e32 0x43e00001, v[15:16]
	s_xor_b32 s6, exec_lo, s0
	s_cbranch_execz .LBB12_1249
; %bb.1236:                             ;   in Loop: Header=BB12_1234 Depth=1
	s_mov_b32 s7, exec_lo
	v_mov_b32_e32 v11, 0
	v_mov_b32_e32 v12, 0
	v_cmpx_ne_u32_e32 0, v14
	s_cbranch_execz .LBB12_1248
; %bb.1237:                             ;   in Loop: Header=BB12_1234 Depth=1
	v_bfe_u32 v16, v14, 23, 8
	v_or_b32_e32 v14, 0x800000, v9
	s_delay_alu instid0(VALU_DEP_2) | instskip(SKIP_1) | instid1(VALU_DEP_2)
	v_sub_nc_u32_e32 v11, 0x79, v16
	v_cmp_gt_u32_e32 vcc_lo, 0x7a, v16
	v_cndmask_b32_e32 v11, 0, v11, vcc_lo
	v_cmp_eq_u32_e32 vcc_lo, 0, v16
	s_delay_alu instid0(VALU_DEP_2) | instskip(SKIP_1) | instid1(VALU_DEP_2)
	v_cndmask_b32_e64 v17, v11, 0x78, vcc_lo
	v_cndmask_b32_e32 v9, v14, v9, vcc_lo
	v_add_nc_u32_e32 v11, 20, v17
	v_add_nc_u32_e32 v14, 19, v17
	s_delay_alu instid0(VALU_DEP_2) | instskip(NEXT) | instid1(VALU_DEP_2)
	v_lshlrev_b64 v[11:12], v11, -1
	v_lshlrev_b64 v[14:15], v14, 1
	s_delay_alu instid0(VALU_DEP_2) | instskip(NEXT) | instid1(VALU_DEP_3)
	v_not_b32_e32 v12, v12
	v_not_b32_e32 v11, v11
	s_delay_alu instid0(VALU_DEP_2) | instskip(NEXT) | instid1(VALU_DEP_2)
	v_and_b32_e32 v19, 0, v12
	v_and_b32_e32 v18, v9, v11
	v_lshrrev_b64 v[11:12], v17, v[9:10]
	s_delay_alu instid0(VALU_DEP_2) | instskip(NEXT) | instid1(VALU_DEP_2)
	v_cmp_eq_u64_e64 s0, v[18:19], v[14:15]
	v_dual_mov_b32 v15, v12 :: v_dual_mov_b32 v14, v11
	s_delay_alu instid0(VALU_DEP_2)
	s_and_saveexec_b32 s8, s0
; %bb.1238:                             ;   in Loop: Header=BB12_1234 Depth=1
	v_bfe_u32 v9, v11, 20, 1
	s_delay_alu instid0(VALU_DEP_1) | instskip(NEXT) | instid1(VALU_DEP_1)
	v_add_co_u32 v9, s0, v11, v9
	v_add_co_u32 v14, s0, v9, -1
; %bb.1239:                             ;   in Loop: Header=BB12_1234 Depth=1
	s_or_b32 exec_lo, exec_lo, s8
	v_add_nc_u32_e32 v9, 0xffffff81, v16
	v_lshrrev_b32_e32 v15, 23, v11
	s_mov_b32 s0, exec_lo
	s_delay_alu instid0(VALU_DEP_2) | instskip(NEXT) | instid1(VALU_DEP_1)
	v_cndmask_b32_e64 v9, v9, 0xffffff82, vcc_lo
	v_add3_u32 v15, v17, v9, v15
	v_and_b32_e32 v9, 0xfffff, v14
	s_delay_alu instid0(VALU_DEP_2) | instskip(NEXT) | instid1(VALU_DEP_2)
	v_add_nc_u32_e32 v14, 6, v15
	v_add_co_u32 v11, vcc_lo, v9, v11
	v_add_co_ci_u32_e32 v12, vcc_lo, 0, v12, vcc_lo
                                        ; implicit-def: $vgpr9
	s_delay_alu instid0(VALU_DEP_3)
	v_cmpx_ne_u32_e32 0, v14
	s_xor_b32 s0, exec_lo, s0
; %bb.1240:                             ;   in Loop: Header=BB12_1234 Depth=1
	s_delay_alu instid0(VALU_DEP_2) | instskip(SKIP_1) | instid1(VALU_DEP_1)
	v_cmp_lt_u64_e32 vcc_lo, 0xffffff, v[11:12]
	v_add_nc_u32_e32 v9, 7, v15
	v_cndmask_b32_e32 v9, v14, v9, vcc_lo
	v_cndmask_b32_e64 v14, 0, 1, vcc_lo
	s_delay_alu instid0(VALU_DEP_1)
	v_lshrrev_b64 v[11:12], v14, v[11:12]
; %bb.1241:                             ;   in Loop: Header=BB12_1234 Depth=1
	s_and_not1_saveexec_b32 s0, s0
; %bb.1242:                             ;   in Loop: Header=BB12_1234 Depth=1
	s_delay_alu instid0(VALU_DEP_1)
	v_bfe_u32 v9, v11, 23, 1
; %bb.1243:                             ;   in Loop: Header=BB12_1234 Depth=1
	s_or_b32 exec_lo, exec_lo, s0
	s_delay_alu instid0(VALU_DEP_2) | instskip(NEXT) | instid1(VALU_DEP_2)
	v_lshrrev_b64 v[11:12], 20, v[11:12]
	v_cmp_gt_i32_e32 vcc_lo, 16, v9
	v_cmp_ne_u32_e64 s0, 0, v9
	s_delay_alu instid0(VALU_DEP_3) | instskip(NEXT) | instid1(VALU_DEP_1)
	v_dual_cndmask_b32 v15, 0, v12 :: v_dual_cndmask_b32 v14, 7, v11
                                        ; implicit-def: $vgpr11_vgpr12
	v_cmp_ne_u64_e32 vcc_lo, 0, v[14:15]
	s_delay_alu instid0(VALU_DEP_3) | instskip(NEXT) | instid1(SALU_CYCLE_1)
	s_or_b32 s0, s0, vcc_lo
	s_and_saveexec_b32 s8, s0
	s_delay_alu instid0(SALU_CYCLE_1)
	s_xor_b32 s0, exec_lo, s8
; %bb.1244:                             ;   in Loop: Header=BB12_1234 Depth=1
	v_min_i32_e32 v9, 15, v9
	s_delay_alu instid0(VALU_DEP_1) | instskip(NEXT) | instid1(VALU_DEP_1)
	v_lshl_or_b32 v9, v9, 3, v13
                                        ; implicit-def: $vgpr13
	v_and_or_b32 v11, v14, 7, v9
; %bb.1245:                             ;   in Loop: Header=BB12_1234 Depth=1
	s_and_not1_saveexec_b32 s0, s0
; %bb.1246:                             ;   in Loop: Header=BB12_1234 Depth=1
	v_dual_mov_b32 v11, v13 :: v_dual_mov_b32 v12, v14
; %bb.1247:                             ;   in Loop: Header=BB12_1234 Depth=1
	s_or_b32 exec_lo, exec_lo, s0
.LBB12_1248:                            ;   in Loop: Header=BB12_1234 Depth=1
	s_delay_alu instid0(SALU_CYCLE_1)
	s_or_b32 exec_lo, exec_lo, s7
.LBB12_1249:                            ;   in Loop: Header=BB12_1234 Depth=1
	s_and_not1_saveexec_b32 s0, s6
	s_delay_alu instid0(SALU_CYCLE_1)
	s_or_b32 exec_lo, exec_lo, s0
                                        ; implicit-def: $vgpr12
.LBB12_1250:                            ;   in Loop: Header=BB12_1234 Depth=1
	s_and_not1_saveexec_b32 s0, s5
; %bb.1251:                             ;   in Loop: Header=BB12_1234 Depth=1
	v_cmp_eq_u64_e32 vcc_lo, 0, v[9:10]
	v_or_b32_e32 v12, 0x7f, v12
	s_delay_alu instid0(VALU_DEP_1)
	v_cndmask_b32_e32 v11, v12, v11, vcc_lo
; %bb.1252:                             ;   in Loop: Header=BB12_1234 Depth=1
	s_or_b32 exec_lo, exec_lo, s0
	v_and_b32_e32 v1, 0xffff0000, v1
	s_mov_b32 s0, exec_lo
	v_mov_b32_e32 v16, v10
	s_delay_alu instid0(VALU_DEP_2) | instskip(NEXT) | instid1(VALU_DEP_1)
	v_div_scale_f32 v9, null, s26, s26, v1
	v_rcp_f32_e32 v12, v9
	s_waitcnt_depctr 0xfff
	v_fma_f32 v13, -v9, v12, 1.0
	s_delay_alu instid0(VALU_DEP_1) | instskip(SKIP_1) | instid1(VALU_DEP_1)
	v_fmac_f32_e32 v12, v13, v12
	v_div_scale_f32 v13, vcc_lo, v1, s26, v1
	v_mul_f32_e32 v14, v13, v12
	s_delay_alu instid0(VALU_DEP_1) | instskip(NEXT) | instid1(VALU_DEP_1)
	v_fma_f32 v15, -v9, v14, v13
	v_fmac_f32_e32 v14, v15, v12
	s_delay_alu instid0(VALU_DEP_1) | instskip(NEXT) | instid1(VALU_DEP_1)
	v_fma_f32 v9, -v9, v14, v13
	v_div_fmas_f32 v9, v9, v12, v14
	s_delay_alu instid0(VALU_DEP_1) | instskip(NEXT) | instid1(VALU_DEP_1)
	v_div_fixup_f32 v14, v9, s26, v1
	v_lshrrev_b32_e32 v13, 24, v14
	v_and_b32_e32 v15, 0x7f800000, v14
	v_and_b32_e32 v9, 0x7fffff, v14
	s_delay_alu instid0(VALU_DEP_3) | instskip(NEXT) | instid1(VALU_DEP_1)
	v_and_b32_e32 v1, 0x80, v13
	v_or_b32_e32 v12, 0x7e, v1
	s_delay_alu instid0(VALU_DEP_4)
	v_cmpx_ne_u64_e32 0x7f800000, v[15:16]
	s_xor_b32 s5, exec_lo, s0
	s_cbranch_execz .LBB12_1268
; %bb.1253:                             ;   in Loop: Header=BB12_1234 Depth=1
	v_dual_mov_b32 v16, v10 :: v_dual_and_b32 v15, 0x7fffffff, v14
	s_mov_b32 s0, exec_lo
	s_delay_alu instid0(VALU_DEP_1)
	v_cmpx_gt_u64_e32 0x43e00001, v[15:16]
	s_xor_b32 s6, exec_lo, s0
	s_cbranch_execz .LBB12_1267
; %bb.1254:                             ;   in Loop: Header=BB12_1234 Depth=1
	s_mov_b32 s7, exec_lo
	v_mov_b32_e32 v12, 0
	v_mov_b32_e32 v13, 0
	v_cmpx_ne_u32_e32 0, v14
	s_cbranch_execz .LBB12_1266
; %bb.1255:                             ;   in Loop: Header=BB12_1234 Depth=1
	v_bfe_u32 v16, v14, 23, 8
	v_or_b32_e32 v14, 0x800000, v9
	s_delay_alu instid0(VALU_DEP_2) | instskip(SKIP_1) | instid1(VALU_DEP_2)
	v_sub_nc_u32_e32 v12, 0x79, v16
	v_cmp_gt_u32_e32 vcc_lo, 0x7a, v16
	v_cndmask_b32_e32 v12, 0, v12, vcc_lo
	v_cmp_eq_u32_e32 vcc_lo, 0, v16
	v_cndmask_b32_e32 v9, v14, v9, vcc_lo
	s_delay_alu instid0(VALU_DEP_3) | instskip(NEXT) | instid1(VALU_DEP_1)
	v_cndmask_b32_e64 v17, v12, 0x78, vcc_lo
	v_add_nc_u32_e32 v12, 20, v17
	v_add_nc_u32_e32 v14, 19, v17
	s_delay_alu instid0(VALU_DEP_2) | instskip(NEXT) | instid1(VALU_DEP_2)
	v_lshlrev_b64 v[12:13], v12, -1
	v_lshlrev_b64 v[14:15], v14, 1
	s_delay_alu instid0(VALU_DEP_2) | instskip(NEXT) | instid1(VALU_DEP_3)
	v_not_b32_e32 v13, v13
	v_not_b32_e32 v12, v12
	s_delay_alu instid0(VALU_DEP_2) | instskip(NEXT) | instid1(VALU_DEP_2)
	v_and_b32_e32 v19, 0, v13
	v_and_b32_e32 v18, v9, v12
	v_lshrrev_b64 v[12:13], v17, v[9:10]
	s_delay_alu instid0(VALU_DEP_2) | instskip(NEXT) | instid1(VALU_DEP_2)
	v_cmp_eq_u64_e64 s0, v[18:19], v[14:15]
	v_dual_mov_b32 v15, v13 :: v_dual_mov_b32 v14, v12
	s_delay_alu instid0(VALU_DEP_2)
	s_and_saveexec_b32 s8, s0
; %bb.1256:                             ;   in Loop: Header=BB12_1234 Depth=1
	v_bfe_u32 v9, v12, 20, 1
	s_delay_alu instid0(VALU_DEP_1) | instskip(NEXT) | instid1(VALU_DEP_1)
	v_add_co_u32 v9, s0, v12, v9
	v_add_co_u32 v14, s0, v9, -1
; %bb.1257:                             ;   in Loop: Header=BB12_1234 Depth=1
	s_or_b32 exec_lo, exec_lo, s8
	v_add_nc_u32_e32 v9, 0xffffff81, v16
	v_lshrrev_b32_e32 v15, 23, v12
	s_mov_b32 s0, exec_lo
	s_delay_alu instid0(VALU_DEP_2) | instskip(NEXT) | instid1(VALU_DEP_1)
	v_cndmask_b32_e64 v9, v9, 0xffffff82, vcc_lo
	v_add3_u32 v15, v17, v9, v15
	v_and_b32_e32 v9, 0xfffff, v14
	s_delay_alu instid0(VALU_DEP_2) | instskip(NEXT) | instid1(VALU_DEP_2)
	v_add_nc_u32_e32 v14, 6, v15
	v_add_co_u32 v12, vcc_lo, v9, v12
	v_add_co_ci_u32_e32 v13, vcc_lo, 0, v13, vcc_lo
                                        ; implicit-def: $vgpr9
	s_delay_alu instid0(VALU_DEP_3)
	v_cmpx_ne_u32_e32 0, v14
	s_xor_b32 s0, exec_lo, s0
; %bb.1258:                             ;   in Loop: Header=BB12_1234 Depth=1
	s_delay_alu instid0(VALU_DEP_2) | instskip(SKIP_1) | instid1(VALU_DEP_1)
	v_cmp_lt_u64_e32 vcc_lo, 0xffffff, v[12:13]
	v_add_nc_u32_e32 v9, 7, v15
	v_cndmask_b32_e32 v9, v14, v9, vcc_lo
	v_cndmask_b32_e64 v14, 0, 1, vcc_lo
	s_delay_alu instid0(VALU_DEP_1)
	v_lshrrev_b64 v[12:13], v14, v[12:13]
; %bb.1259:                             ;   in Loop: Header=BB12_1234 Depth=1
	s_and_not1_saveexec_b32 s0, s0
; %bb.1260:                             ;   in Loop: Header=BB12_1234 Depth=1
	s_delay_alu instid0(VALU_DEP_1)
	v_bfe_u32 v9, v12, 23, 1
; %bb.1261:                             ;   in Loop: Header=BB12_1234 Depth=1
	s_or_b32 exec_lo, exec_lo, s0
	s_delay_alu instid0(VALU_DEP_2) | instskip(NEXT) | instid1(VALU_DEP_2)
	v_lshrrev_b64 v[12:13], 20, v[12:13]
	v_cmp_gt_i32_e32 vcc_lo, 16, v9
	v_cmp_ne_u32_e64 s0, 0, v9
	s_delay_alu instid0(VALU_DEP_3) | instskip(NEXT) | instid1(VALU_DEP_1)
	v_dual_cndmask_b32 v15, 0, v13 :: v_dual_cndmask_b32 v14, 7, v12
                                        ; implicit-def: $vgpr12_vgpr13
	v_cmp_ne_u64_e32 vcc_lo, 0, v[14:15]
	s_delay_alu instid0(VALU_DEP_3) | instskip(NEXT) | instid1(SALU_CYCLE_1)
	s_or_b32 s0, s0, vcc_lo
	s_and_saveexec_b32 s8, s0
	s_delay_alu instid0(SALU_CYCLE_1)
	s_xor_b32 s0, exec_lo, s8
; %bb.1262:                             ;   in Loop: Header=BB12_1234 Depth=1
	v_min_i32_e32 v9, 15, v9
	s_delay_alu instid0(VALU_DEP_1) | instskip(NEXT) | instid1(VALU_DEP_1)
	v_lshl_or_b32 v1, v9, 3, v1
	v_and_or_b32 v12, v14, 7, v1
                                        ; implicit-def: $vgpr1
; %bb.1263:                             ;   in Loop: Header=BB12_1234 Depth=1
	s_and_not1_saveexec_b32 s0, s0
; %bb.1264:                             ;   in Loop: Header=BB12_1234 Depth=1
	v_dual_mov_b32 v13, v2 :: v_dual_mov_b32 v12, v1
; %bb.1265:                             ;   in Loop: Header=BB12_1234 Depth=1
	s_or_b32 exec_lo, exec_lo, s0
.LBB12_1266:                            ;   in Loop: Header=BB12_1234 Depth=1
	s_delay_alu instid0(SALU_CYCLE_1)
	s_or_b32 exec_lo, exec_lo, s7
.LBB12_1267:                            ;   in Loop: Header=BB12_1234 Depth=1
	s_and_not1_saveexec_b32 s0, s6
	s_delay_alu instid0(SALU_CYCLE_1)
	s_or_b32 exec_lo, exec_lo, s0
                                        ; implicit-def: $vgpr13
.LBB12_1268:                            ;   in Loop: Header=BB12_1234 Depth=1
	s_and_not1_saveexec_b32 s0, s5
; %bb.1269:                             ;   in Loop: Header=BB12_1234 Depth=1
	v_cmp_eq_u64_e32 vcc_lo, 0, v[9:10]
	v_or_b32_e32 v1, 0x7f, v13
	s_delay_alu instid0(VALU_DEP_1)
	v_cndmask_b32_e32 v12, v1, v12, vcc_lo
; %bb.1270:                             ;   in Loop: Header=BB12_1234 Depth=1
	s_or_b32 exec_lo, exec_lo, s0
	v_lshlrev_b32_e32 v1, 16, v2
	v_mov_b32_e32 v17, v10
	s_mov_b32 s0, exec_lo
	s_delay_alu instid0(VALU_DEP_2) | instskip(NEXT) | instid1(VALU_DEP_1)
	v_div_scale_f32 v9, null, s26, s26, v1
	v_rcp_f32_e32 v13, v9
	s_waitcnt_depctr 0xfff
	v_fma_f32 v14, -v9, v13, 1.0
	s_delay_alu instid0(VALU_DEP_1) | instskip(SKIP_1) | instid1(VALU_DEP_1)
	v_fmac_f32_e32 v13, v14, v13
	v_div_scale_f32 v14, vcc_lo, v1, s26, v1
	v_mul_f32_e32 v15, v14, v13
	s_delay_alu instid0(VALU_DEP_1) | instskip(NEXT) | instid1(VALU_DEP_1)
	v_fma_f32 v16, -v9, v15, v14
	v_fmac_f32_e32 v15, v16, v13
	s_delay_alu instid0(VALU_DEP_1) | instskip(NEXT) | instid1(VALU_DEP_1)
	v_fma_f32 v9, -v9, v15, v14
	v_div_fmas_f32 v9, v9, v13, v15
	s_delay_alu instid0(VALU_DEP_1) | instskip(NEXT) | instid1(VALU_DEP_1)
	v_div_fixup_f32 v15, v9, s26, v1
	v_and_b32_e32 v16, 0x7f800000, v15
	v_lshrrev_b32_e32 v14, 24, v15
	v_and_b32_e32 v9, 0x7fffff, v15
	s_delay_alu instid0(VALU_DEP_2) | instskip(NEXT) | instid1(VALU_DEP_1)
	v_and_b32_e32 v1, 0x80, v14
	v_or_b32_e32 v13, 0x7e, v1
	v_cmpx_ne_u64_e32 0x7f800000, v[16:17]
	s_xor_b32 s5, exec_lo, s0
	s_cbranch_execz .LBB12_1286
; %bb.1271:                             ;   in Loop: Header=BB12_1234 Depth=1
	v_dual_mov_b32 v17, v10 :: v_dual_and_b32 v16, 0x7fffffff, v15
	s_mov_b32 s0, exec_lo
	s_delay_alu instid0(VALU_DEP_1)
	v_cmpx_gt_u64_e32 0x43e00001, v[16:17]
	s_xor_b32 s6, exec_lo, s0
	s_cbranch_execz .LBB12_1285
; %bb.1272:                             ;   in Loop: Header=BB12_1234 Depth=1
	s_mov_b32 s7, exec_lo
	v_mov_b32_e32 v13, 0
	v_mov_b32_e32 v14, 0
	v_cmpx_ne_u32_e32 0, v15
	s_cbranch_execz .LBB12_1284
; %bb.1273:                             ;   in Loop: Header=BB12_1234 Depth=1
	v_bfe_u32 v17, v15, 23, 8
	v_or_b32_e32 v15, 0x800000, v9
	s_delay_alu instid0(VALU_DEP_2) | instskip(SKIP_1) | instid1(VALU_DEP_2)
	v_sub_nc_u32_e32 v13, 0x79, v17
	v_cmp_gt_u32_e32 vcc_lo, 0x7a, v17
	v_cndmask_b32_e32 v13, 0, v13, vcc_lo
	v_cmp_eq_u32_e32 vcc_lo, 0, v17
	s_delay_alu instid0(VALU_DEP_2) | instskip(SKIP_1) | instid1(VALU_DEP_2)
	v_cndmask_b32_e64 v18, v13, 0x78, vcc_lo
	v_cndmask_b32_e32 v9, v15, v9, vcc_lo
	v_add_nc_u32_e32 v13, 20, v18
	v_add_nc_u32_e32 v15, 19, v18
	s_delay_alu instid0(VALU_DEP_2) | instskip(NEXT) | instid1(VALU_DEP_2)
	v_lshlrev_b64 v[13:14], v13, -1
	v_lshlrev_b64 v[15:16], v15, 1
	s_delay_alu instid0(VALU_DEP_2) | instskip(NEXT) | instid1(VALU_DEP_3)
	v_not_b32_e32 v14, v14
	v_not_b32_e32 v13, v13
	s_delay_alu instid0(VALU_DEP_2) | instskip(NEXT) | instid1(VALU_DEP_2)
	v_and_b32_e32 v20, 0, v14
	v_and_b32_e32 v19, v9, v13
	v_lshrrev_b64 v[13:14], v18, v[9:10]
	s_delay_alu instid0(VALU_DEP_2) | instskip(NEXT) | instid1(VALU_DEP_2)
	v_cmp_eq_u64_e64 s0, v[19:20], v[15:16]
	v_dual_mov_b32 v16, v14 :: v_dual_mov_b32 v15, v13
	s_delay_alu instid0(VALU_DEP_2)
	s_and_saveexec_b32 s8, s0
; %bb.1274:                             ;   in Loop: Header=BB12_1234 Depth=1
	v_bfe_u32 v9, v13, 20, 1
	s_delay_alu instid0(VALU_DEP_1) | instskip(NEXT) | instid1(VALU_DEP_1)
	v_add_co_u32 v9, s0, v13, v9
	v_add_co_u32 v15, s0, v9, -1
; %bb.1275:                             ;   in Loop: Header=BB12_1234 Depth=1
	s_or_b32 exec_lo, exec_lo, s8
	v_add_nc_u32_e32 v9, 0xffffff81, v17
	v_lshrrev_b32_e32 v16, 23, v13
	s_mov_b32 s0, exec_lo
	s_delay_alu instid0(VALU_DEP_2) | instskip(NEXT) | instid1(VALU_DEP_1)
	v_cndmask_b32_e64 v9, v9, 0xffffff82, vcc_lo
	v_add3_u32 v16, v18, v9, v16
	v_and_b32_e32 v9, 0xfffff, v15
	s_delay_alu instid0(VALU_DEP_2) | instskip(NEXT) | instid1(VALU_DEP_2)
	v_add_nc_u32_e32 v15, 6, v16
	v_add_co_u32 v13, vcc_lo, v9, v13
	v_add_co_ci_u32_e32 v14, vcc_lo, 0, v14, vcc_lo
                                        ; implicit-def: $vgpr9
	s_delay_alu instid0(VALU_DEP_3)
	v_cmpx_ne_u32_e32 0, v15
	s_xor_b32 s0, exec_lo, s0
; %bb.1276:                             ;   in Loop: Header=BB12_1234 Depth=1
	s_delay_alu instid0(VALU_DEP_2) | instskip(SKIP_1) | instid1(VALU_DEP_1)
	v_cmp_lt_u64_e32 vcc_lo, 0xffffff, v[13:14]
	v_add_nc_u32_e32 v9, 7, v16
	v_cndmask_b32_e32 v9, v15, v9, vcc_lo
	v_cndmask_b32_e64 v15, 0, 1, vcc_lo
	s_delay_alu instid0(VALU_DEP_1)
	v_lshrrev_b64 v[13:14], v15, v[13:14]
; %bb.1277:                             ;   in Loop: Header=BB12_1234 Depth=1
	s_and_not1_saveexec_b32 s0, s0
; %bb.1278:                             ;   in Loop: Header=BB12_1234 Depth=1
	s_delay_alu instid0(VALU_DEP_1)
	v_bfe_u32 v9, v13, 23, 1
; %bb.1279:                             ;   in Loop: Header=BB12_1234 Depth=1
	s_or_b32 exec_lo, exec_lo, s0
	s_delay_alu instid0(VALU_DEP_2) | instskip(NEXT) | instid1(VALU_DEP_2)
	v_lshrrev_b64 v[13:14], 20, v[13:14]
	v_cmp_gt_i32_e32 vcc_lo, 16, v9
	v_cmp_ne_u32_e64 s0, 0, v9
	s_delay_alu instid0(VALU_DEP_3) | instskip(NEXT) | instid1(VALU_DEP_1)
	v_dual_cndmask_b32 v16, 0, v14 :: v_dual_cndmask_b32 v15, 7, v13
                                        ; implicit-def: $vgpr13_vgpr14
	v_cmp_ne_u64_e32 vcc_lo, 0, v[15:16]
	s_delay_alu instid0(VALU_DEP_3) | instskip(NEXT) | instid1(SALU_CYCLE_1)
	s_or_b32 s0, s0, vcc_lo
	s_and_saveexec_b32 s8, s0
	s_delay_alu instid0(SALU_CYCLE_1)
	s_xor_b32 s0, exec_lo, s8
; %bb.1280:                             ;   in Loop: Header=BB12_1234 Depth=1
	v_min_i32_e32 v9, 15, v9
	s_delay_alu instid0(VALU_DEP_1) | instskip(NEXT) | instid1(VALU_DEP_1)
	v_lshl_or_b32 v1, v9, 3, v1
	v_and_or_b32 v13, v15, 7, v1
                                        ; implicit-def: $vgpr1
; %bb.1281:                             ;   in Loop: Header=BB12_1234 Depth=1
	s_and_not1_saveexec_b32 s0, s0
; %bb.1282:                             ;   in Loop: Header=BB12_1234 Depth=1
	v_dual_mov_b32 v14, v2 :: v_dual_mov_b32 v13, v1
; %bb.1283:                             ;   in Loop: Header=BB12_1234 Depth=1
	s_or_b32 exec_lo, exec_lo, s0
.LBB12_1284:                            ;   in Loop: Header=BB12_1234 Depth=1
	s_delay_alu instid0(SALU_CYCLE_1)
	s_or_b32 exec_lo, exec_lo, s7
.LBB12_1285:                            ;   in Loop: Header=BB12_1234 Depth=1
	s_and_not1_saveexec_b32 s0, s6
	s_delay_alu instid0(SALU_CYCLE_1)
	s_or_b32 exec_lo, exec_lo, s0
                                        ; implicit-def: $vgpr14
.LBB12_1286:                            ;   in Loop: Header=BB12_1234 Depth=1
	s_and_not1_saveexec_b32 s0, s5
; %bb.1287:                             ;   in Loop: Header=BB12_1234 Depth=1
	v_cmp_eq_u64_e32 vcc_lo, 0, v[9:10]
	v_or_b32_e32 v1, 0x7f, v14
	s_delay_alu instid0(VALU_DEP_1)
	v_cndmask_b32_e32 v13, v1, v13, vcc_lo
; %bb.1288:                             ;   in Loop: Header=BB12_1234 Depth=1
	s_or_b32 exec_lo, exec_lo, s0
	v_and_b32_e32 v1, 0xffff0000, v2
	v_mov_b32_e32 v17, v10
	s_mov_b32 s0, exec_lo
	s_delay_alu instid0(VALU_DEP_2) | instskip(NEXT) | instid1(VALU_DEP_1)
	v_div_scale_f32 v2, null, s26, s26, v1
	v_rcp_f32_e32 v9, v2
	s_waitcnt_depctr 0xfff
	v_fma_f32 v14, -v2, v9, 1.0
	s_delay_alu instid0(VALU_DEP_1) | instskip(SKIP_1) | instid1(VALU_DEP_1)
	v_fmac_f32_e32 v9, v14, v9
	v_div_scale_f32 v14, vcc_lo, v1, s26, v1
	v_mul_f32_e32 v15, v14, v9
	s_delay_alu instid0(VALU_DEP_1) | instskip(NEXT) | instid1(VALU_DEP_1)
	v_fma_f32 v16, -v2, v15, v14
	v_fmac_f32_e32 v15, v16, v9
	s_delay_alu instid0(VALU_DEP_1) | instskip(NEXT) | instid1(VALU_DEP_1)
	v_fma_f32 v2, -v2, v15, v14
	v_div_fmas_f32 v2, v2, v9, v15
	s_delay_alu instid0(VALU_DEP_1) | instskip(NEXT) | instid1(VALU_DEP_1)
	v_div_fixup_f32 v15, v2, s26, v1
	v_lshrrev_b32_e32 v2, 24, v15
	v_and_b32_e32 v16, 0x7f800000, v15
	v_and_b32_e32 v9, 0x7fffff, v15
	s_delay_alu instid0(VALU_DEP_3) | instskip(NEXT) | instid1(VALU_DEP_1)
	v_and_b32_e32 v14, 0x80, v2
	v_or_b32_e32 v1, 0x7e, v14
	s_delay_alu instid0(VALU_DEP_4)
	v_cmpx_ne_u64_e32 0x7f800000, v[16:17]
	s_xor_b32 s5, exec_lo, s0
	s_cbranch_execz .LBB12_1304
; %bb.1289:                             ;   in Loop: Header=BB12_1234 Depth=1
	v_dual_mov_b32 v17, v10 :: v_dual_and_b32 v16, 0x7fffffff, v15
	s_mov_b32 s0, exec_lo
	s_delay_alu instid0(VALU_DEP_1)
	v_cmpx_gt_u64_e32 0x43e00001, v[16:17]
	s_xor_b32 s6, exec_lo, s0
	s_cbranch_execz .LBB12_1303
; %bb.1290:                             ;   in Loop: Header=BB12_1234 Depth=1
	s_mov_b32 s7, exec_lo
	v_mov_b32_e32 v1, 0
	v_mov_b32_e32 v2, 0
	v_cmpx_ne_u32_e32 0, v15
	s_cbranch_execz .LBB12_1302
; %bb.1291:                             ;   in Loop: Header=BB12_1234 Depth=1
	v_bfe_u32 v17, v15, 23, 8
	v_or_b32_e32 v15, 0x800000, v9
	s_delay_alu instid0(VALU_DEP_2) | instskip(SKIP_1) | instid1(VALU_DEP_2)
	v_sub_nc_u32_e32 v1, 0x79, v17
	v_cmp_gt_u32_e32 vcc_lo, 0x7a, v17
	v_cndmask_b32_e32 v1, 0, v1, vcc_lo
	v_cmp_eq_u32_e32 vcc_lo, 0, v17
	s_delay_alu instid0(VALU_DEP_2) | instskip(SKIP_1) | instid1(VALU_DEP_2)
	v_cndmask_b32_e64 v18, v1, 0x78, vcc_lo
	v_cndmask_b32_e32 v9, v15, v9, vcc_lo
	v_add_nc_u32_e32 v1, 20, v18
	v_add_nc_u32_e32 v15, 19, v18
	s_delay_alu instid0(VALU_DEP_2) | instskip(NEXT) | instid1(VALU_DEP_2)
	v_lshlrev_b64 v[1:2], v1, -1
	v_lshlrev_b64 v[15:16], v15, 1
	s_delay_alu instid0(VALU_DEP_2) | instskip(NEXT) | instid1(VALU_DEP_3)
	v_not_b32_e32 v2, v2
	v_not_b32_e32 v1, v1
	s_delay_alu instid0(VALU_DEP_2) | instskip(NEXT) | instid1(VALU_DEP_2)
	v_and_b32_e32 v20, 0, v2
	v_and_b32_e32 v19, v9, v1
	v_lshrrev_b64 v[1:2], v18, v[9:10]
	s_delay_alu instid0(VALU_DEP_2) | instskip(NEXT) | instid1(VALU_DEP_2)
	v_cmp_eq_u64_e64 s0, v[19:20], v[15:16]
	v_dual_mov_b32 v16, v2 :: v_dual_mov_b32 v15, v1
	s_delay_alu instid0(VALU_DEP_2)
	s_and_saveexec_b32 s8, s0
; %bb.1292:                             ;   in Loop: Header=BB12_1234 Depth=1
	v_bfe_u32 v9, v1, 20, 1
	s_delay_alu instid0(VALU_DEP_1) | instskip(NEXT) | instid1(VALU_DEP_1)
	v_add_co_u32 v9, s0, v1, v9
	v_add_co_u32 v15, s0, v9, -1
; %bb.1293:                             ;   in Loop: Header=BB12_1234 Depth=1
	s_or_b32 exec_lo, exec_lo, s8
	v_add_nc_u32_e32 v9, 0xffffff81, v17
	v_lshrrev_b32_e32 v16, 23, v1
	s_mov_b32 s0, exec_lo
	s_delay_alu instid0(VALU_DEP_2) | instskip(NEXT) | instid1(VALU_DEP_1)
	v_cndmask_b32_e64 v9, v9, 0xffffff82, vcc_lo
	v_add3_u32 v16, v18, v9, v16
	v_and_b32_e32 v9, 0xfffff, v15
	s_delay_alu instid0(VALU_DEP_2) | instskip(NEXT) | instid1(VALU_DEP_2)
	v_add_nc_u32_e32 v15, 6, v16
	v_add_co_u32 v1, vcc_lo, v9, v1
	v_add_co_ci_u32_e32 v2, vcc_lo, 0, v2, vcc_lo
                                        ; implicit-def: $vgpr9
	s_delay_alu instid0(VALU_DEP_3)
	v_cmpx_ne_u32_e32 0, v15
	s_xor_b32 s0, exec_lo, s0
; %bb.1294:                             ;   in Loop: Header=BB12_1234 Depth=1
	s_delay_alu instid0(VALU_DEP_2) | instskip(SKIP_1) | instid1(VALU_DEP_1)
	v_cmp_lt_u64_e32 vcc_lo, 0xffffff, v[1:2]
	v_add_nc_u32_e32 v9, 7, v16
	v_cndmask_b32_e32 v9, v15, v9, vcc_lo
	v_cndmask_b32_e64 v15, 0, 1, vcc_lo
	s_delay_alu instid0(VALU_DEP_1)
	v_lshrrev_b64 v[1:2], v15, v[1:2]
; %bb.1295:                             ;   in Loop: Header=BB12_1234 Depth=1
	s_and_not1_saveexec_b32 s0, s0
; %bb.1296:                             ;   in Loop: Header=BB12_1234 Depth=1
	s_delay_alu instid0(VALU_DEP_1)
	v_bfe_u32 v9, v1, 23, 1
; %bb.1297:                             ;   in Loop: Header=BB12_1234 Depth=1
	s_or_b32 exec_lo, exec_lo, s0
	s_delay_alu instid0(VALU_DEP_2) | instskip(NEXT) | instid1(VALU_DEP_2)
	v_lshrrev_b64 v[1:2], 20, v[1:2]
	v_cmp_gt_i32_e32 vcc_lo, 16, v9
	v_cmp_ne_u32_e64 s0, 0, v9
	s_delay_alu instid0(VALU_DEP_3) | instskip(NEXT) | instid1(VALU_DEP_1)
	v_dual_cndmask_b32 v16, 0, v2 :: v_dual_cndmask_b32 v15, 7, v1
                                        ; implicit-def: $vgpr1_vgpr2
	v_cmp_ne_u64_e32 vcc_lo, 0, v[15:16]
	s_delay_alu instid0(VALU_DEP_3) | instskip(NEXT) | instid1(SALU_CYCLE_1)
	s_or_b32 s0, s0, vcc_lo
	s_and_saveexec_b32 s8, s0
	s_delay_alu instid0(SALU_CYCLE_1)
	s_xor_b32 s0, exec_lo, s8
; %bb.1298:                             ;   in Loop: Header=BB12_1234 Depth=1
	v_min_i32_e32 v1, 15, v9
	s_delay_alu instid0(VALU_DEP_1) | instskip(NEXT) | instid1(VALU_DEP_1)
	v_lshl_or_b32 v1, v1, 3, v14
                                        ; implicit-def: $vgpr14
	v_and_or_b32 v1, v15, 7, v1
; %bb.1299:                             ;   in Loop: Header=BB12_1234 Depth=1
	s_and_not1_saveexec_b32 s0, s0
; %bb.1300:                             ;   in Loop: Header=BB12_1234 Depth=1
	v_dual_mov_b32 v1, v14 :: v_dual_mov_b32 v2, v15
; %bb.1301:                             ;   in Loop: Header=BB12_1234 Depth=1
	s_or_b32 exec_lo, exec_lo, s0
.LBB12_1302:                            ;   in Loop: Header=BB12_1234 Depth=1
	s_delay_alu instid0(SALU_CYCLE_1)
	s_or_b32 exec_lo, exec_lo, s7
.LBB12_1303:                            ;   in Loop: Header=BB12_1234 Depth=1
	s_and_not1_saveexec_b32 s0, s6
	s_delay_alu instid0(SALU_CYCLE_1)
	s_or_b32 exec_lo, exec_lo, s0
                                        ; implicit-def: $vgpr2
.LBB12_1304:                            ;   in Loop: Header=BB12_1234 Depth=1
	s_and_not1_saveexec_b32 s0, s5
; %bb.1305:                             ;   in Loop: Header=BB12_1234 Depth=1
	v_cmp_eq_u64_e32 vcc_lo, 0, v[9:10]
	v_or_b32_e32 v2, 0x7f, v2
	s_delay_alu instid0(VALU_DEP_1)
	v_cndmask_b32_e32 v1, v2, v1, vcc_lo
; %bb.1306:                             ;   in Loop: Header=BB12_1234 Depth=1
	s_or_b32 exec_lo, exec_lo, s0
	v_lshlrev_b32_e32 v2, 16, v3
	s_mov_b32 s0, exec_lo
	s_delay_alu instid0(VALU_DEP_1) | instskip(NEXT) | instid1(VALU_DEP_1)
	v_div_scale_f32 v9, null, s26, s26, v2
	v_rcp_f32_e32 v14, v9
	s_waitcnt_depctr 0xfff
	v_fma_f32 v15, -v9, v14, 1.0
	s_delay_alu instid0(VALU_DEP_1) | instskip(SKIP_1) | instid1(VALU_DEP_1)
	v_fmac_f32_e32 v14, v15, v14
	v_div_scale_f32 v15, vcc_lo, v2, s26, v2
	v_mul_f32_e32 v16, v15, v14
	s_delay_alu instid0(VALU_DEP_1) | instskip(NEXT) | instid1(VALU_DEP_1)
	v_fma_f32 v17, -v9, v16, v15
	v_fmac_f32_e32 v16, v17, v14
	s_delay_alu instid0(VALU_DEP_1) | instskip(NEXT) | instid1(VALU_DEP_1)
	v_fma_f32 v9, -v9, v16, v15
	v_div_fmas_f32 v9, v9, v14, v16
	s_delay_alu instid0(VALU_DEP_1) | instskip(NEXT) | instid1(VALU_DEP_1)
	v_div_fixup_f32 v16, v9, s26, v2
	v_dual_mov_b32 v18, v10 :: v_dual_and_b32 v9, 0x7fffff, v16
	v_lshrrev_b32_e32 v15, 24, v16
	v_and_b32_e32 v17, 0x7f800000, v16
	s_delay_alu instid0(VALU_DEP_2) | instskip(NEXT) | instid1(VALU_DEP_1)
	v_and_b32_e32 v2, 0x80, v15
	v_or_b32_e32 v14, 0x7e, v2
	s_delay_alu instid0(VALU_DEP_3)
	v_cmpx_ne_u64_e32 0x7f800000, v[17:18]
	s_xor_b32 s5, exec_lo, s0
	s_cbranch_execz .LBB12_1322
; %bb.1307:                             ;   in Loop: Header=BB12_1234 Depth=1
	v_dual_mov_b32 v18, v10 :: v_dual_and_b32 v17, 0x7fffffff, v16
	s_mov_b32 s0, exec_lo
	s_delay_alu instid0(VALU_DEP_1)
	v_cmpx_gt_u64_e32 0x43e00001, v[17:18]
	s_xor_b32 s6, exec_lo, s0
	s_cbranch_execz .LBB12_1321
; %bb.1308:                             ;   in Loop: Header=BB12_1234 Depth=1
	s_mov_b32 s7, exec_lo
	v_mov_b32_e32 v14, 0
	v_mov_b32_e32 v15, 0
	v_cmpx_ne_u32_e32 0, v16
	s_cbranch_execz .LBB12_1320
; %bb.1309:                             ;   in Loop: Header=BB12_1234 Depth=1
	v_bfe_u32 v18, v16, 23, 8
	v_or_b32_e32 v16, 0x800000, v9
	s_delay_alu instid0(VALU_DEP_2) | instskip(SKIP_1) | instid1(VALU_DEP_2)
	v_sub_nc_u32_e32 v14, 0x79, v18
	v_cmp_gt_u32_e32 vcc_lo, 0x7a, v18
	v_cndmask_b32_e32 v14, 0, v14, vcc_lo
	v_cmp_eq_u32_e32 vcc_lo, 0, v18
	v_cndmask_b32_e32 v9, v16, v9, vcc_lo
	s_delay_alu instid0(VALU_DEP_3) | instskip(NEXT) | instid1(VALU_DEP_1)
	v_cndmask_b32_e64 v19, v14, 0x78, vcc_lo
	v_add_nc_u32_e32 v14, 20, v19
	v_add_nc_u32_e32 v16, 19, v19
	s_delay_alu instid0(VALU_DEP_2) | instskip(NEXT) | instid1(VALU_DEP_2)
	v_lshlrev_b64 v[14:15], v14, -1
	v_lshlrev_b64 v[16:17], v16, 1
	s_delay_alu instid0(VALU_DEP_2) | instskip(NEXT) | instid1(VALU_DEP_3)
	v_not_b32_e32 v15, v15
	v_not_b32_e32 v14, v14
	s_delay_alu instid0(VALU_DEP_2) | instskip(NEXT) | instid1(VALU_DEP_2)
	v_and_b32_e32 v21, 0, v15
	v_and_b32_e32 v20, v9, v14
	v_lshrrev_b64 v[14:15], v19, v[9:10]
	s_delay_alu instid0(VALU_DEP_2) | instskip(NEXT) | instid1(VALU_DEP_2)
	v_cmp_eq_u64_e64 s0, v[20:21], v[16:17]
	v_dual_mov_b32 v17, v15 :: v_dual_mov_b32 v16, v14
	s_delay_alu instid0(VALU_DEP_2)
	s_and_saveexec_b32 s8, s0
; %bb.1310:                             ;   in Loop: Header=BB12_1234 Depth=1
	v_bfe_u32 v9, v14, 20, 1
	s_delay_alu instid0(VALU_DEP_1) | instskip(NEXT) | instid1(VALU_DEP_1)
	v_add_co_u32 v9, s0, v14, v9
	v_add_co_u32 v16, s0, v9, -1
; %bb.1311:                             ;   in Loop: Header=BB12_1234 Depth=1
	s_or_b32 exec_lo, exec_lo, s8
	v_add_nc_u32_e32 v9, 0xffffff81, v18
	v_lshrrev_b32_e32 v17, 23, v14
	s_mov_b32 s0, exec_lo
	s_delay_alu instid0(VALU_DEP_2) | instskip(NEXT) | instid1(VALU_DEP_1)
	v_cndmask_b32_e64 v9, v9, 0xffffff82, vcc_lo
	v_add3_u32 v17, v19, v9, v17
	v_and_b32_e32 v9, 0xfffff, v16
	s_delay_alu instid0(VALU_DEP_2) | instskip(NEXT) | instid1(VALU_DEP_2)
	v_add_nc_u32_e32 v16, 6, v17
	v_add_co_u32 v14, vcc_lo, v9, v14
	v_add_co_ci_u32_e32 v15, vcc_lo, 0, v15, vcc_lo
                                        ; implicit-def: $vgpr9
	s_delay_alu instid0(VALU_DEP_3)
	v_cmpx_ne_u32_e32 0, v16
	s_xor_b32 s0, exec_lo, s0
; %bb.1312:                             ;   in Loop: Header=BB12_1234 Depth=1
	s_delay_alu instid0(VALU_DEP_2) | instskip(SKIP_1) | instid1(VALU_DEP_1)
	v_cmp_lt_u64_e32 vcc_lo, 0xffffff, v[14:15]
	v_add_nc_u32_e32 v9, 7, v17
	v_cndmask_b32_e32 v9, v16, v9, vcc_lo
	v_cndmask_b32_e64 v16, 0, 1, vcc_lo
	s_delay_alu instid0(VALU_DEP_1)
	v_lshrrev_b64 v[14:15], v16, v[14:15]
; %bb.1313:                             ;   in Loop: Header=BB12_1234 Depth=1
	s_and_not1_saveexec_b32 s0, s0
; %bb.1314:                             ;   in Loop: Header=BB12_1234 Depth=1
	s_delay_alu instid0(VALU_DEP_1)
	v_bfe_u32 v9, v14, 23, 1
; %bb.1315:                             ;   in Loop: Header=BB12_1234 Depth=1
	s_or_b32 exec_lo, exec_lo, s0
	s_delay_alu instid0(VALU_DEP_2) | instskip(NEXT) | instid1(VALU_DEP_2)
	v_lshrrev_b64 v[14:15], 20, v[14:15]
	v_cmp_gt_i32_e32 vcc_lo, 16, v9
	v_cmp_ne_u32_e64 s0, 0, v9
	s_delay_alu instid0(VALU_DEP_3) | instskip(NEXT) | instid1(VALU_DEP_1)
	v_dual_cndmask_b32 v17, 0, v15 :: v_dual_cndmask_b32 v16, 7, v14
                                        ; implicit-def: $vgpr14_vgpr15
	v_cmp_ne_u64_e32 vcc_lo, 0, v[16:17]
	s_delay_alu instid0(VALU_DEP_3) | instskip(NEXT) | instid1(SALU_CYCLE_1)
	s_or_b32 s0, s0, vcc_lo
	s_and_saveexec_b32 s8, s0
	s_delay_alu instid0(SALU_CYCLE_1)
	s_xor_b32 s0, exec_lo, s8
; %bb.1316:                             ;   in Loop: Header=BB12_1234 Depth=1
	v_min_i32_e32 v9, 15, v9
	s_delay_alu instid0(VALU_DEP_1) | instskip(NEXT) | instid1(VALU_DEP_1)
	v_lshl_or_b32 v2, v9, 3, v2
	v_and_or_b32 v14, v16, 7, v2
                                        ; implicit-def: $vgpr2
; %bb.1317:                             ;   in Loop: Header=BB12_1234 Depth=1
	s_and_not1_saveexec_b32 s0, s0
; %bb.1318:                             ;   in Loop: Header=BB12_1234 Depth=1
	v_dual_mov_b32 v15, v3 :: v_dual_mov_b32 v14, v2
; %bb.1319:                             ;   in Loop: Header=BB12_1234 Depth=1
	s_or_b32 exec_lo, exec_lo, s0
.LBB12_1320:                            ;   in Loop: Header=BB12_1234 Depth=1
	s_delay_alu instid0(SALU_CYCLE_1)
	s_or_b32 exec_lo, exec_lo, s7
.LBB12_1321:                            ;   in Loop: Header=BB12_1234 Depth=1
	s_and_not1_saveexec_b32 s0, s6
	s_delay_alu instid0(SALU_CYCLE_1)
	s_or_b32 exec_lo, exec_lo, s0
                                        ; implicit-def: $vgpr15
.LBB12_1322:                            ;   in Loop: Header=BB12_1234 Depth=1
	s_and_not1_saveexec_b32 s0, s5
; %bb.1323:                             ;   in Loop: Header=BB12_1234 Depth=1
	v_cmp_eq_u64_e32 vcc_lo, 0, v[9:10]
	v_or_b32_e32 v2, 0x7f, v15
	s_delay_alu instid0(VALU_DEP_1)
	v_cndmask_b32_e32 v14, v2, v14, vcc_lo
; %bb.1324:                             ;   in Loop: Header=BB12_1234 Depth=1
	s_or_b32 exec_lo, exec_lo, s0
	v_and_b32_e32 v2, 0xffff0000, v3
	s_mov_b32 s0, exec_lo
	v_mov_b32_e32 v18, v10
	s_delay_alu instid0(VALU_DEP_2) | instskip(NEXT) | instid1(VALU_DEP_1)
	v_div_scale_f32 v3, null, s26, s26, v2
	v_rcp_f32_e32 v9, v3
	s_waitcnt_depctr 0xfff
	v_fma_f32 v15, -v3, v9, 1.0
	s_delay_alu instid0(VALU_DEP_1) | instskip(SKIP_1) | instid1(VALU_DEP_1)
	v_fmac_f32_e32 v9, v15, v9
	v_div_scale_f32 v15, vcc_lo, v2, s26, v2
	v_mul_f32_e32 v16, v15, v9
	s_delay_alu instid0(VALU_DEP_1) | instskip(NEXT) | instid1(VALU_DEP_1)
	v_fma_f32 v17, -v3, v16, v15
	v_fmac_f32_e32 v16, v17, v9
	s_delay_alu instid0(VALU_DEP_1) | instskip(NEXT) | instid1(VALU_DEP_1)
	v_fma_f32 v3, -v3, v16, v15
	v_div_fmas_f32 v3, v3, v9, v16
	s_delay_alu instid0(VALU_DEP_1) | instskip(NEXT) | instid1(VALU_DEP_1)
	v_div_fixup_f32 v16, v3, s26, v2
	v_lshrrev_b32_e32 v3, 24, v16
	v_and_b32_e32 v17, 0x7f800000, v16
	v_and_b32_e32 v9, 0x7fffff, v16
	s_delay_alu instid0(VALU_DEP_3) | instskip(NEXT) | instid1(VALU_DEP_1)
	v_and_b32_e32 v15, 0x80, v3
	v_or_b32_e32 v2, 0x7e, v15
	s_delay_alu instid0(VALU_DEP_4)
	v_cmpx_ne_u64_e32 0x7f800000, v[17:18]
	s_xor_b32 s5, exec_lo, s0
	s_cbranch_execz .LBB12_1340
; %bb.1325:                             ;   in Loop: Header=BB12_1234 Depth=1
	v_dual_mov_b32 v18, v10 :: v_dual_and_b32 v17, 0x7fffffff, v16
	s_mov_b32 s0, exec_lo
	s_delay_alu instid0(VALU_DEP_1)
	v_cmpx_gt_u64_e32 0x43e00001, v[17:18]
	s_xor_b32 s6, exec_lo, s0
	s_cbranch_execz .LBB12_1339
; %bb.1326:                             ;   in Loop: Header=BB12_1234 Depth=1
	s_mov_b32 s7, exec_lo
	v_mov_b32_e32 v2, 0
	v_mov_b32_e32 v3, 0
	v_cmpx_ne_u32_e32 0, v16
	s_cbranch_execz .LBB12_1338
; %bb.1327:                             ;   in Loop: Header=BB12_1234 Depth=1
	v_bfe_u32 v18, v16, 23, 8
	v_or_b32_e32 v16, 0x800000, v9
	s_delay_alu instid0(VALU_DEP_2) | instskip(SKIP_1) | instid1(VALU_DEP_2)
	v_sub_nc_u32_e32 v2, 0x79, v18
	v_cmp_gt_u32_e32 vcc_lo, 0x7a, v18
	v_cndmask_b32_e32 v2, 0, v2, vcc_lo
	v_cmp_eq_u32_e32 vcc_lo, 0, v18
	v_cndmask_b32_e32 v9, v16, v9, vcc_lo
	s_delay_alu instid0(VALU_DEP_3) | instskip(NEXT) | instid1(VALU_DEP_1)
	v_cndmask_b32_e64 v19, v2, 0x78, vcc_lo
	v_add_nc_u32_e32 v2, 20, v19
	v_add_nc_u32_e32 v16, 19, v19
	s_delay_alu instid0(VALU_DEP_2) | instskip(NEXT) | instid1(VALU_DEP_2)
	v_lshlrev_b64 v[2:3], v2, -1
	v_lshlrev_b64 v[16:17], v16, 1
	s_delay_alu instid0(VALU_DEP_2) | instskip(NEXT) | instid1(VALU_DEP_3)
	v_not_b32_e32 v3, v3
	v_not_b32_e32 v2, v2
	s_delay_alu instid0(VALU_DEP_2) | instskip(NEXT) | instid1(VALU_DEP_2)
	v_and_b32_e32 v21, 0, v3
	v_and_b32_e32 v20, v9, v2
	v_lshrrev_b64 v[2:3], v19, v[9:10]
	s_delay_alu instid0(VALU_DEP_2) | instskip(NEXT) | instid1(VALU_DEP_2)
	v_cmp_eq_u64_e64 s0, v[20:21], v[16:17]
	v_dual_mov_b32 v17, v3 :: v_dual_mov_b32 v16, v2
	s_delay_alu instid0(VALU_DEP_2)
	s_and_saveexec_b32 s8, s0
; %bb.1328:                             ;   in Loop: Header=BB12_1234 Depth=1
	v_bfe_u32 v9, v2, 20, 1
	s_delay_alu instid0(VALU_DEP_1) | instskip(NEXT) | instid1(VALU_DEP_1)
	v_add_co_u32 v9, s0, v2, v9
	v_add_co_u32 v16, s0, v9, -1
; %bb.1329:                             ;   in Loop: Header=BB12_1234 Depth=1
	s_or_b32 exec_lo, exec_lo, s8
	v_add_nc_u32_e32 v9, 0xffffff81, v18
	v_lshrrev_b32_e32 v17, 23, v2
	s_mov_b32 s0, exec_lo
	s_delay_alu instid0(VALU_DEP_2) | instskip(NEXT) | instid1(VALU_DEP_1)
	v_cndmask_b32_e64 v9, v9, 0xffffff82, vcc_lo
	v_add3_u32 v17, v19, v9, v17
	v_and_b32_e32 v9, 0xfffff, v16
	s_delay_alu instid0(VALU_DEP_2) | instskip(NEXT) | instid1(VALU_DEP_2)
	v_add_nc_u32_e32 v16, 6, v17
	v_add_co_u32 v2, vcc_lo, v9, v2
	v_add_co_ci_u32_e32 v3, vcc_lo, 0, v3, vcc_lo
                                        ; implicit-def: $vgpr9
	s_delay_alu instid0(VALU_DEP_3)
	v_cmpx_ne_u32_e32 0, v16
	s_xor_b32 s0, exec_lo, s0
; %bb.1330:                             ;   in Loop: Header=BB12_1234 Depth=1
	s_delay_alu instid0(VALU_DEP_2) | instskip(SKIP_1) | instid1(VALU_DEP_1)
	v_cmp_lt_u64_e32 vcc_lo, 0xffffff, v[2:3]
	v_add_nc_u32_e32 v9, 7, v17
	v_cndmask_b32_e32 v9, v16, v9, vcc_lo
	v_cndmask_b32_e64 v16, 0, 1, vcc_lo
	s_delay_alu instid0(VALU_DEP_1)
	v_lshrrev_b64 v[2:3], v16, v[2:3]
; %bb.1331:                             ;   in Loop: Header=BB12_1234 Depth=1
	s_and_not1_saveexec_b32 s0, s0
; %bb.1332:                             ;   in Loop: Header=BB12_1234 Depth=1
	s_delay_alu instid0(VALU_DEP_1)
	v_bfe_u32 v9, v2, 23, 1
; %bb.1333:                             ;   in Loop: Header=BB12_1234 Depth=1
	s_or_b32 exec_lo, exec_lo, s0
	s_delay_alu instid0(VALU_DEP_2) | instskip(NEXT) | instid1(VALU_DEP_2)
	v_lshrrev_b64 v[2:3], 20, v[2:3]
	v_cmp_gt_i32_e32 vcc_lo, 16, v9
	v_cmp_ne_u32_e64 s0, 0, v9
	s_delay_alu instid0(VALU_DEP_3) | instskip(NEXT) | instid1(VALU_DEP_1)
	v_dual_cndmask_b32 v17, 0, v3 :: v_dual_cndmask_b32 v16, 7, v2
                                        ; implicit-def: $vgpr2_vgpr3
	v_cmp_ne_u64_e32 vcc_lo, 0, v[16:17]
	s_delay_alu instid0(VALU_DEP_3) | instskip(NEXT) | instid1(SALU_CYCLE_1)
	s_or_b32 s0, s0, vcc_lo
	s_and_saveexec_b32 s8, s0
	s_delay_alu instid0(SALU_CYCLE_1)
	s_xor_b32 s0, exec_lo, s8
; %bb.1334:                             ;   in Loop: Header=BB12_1234 Depth=1
	v_min_i32_e32 v2, 15, v9
	s_delay_alu instid0(VALU_DEP_1) | instskip(NEXT) | instid1(VALU_DEP_1)
	v_lshl_or_b32 v2, v2, 3, v15
                                        ; implicit-def: $vgpr15
	v_and_or_b32 v2, v16, 7, v2
; %bb.1335:                             ;   in Loop: Header=BB12_1234 Depth=1
	s_and_not1_saveexec_b32 s0, s0
; %bb.1336:                             ;   in Loop: Header=BB12_1234 Depth=1
	v_dual_mov_b32 v2, v15 :: v_dual_mov_b32 v3, v16
; %bb.1337:                             ;   in Loop: Header=BB12_1234 Depth=1
	s_or_b32 exec_lo, exec_lo, s0
.LBB12_1338:                            ;   in Loop: Header=BB12_1234 Depth=1
	s_delay_alu instid0(SALU_CYCLE_1)
	s_or_b32 exec_lo, exec_lo, s7
.LBB12_1339:                            ;   in Loop: Header=BB12_1234 Depth=1
	s_and_not1_saveexec_b32 s0, s6
	s_delay_alu instid0(SALU_CYCLE_1)
	s_or_b32 exec_lo, exec_lo, s0
                                        ; implicit-def: $vgpr3
.LBB12_1340:                            ;   in Loop: Header=BB12_1234 Depth=1
	s_and_not1_saveexec_b32 s0, s5
; %bb.1341:                             ;   in Loop: Header=BB12_1234 Depth=1
	v_cmp_eq_u64_e32 vcc_lo, 0, v[9:10]
	v_or_b32_e32 v3, 0x7f, v3
	s_delay_alu instid0(VALU_DEP_1)
	v_cndmask_b32_e32 v2, v3, v2, vcc_lo
; %bb.1342:                             ;   in Loop: Header=BB12_1234 Depth=1
	s_or_b32 exec_lo, exec_lo, s0
	v_lshlrev_b32_e32 v3, 16, v4
	v_mov_b32_e32 v19, v10
	s_mov_b32 s0, exec_lo
	s_delay_alu instid0(VALU_DEP_2) | instskip(NEXT) | instid1(VALU_DEP_1)
	v_div_scale_f32 v9, null, s26, s26, v3
	v_rcp_f32_e32 v15, v9
	s_waitcnt_depctr 0xfff
	v_fma_f32 v16, -v9, v15, 1.0
	s_delay_alu instid0(VALU_DEP_1) | instskip(SKIP_1) | instid1(VALU_DEP_1)
	v_fmac_f32_e32 v15, v16, v15
	v_div_scale_f32 v16, vcc_lo, v3, s26, v3
	v_mul_f32_e32 v17, v16, v15
	s_delay_alu instid0(VALU_DEP_1) | instskip(NEXT) | instid1(VALU_DEP_1)
	v_fma_f32 v18, -v9, v17, v16
	v_fmac_f32_e32 v17, v18, v15
	s_delay_alu instid0(VALU_DEP_1) | instskip(NEXT) | instid1(VALU_DEP_1)
	v_fma_f32 v9, -v9, v17, v16
	v_div_fmas_f32 v9, v9, v15, v17
	s_delay_alu instid0(VALU_DEP_1) | instskip(NEXT) | instid1(VALU_DEP_1)
	v_div_fixup_f32 v17, v9, s26, v3
	v_and_b32_e32 v18, 0x7f800000, v17
	v_lshrrev_b32_e32 v16, 24, v17
	v_and_b32_e32 v9, 0x7fffff, v17
	s_delay_alu instid0(VALU_DEP_2) | instskip(NEXT) | instid1(VALU_DEP_1)
	v_and_b32_e32 v3, 0x80, v16
	v_or_b32_e32 v15, 0x7e, v3
	v_cmpx_ne_u64_e32 0x7f800000, v[18:19]
	s_xor_b32 s5, exec_lo, s0
	s_cbranch_execz .LBB12_1358
; %bb.1343:                             ;   in Loop: Header=BB12_1234 Depth=1
	v_dual_mov_b32 v19, v10 :: v_dual_and_b32 v18, 0x7fffffff, v17
	s_mov_b32 s0, exec_lo
	s_delay_alu instid0(VALU_DEP_1)
	v_cmpx_gt_u64_e32 0x43e00001, v[18:19]
	s_xor_b32 s6, exec_lo, s0
	s_cbranch_execz .LBB12_1357
; %bb.1344:                             ;   in Loop: Header=BB12_1234 Depth=1
	s_mov_b32 s7, exec_lo
	v_mov_b32_e32 v15, 0
	v_mov_b32_e32 v16, 0
	v_cmpx_ne_u32_e32 0, v17
	s_cbranch_execz .LBB12_1356
; %bb.1345:                             ;   in Loop: Header=BB12_1234 Depth=1
	v_bfe_u32 v19, v17, 23, 8
	v_or_b32_e32 v17, 0x800000, v9
	s_delay_alu instid0(VALU_DEP_2) | instskip(SKIP_1) | instid1(VALU_DEP_2)
	v_sub_nc_u32_e32 v15, 0x79, v19
	v_cmp_gt_u32_e32 vcc_lo, 0x7a, v19
	v_cndmask_b32_e32 v15, 0, v15, vcc_lo
	v_cmp_eq_u32_e32 vcc_lo, 0, v19
	s_delay_alu instid0(VALU_DEP_2) | instskip(SKIP_1) | instid1(VALU_DEP_2)
	v_cndmask_b32_e64 v20, v15, 0x78, vcc_lo
	v_cndmask_b32_e32 v9, v17, v9, vcc_lo
	v_add_nc_u32_e32 v15, 20, v20
	v_add_nc_u32_e32 v17, 19, v20
	s_delay_alu instid0(VALU_DEP_2) | instskip(NEXT) | instid1(VALU_DEP_2)
	v_lshlrev_b64 v[15:16], v15, -1
	v_lshlrev_b64 v[17:18], v17, 1
	s_delay_alu instid0(VALU_DEP_2) | instskip(NEXT) | instid1(VALU_DEP_3)
	v_not_b32_e32 v16, v16
	v_not_b32_e32 v15, v15
	s_delay_alu instid0(VALU_DEP_2) | instskip(NEXT) | instid1(VALU_DEP_2)
	v_and_b32_e32 v22, 0, v16
	v_and_b32_e32 v21, v9, v15
	v_lshrrev_b64 v[15:16], v20, v[9:10]
	s_delay_alu instid0(VALU_DEP_2) | instskip(NEXT) | instid1(VALU_DEP_2)
	v_cmp_eq_u64_e64 s0, v[21:22], v[17:18]
	v_dual_mov_b32 v18, v16 :: v_dual_mov_b32 v17, v15
	s_delay_alu instid0(VALU_DEP_2)
	s_and_saveexec_b32 s8, s0
; %bb.1346:                             ;   in Loop: Header=BB12_1234 Depth=1
	v_bfe_u32 v9, v15, 20, 1
	s_delay_alu instid0(VALU_DEP_1) | instskip(NEXT) | instid1(VALU_DEP_1)
	v_add_co_u32 v9, s0, v15, v9
	v_add_co_u32 v17, s0, v9, -1
; %bb.1347:                             ;   in Loop: Header=BB12_1234 Depth=1
	s_or_b32 exec_lo, exec_lo, s8
	v_add_nc_u32_e32 v9, 0xffffff81, v19
	v_lshrrev_b32_e32 v18, 23, v15
	s_mov_b32 s0, exec_lo
	s_delay_alu instid0(VALU_DEP_2) | instskip(NEXT) | instid1(VALU_DEP_1)
	v_cndmask_b32_e64 v9, v9, 0xffffff82, vcc_lo
	v_add3_u32 v18, v20, v9, v18
	v_and_b32_e32 v9, 0xfffff, v17
	s_delay_alu instid0(VALU_DEP_2) | instskip(NEXT) | instid1(VALU_DEP_2)
	v_add_nc_u32_e32 v17, 6, v18
	v_add_co_u32 v15, vcc_lo, v9, v15
	v_add_co_ci_u32_e32 v16, vcc_lo, 0, v16, vcc_lo
                                        ; implicit-def: $vgpr9
	s_delay_alu instid0(VALU_DEP_3)
	v_cmpx_ne_u32_e32 0, v17
	s_xor_b32 s0, exec_lo, s0
; %bb.1348:                             ;   in Loop: Header=BB12_1234 Depth=1
	s_delay_alu instid0(VALU_DEP_2) | instskip(SKIP_1) | instid1(VALU_DEP_1)
	v_cmp_lt_u64_e32 vcc_lo, 0xffffff, v[15:16]
	v_add_nc_u32_e32 v9, 7, v18
	v_cndmask_b32_e32 v9, v17, v9, vcc_lo
	v_cndmask_b32_e64 v17, 0, 1, vcc_lo
	s_delay_alu instid0(VALU_DEP_1)
	v_lshrrev_b64 v[15:16], v17, v[15:16]
; %bb.1349:                             ;   in Loop: Header=BB12_1234 Depth=1
	s_and_not1_saveexec_b32 s0, s0
; %bb.1350:                             ;   in Loop: Header=BB12_1234 Depth=1
	s_delay_alu instid0(VALU_DEP_1)
	v_bfe_u32 v9, v15, 23, 1
; %bb.1351:                             ;   in Loop: Header=BB12_1234 Depth=1
	s_or_b32 exec_lo, exec_lo, s0
	s_delay_alu instid0(VALU_DEP_2) | instskip(NEXT) | instid1(VALU_DEP_2)
	v_lshrrev_b64 v[15:16], 20, v[15:16]
	v_cmp_gt_i32_e32 vcc_lo, 16, v9
	v_cmp_ne_u32_e64 s0, 0, v9
	s_delay_alu instid0(VALU_DEP_3) | instskip(NEXT) | instid1(VALU_DEP_1)
	v_dual_cndmask_b32 v18, 0, v16 :: v_dual_cndmask_b32 v17, 7, v15
                                        ; implicit-def: $vgpr15_vgpr16
	v_cmp_ne_u64_e32 vcc_lo, 0, v[17:18]
	s_delay_alu instid0(VALU_DEP_3) | instskip(NEXT) | instid1(SALU_CYCLE_1)
	s_or_b32 s0, s0, vcc_lo
	s_and_saveexec_b32 s8, s0
	s_delay_alu instid0(SALU_CYCLE_1)
	s_xor_b32 s0, exec_lo, s8
; %bb.1352:                             ;   in Loop: Header=BB12_1234 Depth=1
	v_min_i32_e32 v9, 15, v9
	s_delay_alu instid0(VALU_DEP_1) | instskip(NEXT) | instid1(VALU_DEP_1)
	v_lshl_or_b32 v3, v9, 3, v3
	v_and_or_b32 v15, v17, 7, v3
                                        ; implicit-def: $vgpr3
; %bb.1353:                             ;   in Loop: Header=BB12_1234 Depth=1
	s_and_not1_saveexec_b32 s0, s0
; %bb.1354:                             ;   in Loop: Header=BB12_1234 Depth=1
	v_dual_mov_b32 v16, v4 :: v_dual_mov_b32 v15, v3
; %bb.1355:                             ;   in Loop: Header=BB12_1234 Depth=1
	s_or_b32 exec_lo, exec_lo, s0
.LBB12_1356:                            ;   in Loop: Header=BB12_1234 Depth=1
	s_delay_alu instid0(SALU_CYCLE_1)
	s_or_b32 exec_lo, exec_lo, s7
.LBB12_1357:                            ;   in Loop: Header=BB12_1234 Depth=1
	s_and_not1_saveexec_b32 s0, s6
	s_delay_alu instid0(SALU_CYCLE_1)
	s_or_b32 exec_lo, exec_lo, s0
                                        ; implicit-def: $vgpr16
.LBB12_1358:                            ;   in Loop: Header=BB12_1234 Depth=1
	s_and_not1_saveexec_b32 s0, s5
; %bb.1359:                             ;   in Loop: Header=BB12_1234 Depth=1
	v_cmp_eq_u64_e32 vcc_lo, 0, v[9:10]
	v_or_b32_e32 v3, 0x7f, v16
	s_delay_alu instid0(VALU_DEP_1)
	v_cndmask_b32_e32 v15, v3, v15, vcc_lo
; %bb.1360:                             ;   in Loop: Header=BB12_1234 Depth=1
	s_or_b32 exec_lo, exec_lo, s0
	v_and_b32_e32 v3, 0xffff0000, v4
	v_mov_b32_e32 v19, v10
	s_mov_b32 s0, exec_lo
	s_delay_alu instid0(VALU_DEP_2) | instskip(NEXT) | instid1(VALU_DEP_1)
	v_div_scale_f32 v4, null, s26, s26, v3
	v_rcp_f32_e32 v9, v4
	s_waitcnt_depctr 0xfff
	v_fma_f32 v16, -v4, v9, 1.0
	s_delay_alu instid0(VALU_DEP_1) | instskip(SKIP_1) | instid1(VALU_DEP_1)
	v_fmac_f32_e32 v9, v16, v9
	v_div_scale_f32 v16, vcc_lo, v3, s26, v3
	v_mul_f32_e32 v17, v16, v9
	s_delay_alu instid0(VALU_DEP_1) | instskip(NEXT) | instid1(VALU_DEP_1)
	v_fma_f32 v18, -v4, v17, v16
	v_fmac_f32_e32 v17, v18, v9
	s_delay_alu instid0(VALU_DEP_1) | instskip(NEXT) | instid1(VALU_DEP_1)
	v_fma_f32 v4, -v4, v17, v16
	v_div_fmas_f32 v4, v4, v9, v17
	s_delay_alu instid0(VALU_DEP_1) | instskip(NEXT) | instid1(VALU_DEP_1)
	v_div_fixup_f32 v4, v4, s26, v3
	v_and_b32_e32 v18, 0x7f800000, v4
	v_lshrrev_b32_e32 v17, 24, v4
	v_and_b32_e32 v9, 0x7fffff, v4
	s_delay_alu instid0(VALU_DEP_2) | instskip(NEXT) | instid1(VALU_DEP_1)
	v_and_b32_e32 v3, 0x80, v17
	v_or_b32_e32 v16, 0x7e, v3
	v_cmpx_ne_u64_e32 0x7f800000, v[18:19]
	s_xor_b32 s5, exec_lo, s0
	s_cbranch_execz .LBB12_1376
; %bb.1361:                             ;   in Loop: Header=BB12_1234 Depth=1
	v_dual_mov_b32 v18, v10 :: v_dual_and_b32 v17, 0x7fffffff, v4
	s_mov_b32 s0, exec_lo
	s_delay_alu instid0(VALU_DEP_1)
	v_cmpx_gt_u64_e32 0x43e00001, v[17:18]
	s_xor_b32 s6, exec_lo, s0
	s_cbranch_execz .LBB12_1375
; %bb.1362:                             ;   in Loop: Header=BB12_1234 Depth=1
	s_mov_b32 s7, exec_lo
	v_mov_b32_e32 v16, 0
	v_mov_b32_e32 v17, 0
	v_cmpx_ne_u32_e32 0, v4
	s_cbranch_execz .LBB12_1374
; %bb.1363:                             ;   in Loop: Header=BB12_1234 Depth=1
	v_bfe_u32 v4, v4, 23, 8
	v_or_b32_e32 v18, 0x800000, v9
	s_delay_alu instid0(VALU_DEP_2) | instskip(SKIP_1) | instid1(VALU_DEP_2)
	v_sub_nc_u32_e32 v16, 0x79, v4
	v_cmp_gt_u32_e32 vcc_lo, 0x7a, v4
	v_cndmask_b32_e32 v16, 0, v16, vcc_lo
	v_cmp_eq_u32_e32 vcc_lo, 0, v4
	v_cndmask_b32_e32 v9, v18, v9, vcc_lo
	s_delay_alu instid0(VALU_DEP_3) | instskip(NEXT) | instid1(VALU_DEP_1)
	v_cndmask_b32_e64 v20, v16, 0x78, vcc_lo
	v_add_nc_u32_e32 v16, 20, v20
	v_add_nc_u32_e32 v18, 19, v20
	s_delay_alu instid0(VALU_DEP_2) | instskip(NEXT) | instid1(VALU_DEP_2)
	v_lshlrev_b64 v[16:17], v16, -1
	v_lshlrev_b64 v[18:19], v18, 1
	s_delay_alu instid0(VALU_DEP_2) | instskip(NEXT) | instid1(VALU_DEP_3)
	v_not_b32_e32 v17, v17
	v_not_b32_e32 v16, v16
	s_delay_alu instid0(VALU_DEP_2) | instskip(NEXT) | instid1(VALU_DEP_2)
	v_and_b32_e32 v22, 0, v17
	v_and_b32_e32 v21, v9, v16
	v_lshrrev_b64 v[16:17], v20, v[9:10]
	s_delay_alu instid0(VALU_DEP_2) | instskip(NEXT) | instid1(VALU_DEP_2)
	v_cmp_eq_u64_e64 s0, v[21:22], v[18:19]
	v_dual_mov_b32 v19, v17 :: v_dual_mov_b32 v18, v16
	s_delay_alu instid0(VALU_DEP_2)
	s_and_saveexec_b32 s8, s0
; %bb.1364:                             ;   in Loop: Header=BB12_1234 Depth=1
	v_bfe_u32 v9, v16, 20, 1
	s_delay_alu instid0(VALU_DEP_1) | instskip(NEXT) | instid1(VALU_DEP_1)
	v_add_co_u32 v9, s0, v16, v9
	v_add_co_u32 v18, s0, v9, -1
; %bb.1365:                             ;   in Loop: Header=BB12_1234 Depth=1
	s_or_b32 exec_lo, exec_lo, s8
	v_add_nc_u32_e32 v4, 0xffffff81, v4
	v_lshrrev_b32_e32 v9, 23, v16
	s_mov_b32 s0, exec_lo
	s_delay_alu instid0(VALU_DEP_2) | instskip(NEXT) | instid1(VALU_DEP_1)
	v_cndmask_b32_e64 v4, v4, 0xffffff82, vcc_lo
	v_add3_u32 v9, v20, v4, v9
	v_and_b32_e32 v4, 0xfffff, v18
	s_delay_alu instid0(VALU_DEP_2) | instskip(NEXT) | instid1(VALU_DEP_2)
	v_add_nc_u32_e32 v18, 6, v9
	v_add_co_u32 v16, vcc_lo, v4, v16
	v_add_co_ci_u32_e32 v17, vcc_lo, 0, v17, vcc_lo
                                        ; implicit-def: $vgpr4
	s_delay_alu instid0(VALU_DEP_3)
	v_cmpx_ne_u32_e32 0, v18
	s_xor_b32 s0, exec_lo, s0
; %bb.1366:                             ;   in Loop: Header=BB12_1234 Depth=1
	s_delay_alu instid0(VALU_DEP_2) | instskip(SKIP_2) | instid1(VALU_DEP_2)
	v_cmp_lt_u64_e32 vcc_lo, 0xffffff, v[16:17]
	v_add_nc_u32_e32 v4, 7, v9
	v_cndmask_b32_e64 v9, 0, 1, vcc_lo
	v_cndmask_b32_e32 v4, v18, v4, vcc_lo
	s_delay_alu instid0(VALU_DEP_2)
	v_lshrrev_b64 v[16:17], v9, v[16:17]
; %bb.1367:                             ;   in Loop: Header=BB12_1234 Depth=1
	s_and_not1_saveexec_b32 s0, s0
; %bb.1368:                             ;   in Loop: Header=BB12_1234 Depth=1
	s_delay_alu instid0(VALU_DEP_1)
	v_bfe_u32 v4, v16, 23, 1
; %bb.1369:                             ;   in Loop: Header=BB12_1234 Depth=1
	s_or_b32 exec_lo, exec_lo, s0
	s_delay_alu instid0(VALU_DEP_2) | instskip(NEXT) | instid1(VALU_DEP_2)
	v_lshrrev_b64 v[16:17], 20, v[16:17]
	v_cmp_gt_i32_e32 vcc_lo, 16, v4
	v_cmp_ne_u32_e64 s0, 0, v4
	s_delay_alu instid0(VALU_DEP_3) | instskip(NEXT) | instid1(VALU_DEP_1)
	v_dual_cndmask_b32 v19, 0, v17 :: v_dual_cndmask_b32 v18, 7, v16
                                        ; implicit-def: $vgpr16_vgpr17
	v_cmp_ne_u64_e32 vcc_lo, 0, v[18:19]
	s_delay_alu instid0(VALU_DEP_3) | instskip(NEXT) | instid1(SALU_CYCLE_1)
	s_or_b32 s0, s0, vcc_lo
	s_and_saveexec_b32 s8, s0
	s_delay_alu instid0(SALU_CYCLE_1)
	s_xor_b32 s0, exec_lo, s8
; %bb.1370:                             ;   in Loop: Header=BB12_1234 Depth=1
	v_min_i32_e32 v4, 15, v4
	s_delay_alu instid0(VALU_DEP_1) | instskip(NEXT) | instid1(VALU_DEP_1)
	v_lshl_or_b32 v3, v4, 3, v3
	v_and_or_b32 v16, v18, 7, v3
                                        ; implicit-def: $vgpr3
; %bb.1371:                             ;   in Loop: Header=BB12_1234 Depth=1
	s_and_not1_saveexec_b32 s0, s0
; %bb.1372:                             ;   in Loop: Header=BB12_1234 Depth=1
	v_dual_mov_b32 v17, v4 :: v_dual_mov_b32 v16, v3
; %bb.1373:                             ;   in Loop: Header=BB12_1234 Depth=1
	s_or_b32 exec_lo, exec_lo, s0
.LBB12_1374:                            ;   in Loop: Header=BB12_1234 Depth=1
	s_delay_alu instid0(SALU_CYCLE_1)
	s_or_b32 exec_lo, exec_lo, s7
.LBB12_1375:                            ;   in Loop: Header=BB12_1234 Depth=1
	s_and_not1_saveexec_b32 s0, s6
	s_delay_alu instid0(SALU_CYCLE_1)
	s_or_b32 exec_lo, exec_lo, s0
                                        ; implicit-def: $vgpr17
.LBB12_1376:                            ;   in Loop: Header=BB12_1234 Depth=1
	s_and_not1_saveexec_b32 s0, s5
	s_cbranch_execz .LBB12_1233
; %bb.1377:                             ;   in Loop: Header=BB12_1234 Depth=1
	v_cmp_eq_u64_e32 vcc_lo, 0, v[9:10]
	v_or_b32_e32 v3, 0x7f, v17
	s_delay_alu instid0(VALU_DEP_1)
	v_cndmask_b32_e32 v16, v3, v16, vcc_lo
	s_branch .LBB12_1233
.LBB12_1378:
	s_nop 0
	s_sendmsg sendmsg(MSG_DEALLOC_VGPRS)
	s_endpgm
	.section	.rodata,"a",@progbits
	.p2align	6, 0x0
	.amdhsa_kernel _ZN4vllm30reshape_and_cache_flash_kernelI14__hip_bfloat16hLNS_18Fp8KVCacheDataTypeE1EEEvPKT_S5_PT0_S7_PKlllllliiiPKfSB_i
		.amdhsa_group_segment_fixed_size 0
		.amdhsa_private_segment_fixed_size 0
		.amdhsa_kernarg_size 376
		.amdhsa_user_sgpr_count 15
		.amdhsa_user_sgpr_dispatch_ptr 0
		.amdhsa_user_sgpr_queue_ptr 0
		.amdhsa_user_sgpr_kernarg_segment_ptr 1
		.amdhsa_user_sgpr_dispatch_id 0
		.amdhsa_user_sgpr_private_segment_size 0
		.amdhsa_wavefront_size32 1
		.amdhsa_uses_dynamic_stack 0
		.amdhsa_enable_private_segment 0
		.amdhsa_system_sgpr_workgroup_id_x 1
		.amdhsa_system_sgpr_workgroup_id_y 0
		.amdhsa_system_sgpr_workgroup_id_z 0
		.amdhsa_system_sgpr_workgroup_info 0
		.amdhsa_system_vgpr_workitem_id 0
		.amdhsa_next_free_vgpr 54
		.amdhsa_next_free_sgpr 57
		.amdhsa_reserve_vcc 1
		.amdhsa_float_round_mode_32 0
		.amdhsa_float_round_mode_16_64 0
		.amdhsa_float_denorm_mode_32 3
		.amdhsa_float_denorm_mode_16_64 3
		.amdhsa_dx10_clamp 1
		.amdhsa_ieee_mode 1
		.amdhsa_fp16_overflow 0
		.amdhsa_workgroup_processor_mode 1
		.amdhsa_memory_ordered 1
		.amdhsa_forward_progress 0
		.amdhsa_shared_vgpr_count 0
		.amdhsa_exception_fp_ieee_invalid_op 0
		.amdhsa_exception_fp_denorm_src 0
		.amdhsa_exception_fp_ieee_div_zero 0
		.amdhsa_exception_fp_ieee_overflow 0
		.amdhsa_exception_fp_ieee_underflow 0
		.amdhsa_exception_fp_ieee_inexact 0
		.amdhsa_exception_int_div_zero 0
	.end_amdhsa_kernel
	.section	.text._ZN4vllm30reshape_and_cache_flash_kernelI14__hip_bfloat16hLNS_18Fp8KVCacheDataTypeE1EEEvPKT_S5_PT0_S7_PKlllllliiiPKfSB_i,"axG",@progbits,_ZN4vllm30reshape_and_cache_flash_kernelI14__hip_bfloat16hLNS_18Fp8KVCacheDataTypeE1EEEvPKT_S5_PT0_S7_PKlllllliiiPKfSB_i,comdat
.Lfunc_end12:
	.size	_ZN4vllm30reshape_and_cache_flash_kernelI14__hip_bfloat16hLNS_18Fp8KVCacheDataTypeE1EEEvPKT_S5_PT0_S7_PKlllllliiiPKfSB_i, .Lfunc_end12-_ZN4vllm30reshape_and_cache_flash_kernelI14__hip_bfloat16hLNS_18Fp8KVCacheDataTypeE1EEEvPKT_S5_PT0_S7_PKlllllliiiPKfSB_i
                                        ; -- End function
	.section	.AMDGPU.csdata,"",@progbits
; Kernel info:
; codeLenInByte = 59296
; NumSgprs: 59
; NumVgprs: 54
; ScratchSize: 0
; MemoryBound: 0
; FloatMode: 240
; IeeeMode: 1
; LDSByteSize: 0 bytes/workgroup (compile time only)
; SGPRBlocks: 7
; VGPRBlocks: 6
; NumSGPRsForWavesPerEU: 59
; NumVGPRsForWavesPerEU: 54
; Occupancy: 16
; WaveLimiterHint : 0
; COMPUTE_PGM_RSRC2:SCRATCH_EN: 0
; COMPUTE_PGM_RSRC2:USER_SGPR: 15
; COMPUTE_PGM_RSRC2:TRAP_HANDLER: 0
; COMPUTE_PGM_RSRC2:TGID_X_EN: 1
; COMPUTE_PGM_RSRC2:TGID_Y_EN: 0
; COMPUTE_PGM_RSRC2:TGID_Z_EN: 0
; COMPUTE_PGM_RSRC2:TIDIG_COMP_CNT: 0
	.section	.text._ZN4vllm30concat_and_cache_ds_mla_kernelIffLNS_18Fp8KVCacheDataTypeE0EEEvPKT_S4_PT0_PKliiiiiiiPKf,"axG",@progbits,_ZN4vllm30concat_and_cache_ds_mla_kernelIffLNS_18Fp8KVCacheDataTypeE0EEEvPKT_S4_PT0_PKliiiiiiiPKf,comdat
	.protected	_ZN4vllm30concat_and_cache_ds_mla_kernelIffLNS_18Fp8KVCacheDataTypeE0EEEvPKT_S4_PT0_PKliiiiiiiPKf ; -- Begin function _ZN4vllm30concat_and_cache_ds_mla_kernelIffLNS_18Fp8KVCacheDataTypeE0EEEvPKT_S4_PT0_PKliiiiiiiPKf
	.globl	_ZN4vllm30concat_and_cache_ds_mla_kernelIffLNS_18Fp8KVCacheDataTypeE0EEEvPKT_S4_PT0_PKliiiiiiiPKf
	.p2align	8
	.type	_ZN4vllm30concat_and_cache_ds_mla_kernelIffLNS_18Fp8KVCacheDataTypeE0EEEvPKT_S4_PT0_PKliiiiiiiPKf,@function
_ZN4vllm30concat_and_cache_ds_mla_kernelIffLNS_18Fp8KVCacheDataTypeE0EEEvPKT_S4_PT0_PKliiiiiiiPKf: ; @_ZN4vllm30concat_and_cache_ds_mla_kernelIffLNS_18Fp8KVCacheDataTypeE0EEEvPKT_S4_PT0_PKliiiiiiiPKf
; %bb.0:
	s_load_b64 s[4:5], s[0:1], 0x18
	s_mov_b32 s2, s15
	s_mov_b32 s3, 0
	s_delay_alu instid0(SALU_CYCLE_1)
	s_lshl_b64 s[6:7], s[2:3], 3
	s_waitcnt lgkmcnt(0)
	s_add_u32 s4, s4, s6
	s_addc_u32 s5, s5, s7
	s_load_b64 s[8:9], s[4:5], 0x0
	s_waitcnt lgkmcnt(0)
	v_cmp_lt_i64_e64 s4, s[8:9], 0
	s_delay_alu instid0(VALU_DEP_1)
	s_and_b32 vcc_lo, exec_lo, s4
	s_cbranch_vccnz .LBB13_5
; %bb.1:
	s_clause 0x1
	s_load_b32 s10, s[0:1], 0x38
	s_load_b128 s[4:7], s[0:1], 0x8
	s_waitcnt lgkmcnt(0)
	s_ashr_i32 s11, s10, 31
	s_delay_alu instid0(SALU_CYCLE_1) | instskip(SKIP_1) | instid1(SALU_CYCLE_1)
	s_or_b64 s[12:13], s[8:9], s[10:11]
	s_mov_b32 s12, s3
	s_cmp_lg_u64 s[12:13], 0
	s_cbranch_scc0 .LBB13_6
; %bb.2:
	s_add_u32 s14, s10, s11
	s_mov_b32 s12, s11
	s_mov_b32 s13, s11
	s_addc_u32 s15, s11, s11
	s_delay_alu instid0(SALU_CYCLE_1) | instskip(NEXT) | instid1(SALU_CYCLE_1)
	s_xor_b64 s[14:15], s[14:15], s[12:13]
	v_cvt_f32_u32_e32 v1, s14
	v_cvt_f32_u32_e32 v2, s15
	s_sub_u32 s17, 0, s14
	s_subb_u32 s18, 0, s15
	s_delay_alu instid0(VALU_DEP_1) | instskip(NEXT) | instid1(VALU_DEP_1)
	v_fmamk_f32 v1, v2, 0x4f800000, v1
	v_rcp_f32_e32 v1, v1
	s_waitcnt_depctr 0xfff
	v_mul_f32_e32 v1, 0x5f7ffffc, v1
	s_delay_alu instid0(VALU_DEP_1) | instskip(NEXT) | instid1(VALU_DEP_1)
	v_mul_f32_e32 v2, 0x2f800000, v1
	v_trunc_f32_e32 v2, v2
	s_delay_alu instid0(VALU_DEP_1) | instskip(SKIP_1) | instid1(VALU_DEP_2)
	v_fmamk_f32 v1, v2, 0xcf800000, v1
	v_cvt_u32_f32_e32 v2, v2
	v_cvt_u32_f32_e32 v1, v1
	s_delay_alu instid0(VALU_DEP_2) | instskip(NEXT) | instid1(VALU_DEP_2)
	v_readfirstlane_b32 s3, v2
	v_readfirstlane_b32 s16, v1
	s_delay_alu instid0(VALU_DEP_2) | instskip(NEXT) | instid1(VALU_DEP_1)
	s_mul_i32 s19, s17, s3
	s_mul_hi_u32 s21, s17, s16
	s_mul_i32 s20, s18, s16
	s_add_i32 s19, s21, s19
	s_mul_i32 s22, s17, s16
	s_add_i32 s19, s19, s20
	s_mul_hi_u32 s21, s16, s22
	s_mul_hi_u32 s23, s3, s22
	s_mul_i32 s20, s3, s22
	s_mul_hi_u32 s22, s16, s19
	s_mul_i32 s16, s16, s19
	s_mul_hi_u32 s24, s3, s19
	s_add_u32 s16, s21, s16
	s_addc_u32 s21, 0, s22
	s_add_u32 s16, s16, s20
	s_mul_i32 s19, s3, s19
	s_addc_u32 s16, s21, s23
	s_addc_u32 s20, s24, 0
	s_add_u32 s16, s16, s19
	s_addc_u32 s19, 0, s20
	v_add_co_u32 v1, s16, v1, s16
	s_delay_alu instid0(VALU_DEP_1) | instskip(SKIP_1) | instid1(VALU_DEP_1)
	s_cmp_lg_u32 s16, 0
	s_addc_u32 s3, s3, s19
	v_readfirstlane_b32 s16, v1
	s_mul_i32 s19, s17, s3
	s_delay_alu instid0(VALU_DEP_1)
	s_mul_hi_u32 s20, s17, s16
	s_mul_i32 s18, s18, s16
	s_add_i32 s19, s20, s19
	s_mul_i32 s17, s17, s16
	s_add_i32 s19, s19, s18
	s_mul_hi_u32 s20, s3, s17
	s_mul_i32 s21, s3, s17
	s_mul_hi_u32 s17, s16, s17
	s_mul_hi_u32 s22, s16, s19
	s_mul_i32 s16, s16, s19
	s_mul_hi_u32 s18, s3, s19
	s_add_u32 s16, s17, s16
	s_addc_u32 s17, 0, s22
	s_add_u32 s16, s16, s21
	s_mul_i32 s19, s3, s19
	s_addc_u32 s16, s17, s20
	s_addc_u32 s17, s18, 0
	s_add_u32 s16, s16, s19
	s_addc_u32 s17, 0, s17
	v_add_co_u32 v1, s16, v1, s16
	s_delay_alu instid0(VALU_DEP_1) | instskip(SKIP_2) | instid1(VALU_DEP_1)
	s_cmp_lg_u32 s16, 0
	s_addc_u32 s3, s3, s17
	s_ashr_i32 s16, s9, 31
	v_readfirstlane_b32 s20, v1
	s_add_u32 s18, s8, s16
	s_mov_b32 s17, s16
	s_addc_u32 s19, s9, s16
	s_delay_alu instid0(SALU_CYCLE_1) | instskip(NEXT) | instid1(SALU_CYCLE_1)
	s_xor_b64 s[18:19], s[18:19], s[16:17]
	s_mul_i32 s22, s18, s3
	s_mul_hi_u32 s23, s18, s20
	s_mul_hi_u32 s21, s18, s3
	;; [unrolled: 1-line block ×3, first 2 shown]
	s_mul_i32 s20, s19, s20
	s_add_u32 s22, s23, s22
	s_addc_u32 s21, 0, s21
	s_mul_hi_u32 s24, s19, s3
	s_add_u32 s20, s22, s20
	s_mul_i32 s3, s19, s3
	s_addc_u32 s20, s21, s25
	s_addc_u32 s21, s24, 0
	s_add_u32 s3, s20, s3
	s_addc_u32 s20, 0, s21
	s_mul_i32 s24, s14, s3
	s_mul_hi_u32 s21, s14, s3
	s_mul_i32 s23, s14, s20
	v_sub_co_u32 v1, s18, s18, s24
	s_mul_i32 s22, s15, s3
	s_add_i32 s21, s21, s23
	s_delay_alu instid0(SALU_CYCLE_1) | instskip(NEXT) | instid1(VALU_DEP_1)
	s_add_i32 s21, s21, s22
	v_sub_co_u32 v2, s23, v1, s14
	s_sub_i32 s22, s19, s21
	s_cmp_lg_u32 s18, 0
	s_subb_u32 s22, s22, s15
	s_cmp_lg_u32 s23, 0
	v_readfirstlane_b32 s23, v2
	s_subb_u32 s22, s22, 0
	s_delay_alu instid0(SALU_CYCLE_1) | instskip(SKIP_1) | instid1(VALU_DEP_1)
	s_cmp_ge_u32 s22, s15
	s_cselect_b32 s24, -1, 0
	s_cmp_ge_u32 s23, s14
	s_cselect_b32 s23, -1, 0
	s_cmp_eq_u32 s22, s15
	s_cselect_b32 s22, s23, s24
	s_add_u32 s23, s3, 1
	s_addc_u32 s24, s20, 0
	s_add_u32 s25, s3, 2
	s_addc_u32 s26, s20, 0
	s_cmp_lg_u32 s22, 0
	s_cselect_b32 s22, s25, s23
	s_cselect_b32 s23, s26, s24
	s_cmp_lg_u32 s18, 0
	v_readfirstlane_b32 s18, v1
	s_subb_u32 s19, s19, s21
	s_delay_alu instid0(SALU_CYCLE_1) | instskip(SKIP_1) | instid1(VALU_DEP_1)
	s_cmp_ge_u32 s19, s15
	s_cselect_b32 s21, -1, 0
	s_cmp_ge_u32 s18, s14
	s_cselect_b32 s14, -1, 0
	s_cmp_eq_u32 s19, s15
	s_cselect_b32 s14, s14, s21
	s_delay_alu instid0(SALU_CYCLE_1) | instskip(SKIP_3) | instid1(SALU_CYCLE_1)
	s_cmp_lg_u32 s14, 0
	s_cselect_b32 s15, s23, s20
	s_cselect_b32 s14, s22, s3
	s_xor_b64 s[12:13], s[16:17], s[12:13]
	s_xor_b64 s[14:15], s[14:15], s[12:13]
	s_delay_alu instid0(SALU_CYCLE_1)
	s_sub_u32 s12, s14, s12
	s_subb_u32 s13, s15, s13
	s_cbranch_execnz .LBB13_4
.LBB13_3:
	v_cvt_f32_u32_e32 v1, s10
	s_sub_i32 s12, 0, s10
	s_delay_alu instid0(VALU_DEP_1) | instskip(SKIP_2) | instid1(VALU_DEP_1)
	v_rcp_iflag_f32_e32 v1, v1
	s_waitcnt_depctr 0xfff
	v_mul_f32_e32 v1, 0x4f7ffffe, v1
	v_cvt_u32_f32_e32 v1, v1
	s_delay_alu instid0(VALU_DEP_1) | instskip(NEXT) | instid1(VALU_DEP_1)
	v_readfirstlane_b32 s3, v1
	s_mul_i32 s12, s12, s3
	s_delay_alu instid0(SALU_CYCLE_1) | instskip(NEXT) | instid1(SALU_CYCLE_1)
	s_mul_hi_u32 s12, s3, s12
	s_add_i32 s3, s3, s12
	s_delay_alu instid0(SALU_CYCLE_1) | instskip(NEXT) | instid1(SALU_CYCLE_1)
	s_mul_hi_u32 s3, s8, s3
	s_mul_i32 s12, s3, s10
	s_add_i32 s13, s3, 1
	s_sub_i32 s12, s8, s12
	s_delay_alu instid0(SALU_CYCLE_1)
	s_sub_i32 s14, s12, s10
	s_cmp_ge_u32 s12, s10
	s_cselect_b32 s3, s13, s3
	s_cselect_b32 s12, s14, s12
	s_add_i32 s14, s3, 1
	s_cmp_ge_u32 s12, s10
	s_mov_b32 s13, 0
	s_cselect_b32 s12, s14, s3
.LBB13_4:
	s_clause 0x1
	s_load_b64 s[14:15], s[0:1], 0x20
	s_load_b64 s[0:1], s[0:1], 0x2c
	s_mul_i32 s3, s12, s11
	s_mul_hi_u32 s11, s12, s10
	s_mul_i32 s16, s13, s10
	s_add_i32 s3, s11, s3
	s_mul_i32 s10, s12, s10
	v_lshlrev_b16 v0, 1, v0
	s_add_i32 s3, s3, s16
	s_sub_u32 s11, s8, s10
	s_subb_u32 s3, s9, s3
	s_delay_alu instid0(VALU_DEP_1) | instskip(NEXT) | instid1(VALU_DEP_1)
	v_xor_b32_e32 v0, 0x80, v0
	v_bfe_i32 v0, v0, 0, 8
	s_waitcnt lgkmcnt(0)
	s_ashr_i32 s9, s14, 31
	s_mul_hi_u32 s16, s12, s14
	s_mul_i32 s9, s12, s9
	s_mul_i32 s13, s13, s14
	;; [unrolled: 1-line block ×3, first 2 shown]
	s_ashr_i32 s14, s15, 31
	s_add_i32 s9, s16, s9
	s_mul_hi_u32 s17, s11, s15
	s_mul_i32 s10, s11, s15
	s_mul_i32 s11, s11, s14
	s_add_i32 s9, s9, s13
	s_mul_i32 s3, s3, s15
	s_add_i32 s11, s17, s11
	s_lshl_b64 s[8:9], s[8:9], 2
	s_add_i32 s11, s11, s3
	s_add_u32 s3, s6, s8
	s_addc_u32 s8, s7, s9
	s_lshl_b64 s[6:7], s[10:11], 2
	v_ashrrev_i32_e32 v1, 31, v0
	s_add_u32 s6, s3, s6
	s_addc_u32 s7, s8, s7
	s_ashr_i32 s3, s0, 31
	s_mul_hi_u32 s8, s0, s2
	s_mul_i32 s3, s3, s2
	s_mul_i32 s2, s0, s2
	s_add_i32 s3, s8, s3
	v_lshlrev_b64 v[2:3], 2, v[0:1]
	s_lshl_b64 s[2:3], s[2:3], 2
	s_delay_alu instid0(SALU_CYCLE_1) | instskip(SKIP_1) | instid1(VALU_DEP_1)
	s_add_u32 s0, s4, s2
	s_addc_u32 s2, s5, s3
	v_add_co_u32 v2, vcc_lo, s0, v2
	s_delay_alu instid0(VALU_DEP_2) | instskip(SKIP_1) | instid1(SALU_CYCLE_1)
	v_add_co_ci_u32_e32 v3, vcc_lo, s2, v3, vcc_lo
	s_lshr_b32 s0, s1, 31
	s_add_i32 s0, s1, s0
	global_load_b32 v2, v[2:3], off
	s_ashr_i32 s0, s0, 1
	s_delay_alu instid0(SALU_CYCLE_1) | instskip(SKIP_2) | instid1(VALU_DEP_1)
	s_ashr_i32 s1, s0, 31
	v_add_co_u32 v0, vcc_lo, v0, s0
	v_add_co_ci_u32_e32 v1, vcc_lo, s1, v1, vcc_lo
	v_lshlrev_b64 v[0:1], 2, v[0:1]
	s_delay_alu instid0(VALU_DEP_1) | instskip(NEXT) | instid1(VALU_DEP_2)
	v_add_co_u32 v0, vcc_lo, s6, v0
	v_add_co_ci_u32_e32 v1, vcc_lo, s7, v1, vcc_lo
	s_waitcnt vmcnt(0)
	global_store_b32 v[0:1], v2, off offset:32
.LBB13_5:
	s_nop 0
	s_sendmsg sendmsg(MSG_DEALLOC_VGPRS)
	s_endpgm
.LBB13_6:
                                        ; implicit-def: $sgpr12_sgpr13
	s_branch .LBB13_3
	.section	.rodata,"a",@progbits
	.p2align	6, 0x0
	.amdhsa_kernel _ZN4vllm30concat_and_cache_ds_mla_kernelIffLNS_18Fp8KVCacheDataTypeE0EEEvPKT_S4_PT0_PKliiiiiiiPKf
		.amdhsa_group_segment_fixed_size 0
		.amdhsa_private_segment_fixed_size 0
		.amdhsa_kernarg_size 72
		.amdhsa_user_sgpr_count 15
		.amdhsa_user_sgpr_dispatch_ptr 0
		.amdhsa_user_sgpr_queue_ptr 0
		.amdhsa_user_sgpr_kernarg_segment_ptr 1
		.amdhsa_user_sgpr_dispatch_id 0
		.amdhsa_user_sgpr_private_segment_size 0
		.amdhsa_wavefront_size32 1
		.amdhsa_uses_dynamic_stack 0
		.amdhsa_enable_private_segment 0
		.amdhsa_system_sgpr_workgroup_id_x 1
		.amdhsa_system_sgpr_workgroup_id_y 0
		.amdhsa_system_sgpr_workgroup_id_z 0
		.amdhsa_system_sgpr_workgroup_info 0
		.amdhsa_system_vgpr_workitem_id 0
		.amdhsa_next_free_vgpr 4
		.amdhsa_next_free_sgpr 27
		.amdhsa_reserve_vcc 1
		.amdhsa_float_round_mode_32 0
		.amdhsa_float_round_mode_16_64 0
		.amdhsa_float_denorm_mode_32 3
		.amdhsa_float_denorm_mode_16_64 3
		.amdhsa_dx10_clamp 1
		.amdhsa_ieee_mode 1
		.amdhsa_fp16_overflow 0
		.amdhsa_workgroup_processor_mode 1
		.amdhsa_memory_ordered 1
		.amdhsa_forward_progress 0
		.amdhsa_shared_vgpr_count 0
		.amdhsa_exception_fp_ieee_invalid_op 0
		.amdhsa_exception_fp_denorm_src 0
		.amdhsa_exception_fp_ieee_div_zero 0
		.amdhsa_exception_fp_ieee_overflow 0
		.amdhsa_exception_fp_ieee_underflow 0
		.amdhsa_exception_fp_ieee_inexact 0
		.amdhsa_exception_int_div_zero 0
	.end_amdhsa_kernel
	.section	.text._ZN4vllm30concat_and_cache_ds_mla_kernelIffLNS_18Fp8KVCacheDataTypeE0EEEvPKT_S4_PT0_PKliiiiiiiPKf,"axG",@progbits,_ZN4vllm30concat_and_cache_ds_mla_kernelIffLNS_18Fp8KVCacheDataTypeE0EEEvPKT_S4_PT0_PKliiiiiiiPKf,comdat
.Lfunc_end13:
	.size	_ZN4vllm30concat_and_cache_ds_mla_kernelIffLNS_18Fp8KVCacheDataTypeE0EEEvPKT_S4_PT0_PKliiiiiiiPKf, .Lfunc_end13-_ZN4vllm30concat_and_cache_ds_mla_kernelIffLNS_18Fp8KVCacheDataTypeE0EEEvPKT_S4_PT0_PKliiiiiiiPKf
                                        ; -- End function
	.section	.AMDGPU.csdata,"",@progbits
; Kernel info:
; codeLenInByte = 1164
; NumSgprs: 29
; NumVgprs: 4
; ScratchSize: 0
; MemoryBound: 0
; FloatMode: 240
; IeeeMode: 1
; LDSByteSize: 0 bytes/workgroup (compile time only)
; SGPRBlocks: 3
; VGPRBlocks: 0
; NumSGPRsForWavesPerEU: 29
; NumVGPRsForWavesPerEU: 4
; Occupancy: 16
; WaveLimiterHint : 0
; COMPUTE_PGM_RSRC2:SCRATCH_EN: 0
; COMPUTE_PGM_RSRC2:USER_SGPR: 15
; COMPUTE_PGM_RSRC2:TRAP_HANDLER: 0
; COMPUTE_PGM_RSRC2:TGID_X_EN: 1
; COMPUTE_PGM_RSRC2:TGID_Y_EN: 0
; COMPUTE_PGM_RSRC2:TGID_Z_EN: 0
; COMPUTE_PGM_RSRC2:TIDIG_COMP_CNT: 0
	.section	.text._ZN4vllm30concat_and_cache_ds_mla_kernelIttLNS_18Fp8KVCacheDataTypeE0EEEvPKT_S4_PT0_PKliiiiiiiPKf,"axG",@progbits,_ZN4vllm30concat_and_cache_ds_mla_kernelIttLNS_18Fp8KVCacheDataTypeE0EEEvPKT_S4_PT0_PKliiiiiiiPKf,comdat
	.protected	_ZN4vllm30concat_and_cache_ds_mla_kernelIttLNS_18Fp8KVCacheDataTypeE0EEEvPKT_S4_PT0_PKliiiiiiiPKf ; -- Begin function _ZN4vllm30concat_and_cache_ds_mla_kernelIttLNS_18Fp8KVCacheDataTypeE0EEEvPKT_S4_PT0_PKliiiiiiiPKf
	.globl	_ZN4vllm30concat_and_cache_ds_mla_kernelIttLNS_18Fp8KVCacheDataTypeE0EEEvPKT_S4_PT0_PKliiiiiiiPKf
	.p2align	8
	.type	_ZN4vllm30concat_and_cache_ds_mla_kernelIttLNS_18Fp8KVCacheDataTypeE0EEEvPKT_S4_PT0_PKliiiiiiiPKf,@function
_ZN4vllm30concat_and_cache_ds_mla_kernelIttLNS_18Fp8KVCacheDataTypeE0EEEvPKT_S4_PT0_PKliiiiiiiPKf: ; @_ZN4vllm30concat_and_cache_ds_mla_kernelIttLNS_18Fp8KVCacheDataTypeE0EEEvPKT_S4_PT0_PKliiiiiiiPKf
; %bb.0:
	s_load_b64 s[2:3], s[0:1], 0x18
	s_mov_b32 s8, s15
	s_mov_b32 s9, 0
	s_delay_alu instid0(SALU_CYCLE_1)
	s_lshl_b64 s[4:5], s[8:9], 3
	s_waitcnt lgkmcnt(0)
	s_add_u32 s2, s2, s4
	s_addc_u32 s3, s3, s5
	s_load_b64 s[10:11], s[2:3], 0x0
	s_waitcnt lgkmcnt(0)
	v_cmp_lt_i64_e64 s2, s[10:11], 0
	s_delay_alu instid0(VALU_DEP_1)
	s_and_b32 vcc_lo, exec_lo, s2
	s_cbranch_vccnz .LBB14_156
; %bb.1:
	s_clause 0x1
	s_load_b32 s12, s[0:1], 0x38
	s_load_b64 s[2:3], s[0:1], 0x10
	s_waitcnt lgkmcnt(0)
	s_ashr_i32 s13, s12, 31
	s_delay_alu instid0(SALU_CYCLE_1) | instskip(SKIP_1) | instid1(SALU_CYCLE_1)
	s_or_b64 s[4:5], s[10:11], s[12:13]
	s_mov_b32 s4, s9
	s_cmp_lg_u64 s[4:5], 0
	s_cbranch_scc0 .LBB14_157
; %bb.2:
	s_add_u32 s6, s12, s13
	s_mov_b32 s4, s13
	s_mov_b32 s5, s13
	s_addc_u32 s7, s13, s13
	s_delay_alu instid0(SALU_CYCLE_1) | instskip(NEXT) | instid1(SALU_CYCLE_1)
	s_xor_b64 s[6:7], s[6:7], s[4:5]
	v_cvt_f32_u32_e32 v1, s6
	v_cvt_f32_u32_e32 v2, s7
	s_sub_u32 s15, 0, s6
	s_subb_u32 s16, 0, s7
	s_delay_alu instid0(VALU_DEP_1) | instskip(NEXT) | instid1(VALU_DEP_1)
	v_fmamk_f32 v1, v2, 0x4f800000, v1
	v_rcp_f32_e32 v1, v1
	s_waitcnt_depctr 0xfff
	v_mul_f32_e32 v1, 0x5f7ffffc, v1
	s_delay_alu instid0(VALU_DEP_1) | instskip(NEXT) | instid1(VALU_DEP_1)
	v_mul_f32_e32 v2, 0x2f800000, v1
	v_trunc_f32_e32 v2, v2
	s_delay_alu instid0(VALU_DEP_1) | instskip(SKIP_1) | instid1(VALU_DEP_2)
	v_fmamk_f32 v1, v2, 0xcf800000, v1
	v_cvt_u32_f32_e32 v2, v2
	v_cvt_u32_f32_e32 v1, v1
	s_delay_alu instid0(VALU_DEP_2) | instskip(NEXT) | instid1(VALU_DEP_2)
	v_readfirstlane_b32 s9, v2
	v_readfirstlane_b32 s14, v1
	s_delay_alu instid0(VALU_DEP_2) | instskip(NEXT) | instid1(VALU_DEP_1)
	s_mul_i32 s17, s15, s9
	s_mul_hi_u32 s19, s15, s14
	s_mul_i32 s18, s16, s14
	s_add_i32 s17, s19, s17
	s_mul_i32 s20, s15, s14
	s_add_i32 s17, s17, s18
	s_mul_hi_u32 s19, s14, s20
	s_mul_hi_u32 s21, s9, s20
	s_mul_i32 s18, s9, s20
	s_mul_hi_u32 s20, s14, s17
	s_mul_i32 s14, s14, s17
	s_mul_hi_u32 s22, s9, s17
	s_add_u32 s14, s19, s14
	s_addc_u32 s19, 0, s20
	s_add_u32 s14, s14, s18
	s_mul_i32 s17, s9, s17
	s_addc_u32 s14, s19, s21
	s_addc_u32 s18, s22, 0
	s_add_u32 s14, s14, s17
	s_addc_u32 s17, 0, s18
	v_add_co_u32 v1, s14, v1, s14
	s_delay_alu instid0(VALU_DEP_1) | instskip(SKIP_1) | instid1(VALU_DEP_1)
	s_cmp_lg_u32 s14, 0
	s_addc_u32 s9, s9, s17
	v_readfirstlane_b32 s14, v1
	s_mul_i32 s17, s15, s9
	s_delay_alu instid0(VALU_DEP_1)
	s_mul_hi_u32 s18, s15, s14
	s_mul_i32 s16, s16, s14
	s_add_i32 s17, s18, s17
	s_mul_i32 s15, s15, s14
	s_add_i32 s17, s17, s16
	s_mul_hi_u32 s18, s9, s15
	s_mul_i32 s19, s9, s15
	s_mul_hi_u32 s15, s14, s15
	s_mul_hi_u32 s20, s14, s17
	s_mul_i32 s14, s14, s17
	s_mul_hi_u32 s16, s9, s17
	s_add_u32 s14, s15, s14
	s_addc_u32 s15, 0, s20
	s_add_u32 s14, s14, s19
	s_mul_i32 s17, s9, s17
	s_addc_u32 s14, s15, s18
	s_addc_u32 s15, s16, 0
	s_add_u32 s14, s14, s17
	s_addc_u32 s15, 0, s15
	v_add_co_u32 v1, s14, v1, s14
	s_delay_alu instid0(VALU_DEP_1) | instskip(SKIP_2) | instid1(VALU_DEP_1)
	s_cmp_lg_u32 s14, 0
	s_addc_u32 s9, s9, s15
	s_ashr_i32 s14, s11, 31
	v_readfirstlane_b32 s18, v1
	s_add_u32 s16, s10, s14
	s_mov_b32 s15, s14
	s_addc_u32 s17, s11, s14
	s_delay_alu instid0(SALU_CYCLE_1) | instskip(NEXT) | instid1(SALU_CYCLE_1)
	s_xor_b64 s[16:17], s[16:17], s[14:15]
	s_mul_i32 s20, s16, s9
	s_mul_hi_u32 s21, s16, s18
	s_mul_hi_u32 s19, s16, s9
	s_mul_hi_u32 s23, s17, s18
	s_mul_i32 s18, s17, s18
	s_add_u32 s20, s21, s20
	s_addc_u32 s19, 0, s19
	s_mul_hi_u32 s22, s17, s9
	s_add_u32 s18, s20, s18
	s_mul_i32 s9, s17, s9
	s_addc_u32 s18, s19, s23
	s_addc_u32 s19, s22, 0
	s_add_u32 s9, s18, s9
	s_addc_u32 s18, 0, s19
	s_mul_i32 s22, s6, s9
	s_mul_hi_u32 s19, s6, s9
	s_mul_i32 s21, s6, s18
	v_sub_co_u32 v1, s16, s16, s22
	s_mul_i32 s20, s7, s9
	s_add_i32 s19, s19, s21
	s_delay_alu instid0(SALU_CYCLE_1) | instskip(NEXT) | instid1(VALU_DEP_1)
	s_add_i32 s19, s19, s20
	v_sub_co_u32 v2, s21, v1, s6
	s_sub_i32 s20, s17, s19
	s_cmp_lg_u32 s16, 0
	s_subb_u32 s20, s20, s7
	s_cmp_lg_u32 s21, 0
	v_readfirstlane_b32 s21, v2
	s_subb_u32 s20, s20, 0
	s_delay_alu instid0(SALU_CYCLE_1) | instskip(SKIP_1) | instid1(VALU_DEP_1)
	s_cmp_ge_u32 s20, s7
	s_cselect_b32 s22, -1, 0
	s_cmp_ge_u32 s21, s6
	s_cselect_b32 s21, -1, 0
	s_cmp_eq_u32 s20, s7
	s_cselect_b32 s20, s21, s22
	s_add_u32 s21, s9, 1
	s_addc_u32 s22, s18, 0
	s_add_u32 s23, s9, 2
	s_addc_u32 s24, s18, 0
	s_cmp_lg_u32 s20, 0
	s_cselect_b32 s20, s23, s21
	s_cselect_b32 s21, s24, s22
	s_cmp_lg_u32 s16, 0
	v_readfirstlane_b32 s16, v1
	s_subb_u32 s17, s17, s19
	s_delay_alu instid0(SALU_CYCLE_1) | instskip(SKIP_1) | instid1(VALU_DEP_1)
	s_cmp_ge_u32 s17, s7
	s_cselect_b32 s19, -1, 0
	s_cmp_ge_u32 s16, s6
	s_cselect_b32 s6, -1, 0
	s_cmp_eq_u32 s17, s7
	s_cselect_b32 s6, s6, s19
	s_delay_alu instid0(SALU_CYCLE_1) | instskip(SKIP_3) | instid1(SALU_CYCLE_1)
	s_cmp_lg_u32 s6, 0
	s_cselect_b32 s7, s21, s18
	s_cselect_b32 s6, s20, s9
	s_xor_b64 s[14:15], s[14:15], s[4:5]
	s_xor_b64 s[6:7], s[6:7], s[14:15]
	s_delay_alu instid0(SALU_CYCLE_1)
	s_sub_u32 s14, s6, s14
	s_subb_u32 s15, s7, s15
	s_cbranch_execnz .LBB14_4
.LBB14_3:
	v_cvt_f32_u32_e32 v1, s12
	s_sub_i32 s5, 0, s12
	s_mov_b32 s15, 0
	s_delay_alu instid0(VALU_DEP_1) | instskip(SKIP_2) | instid1(VALU_DEP_1)
	v_rcp_iflag_f32_e32 v1, v1
	s_waitcnt_depctr 0xfff
	v_mul_f32_e32 v1, 0x4f7ffffe, v1
	v_cvt_u32_f32_e32 v1, v1
	s_delay_alu instid0(VALU_DEP_1) | instskip(NEXT) | instid1(VALU_DEP_1)
	v_readfirstlane_b32 s4, v1
	s_mul_i32 s5, s5, s4
	s_delay_alu instid0(SALU_CYCLE_1) | instskip(NEXT) | instid1(SALU_CYCLE_1)
	s_mul_hi_u32 s5, s4, s5
	s_add_i32 s4, s4, s5
	s_delay_alu instid0(SALU_CYCLE_1) | instskip(NEXT) | instid1(SALU_CYCLE_1)
	s_mul_hi_u32 s4, s10, s4
	s_mul_i32 s5, s4, s12
	s_add_i32 s6, s4, 1
	s_sub_i32 s5, s10, s5
	s_delay_alu instid0(SALU_CYCLE_1)
	s_sub_i32 s7, s5, s12
	s_cmp_ge_u32 s5, s12
	s_cselect_b32 s4, s6, s4
	s_cselect_b32 s5, s7, s5
	s_add_i32 s6, s4, 1
	s_cmp_ge_u32 s5, s12
	s_cselect_b32 s14, s6, s4
.LBB14_4:
	s_clause 0x1
	s_load_b128 s[4:7], s[0:1], 0x20
	s_load_b32 s9, s[0:1], 0x30
	s_mul_i32 s13, s14, s13
	s_mul_hi_u32 s16, s14, s12
	s_mul_i32 s17, s15, s12
	s_add_i32 s13, s16, s13
	s_mul_i32 s12, s14, s12
	s_add_i32 s13, s13, s17
	s_sub_u32 s12, s10, s12
	s_subb_u32 s10, s11, s13
	s_waitcnt lgkmcnt(0)
	s_ashr_i32 s11, s4, 31
	s_mul_hi_u32 s13, s14, s4
	s_mul_i32 s11, s14, s11
	s_ashr_i32 s16, s5, 31
	s_mul_i32 s15, s15, s4
	s_mul_hi_u32 s17, s12, s5
	s_mul_i32 s18, s10, s5
	s_mul_i32 s10, s12, s5
	s_add_i32 s5, s13, s11
	s_mul_i32 s12, s12, s16
	s_mul_i32 s4, s14, s4
	s_add_i32 s5, s5, s15
	s_add_i32 s11, s17, s12
	s_lshl_b64 s[4:5], s[4:5], 1
	s_add_i32 s11, s11, s18
	s_add_u32 s4, s2, s4
	s_addc_u32 s5, s3, s5
	s_lshl_b64 s[2:3], s[10:11], 1
	s_delay_alu instid0(SALU_CYCLE_1)
	s_add_u32 s4, s4, s2
	s_addc_u32 s5, s5, s3
	s_mov_b32 s2, exec_lo
	v_cmpx_gt_u32_e32 64, v0
	s_xor_b32 s3, exec_lo, s2
	s_cbranch_execz .LBB14_154
; %bb.5:
	s_load_b64 s[10:11], s[0:1], 0x0
	s_ashr_i32 s2, s6, 31
	s_mul_hi_u32 s13, s6, s8
	s_mul_i32 s2, s2, s8
	s_mul_i32 s12, s6, s8
	s_add_i32 s13, s13, s2
	v_lshlrev_b32_e32 v1, 4, v0
	s_lshl_b64 s[12:13], s[12:13], 1
	v_mbcnt_lo_u32_b32 v5, -1, 0
	s_mov_b32 s2, exec_lo
	s_delay_alu instid0(VALU_DEP_1) | instskip(SKIP_1) | instid1(VALU_DEP_1)
	v_xor_b32_e32 v7, 8, v5
	v_and_b32_e32 v6, 16, v5
	v_add_nc_u32_e32 v6, 16, v6
	s_waitcnt lgkmcnt(0)
	s_add_u32 s10, s10, s12
	s_addc_u32 s11, s11, s13
	global_load_b128 v[1:4], v1, s[10:11]
	v_cmp_lt_i32_e32 vcc_lo, v7, v6
	v_cndmask_b32_e32 v7, v5, v7, vcc_lo
	s_delay_alu instid0(VALU_DEP_1)
	v_lshlrev_b32_e32 v7, 2, v7
	s_waitcnt vmcnt(0)
	v_lshrrev_b32_e32 v9, 16, v1
	v_and_b32_e32 v8, 0xffff, v1
	v_lshrrev_b32_e32 v11, 16, v4
	v_and_b32_e32 v10, 0xffff, v4
	v_lshrrev_b32_e32 v14, 16, v2
	v_lshrrev_b32_e32 v13, 16, v3
	v_and_b32_e32 v12, 0xffff, v2
	v_cvt_f32_u32_e32 v8, v8
	v_cvt_f32_u32_e32 v16, v9
	v_and_b32_e32 v15, 0xffff, v3
	v_cvt_f32_u32_e32 v10, v10
	v_cvt_f32_u32_e32 v17, v11
	;; [unrolled: 1-line block ×3, first 2 shown]
	v_max_f32_e32 v8, v8, v16
	v_cvt_f32_u32_e32 v18, v14
	v_cvt_f32_u32_e32 v15, v15
	;; [unrolled: 1-line block ×3, first 2 shown]
	v_max_f32_e32 v10, v10, v17
	s_delay_alu instid0(VALU_DEP_4) | instskip(NEXT) | instid1(VALU_DEP_2)
	v_max_f32_e32 v12, v12, v18
	v_max3_f32 v10, v15, v19, v10
	s_delay_alu instid0(VALU_DEP_1)
	v_max3_f32 v8, v8, v12, v10
	v_xor_b32_e32 v10, 4, v5
	ds_bpermute_b32 v7, v7, v8
	s_waitcnt lgkmcnt(0)
	v_max_f32_e32 v7, v7, v7
	v_cmp_lt_i32_e32 vcc_lo, v10, v6
	s_delay_alu instid0(VALU_DEP_2) | instskip(NEXT) | instid1(VALU_DEP_1)
	v_dual_max_f32 v7, v8, v7 :: v_dual_cndmask_b32 v10, v5, v10
	v_lshlrev_b32_e32 v10, 2, v10
	ds_bpermute_b32 v8, v10, v7
	v_xor_b32_e32 v10, 2, v5
	s_delay_alu instid0(VALU_DEP_1) | instskip(SKIP_1) | instid1(VALU_DEP_1)
	v_cmp_lt_i32_e32 vcc_lo, v10, v6
	v_cndmask_b32_e32 v10, v5, v10, vcc_lo
	v_lshlrev_b32_e32 v10, 2, v10
	s_waitcnt lgkmcnt(0)
	v_max_f32_e32 v8, v8, v8
	s_delay_alu instid0(VALU_DEP_1) | instskip(SKIP_2) | instid1(VALU_DEP_1)
	v_max_f32_e32 v7, v7, v8
	ds_bpermute_b32 v8, v10, v7
	v_xor_b32_e32 v10, 1, v5
	v_cmp_lt_i32_e32 vcc_lo, v10, v6
	v_cndmask_b32_e32 v5, v5, v10, vcc_lo
	s_waitcnt lgkmcnt(0)
	s_delay_alu instid0(VALU_DEP_1) | instskip(NEXT) | instid1(VALU_DEP_1)
	v_dual_max_f32 v6, v8, v8 :: v_dual_lshlrev_b32 v5, 2, v5
	v_max_f32_e32 v6, v7, v6
	ds_bpermute_b32 v5, v5, v6
	s_waitcnt lgkmcnt(0)
	v_max_f32_e32 v5, v5, v5
	s_delay_alu instid0(VALU_DEP_1) | instskip(NEXT) | instid1(VALU_DEP_1)
	v_max_f32_e32 v5, v6, v5
	v_div_scale_f32 v6, null, 0x43e00000, 0x43e00000, v5
	v_div_scale_f32 v10, vcc_lo, v5, 0x43e00000, v5
	s_delay_alu instid0(VALU_DEP_2) | instskip(SKIP_2) | instid1(VALU_DEP_1)
	v_rcp_f32_e32 v7, v6
	s_waitcnt_depctr 0xfff
	v_fma_f32 v8, -v6, v7, 1.0
	v_fmac_f32_e32 v7, v8, v7
	s_delay_alu instid0(VALU_DEP_1) | instskip(NEXT) | instid1(VALU_DEP_1)
	v_mul_f32_e32 v8, v10, v7
	v_fma_f32 v12, -v6, v8, v10
	s_delay_alu instid0(VALU_DEP_1) | instskip(NEXT) | instid1(VALU_DEP_1)
	v_fmac_f32_e32 v8, v12, v7
	v_fma_f32 v6, -v6, v8, v10
	s_delay_alu instid0(VALU_DEP_1) | instskip(NEXT) | instid1(VALU_DEP_1)
	v_div_fmas_f32 v6, v6, v7, v8
	v_div_fixup_f32 v5, v6, 0x43e00000, v5
	v_and_b32_e32 v6, 15, v0
	s_delay_alu instid0(VALU_DEP_2) | instskip(NEXT) | instid1(VALU_DEP_2)
	v_max_f32_e32 v12, 0x800000, v5
	v_cmpx_eq_u32_e32 0, v6
	s_cbranch_execz .LBB14_7
; %bb.6:
	s_ashr_i32 s6, s9, 31
	v_lshrrev_b32_e32 v5, 4, v0
	s_lshr_b32 s6, s6, 30
	s_delay_alu instid0(SALU_CYCLE_1) | instskip(NEXT) | instid1(SALU_CYCLE_1)
	s_add_i32 s6, s9, s6
	s_ashr_i32 s6, s6, 2
	s_delay_alu instid0(VALU_DEP_1) | instid1(SALU_CYCLE_1)
	v_add_nc_u32_e32 v5, s6, v5
	s_delay_alu instid0(VALU_DEP_1) | instskip(NEXT) | instid1(VALU_DEP_1)
	v_ashrrev_i32_e32 v6, 31, v5
	v_lshlrev_b64 v[5:6], 2, v[5:6]
	s_delay_alu instid0(VALU_DEP_1) | instskip(NEXT) | instid1(VALU_DEP_2)
	v_add_co_u32 v5, vcc_lo, s4, v5
	v_add_co_ci_u32_e32 v6, vcc_lo, s5, v6, vcc_lo
	global_store_b32 v[5:6], v12, off
.LBB14_7:
	s_or_b32 exec_lo, exec_lo, s2
	v_cvt_f32_f16_e32 v1, v1
	s_mov_b32 s2, exec_lo
	s_delay_alu instid0(VALU_DEP_1) | instskip(NEXT) | instid1(VALU_DEP_1)
	v_div_scale_f32 v5, null, v12, v12, v1
	v_rcp_f32_e32 v6, v5
	s_waitcnt_depctr 0xfff
	v_fma_f32 v7, -v5, v6, 1.0
	s_delay_alu instid0(VALU_DEP_1) | instskip(SKIP_1) | instid1(VALU_DEP_1)
	v_fmac_f32_e32 v6, v7, v6
	v_div_scale_f32 v7, vcc_lo, v1, v12, v1
	v_mul_f32_e32 v8, v7, v6
	s_delay_alu instid0(VALU_DEP_1) | instskip(NEXT) | instid1(VALU_DEP_1)
	v_fma_f32 v10, -v5, v8, v7
	v_fmac_f32_e32 v8, v10, v6
	s_delay_alu instid0(VALU_DEP_1) | instskip(NEXT) | instid1(VALU_DEP_1)
	v_fma_f32 v5, -v5, v8, v7
	v_div_fmas_f32 v5, v5, v6, v8
	s_delay_alu instid0(VALU_DEP_1) | instskip(NEXT) | instid1(VALU_DEP_1)
	v_div_fixup_f32 v1, v5, v12, v1
	v_cvt_f16_f32_e32 v1, v1
	s_delay_alu instid0(VALU_DEP_1) | instskip(NEXT) | instid1(VALU_DEP_1)
	v_cvt_f32_f16_e32 v8, v1
	v_and_b32_e32 v15, 0x7f800000, v8
	v_lshrrev_b32_e32 v10, 24, v8
	v_dual_mov_b32 v6, 0 :: v_dual_and_b32 v5, 0x7fffff, v8
	s_delay_alu instid0(VALU_DEP_1) | instskip(NEXT) | instid1(VALU_DEP_1)
	v_dual_mov_b32 v16, v6 :: v_dual_and_b32 v1, 0x80, v10
	v_or_b32_e32 v7, 0x7e, v1
	s_delay_alu instid0(VALU_DEP_2)
	v_cmpx_ne_u64_e32 0x7f800000, v[15:16]
	s_xor_b32 s6, exec_lo, s2
	s_cbranch_execz .LBB14_25
; %bb.8:
	v_dual_mov_b32 v16, v6 :: v_dual_and_b32 v15, 0x7fffffff, v8
	s_mov_b32 s2, exec_lo
	s_delay_alu instid0(VALU_DEP_1)
	v_cmpx_gt_u64_e32 0x43e00001, v[15:16]
	s_xor_b32 s10, exec_lo, s2
	s_cbranch_execz .LBB14_22
; %bb.9:
	s_mov_b32 s11, exec_lo
	v_cmpx_ne_u32_e32 0, v8
	s_cbranch_execz .LBB14_21
; %bb.10:
	v_bfe_u32 v10, v8, 23, 8
	v_or_b32_e32 v16, 0x800000, v5
	s_delay_alu instid0(VALU_DEP_2) | instskip(SKIP_1) | instid1(VALU_DEP_2)
	v_sub_nc_u32_e32 v7, 0x79, v10
	v_cmp_gt_u32_e32 vcc_lo, 0x7a, v10
	v_cndmask_b32_e32 v7, 0, v7, vcc_lo
	v_cmp_eq_u32_e32 vcc_lo, 0, v10
	s_delay_alu instid0(VALU_DEP_2) | instskip(NEXT) | instid1(VALU_DEP_1)
	v_cndmask_b32_e64 v15, v7, 0x78, vcc_lo
	v_dual_cndmask_b32 v5, v16, v5 :: v_dual_add_nc_u32 v16, 19, v15
	v_add_nc_u32_e32 v7, 20, v15
	s_delay_alu instid0(VALU_DEP_1) | instskip(NEXT) | instid1(VALU_DEP_1)
	v_lshlrev_b64 v[7:8], v7, -1
	v_not_b32_e32 v18, v7
	s_delay_alu instid0(VALU_DEP_2) | instskip(SKIP_1) | instid1(VALU_DEP_3)
	v_not_b32_e32 v17, v8
	v_lshlrev_b64 v[7:8], v16, 1
	v_and_b32_e32 v16, v5, v18
	v_lshrrev_b64 v[5:6], v15, v[5:6]
	s_delay_alu instid0(VALU_DEP_4) | instskip(NEXT) | instid1(VALU_DEP_1)
	v_and_b32_e32 v17, 0, v17
	v_cmp_eq_u64_e64 s2, v[16:17], v[7:8]
	s_delay_alu instid0(VALU_DEP_3) | instskip(NEXT) | instid1(VALU_DEP_2)
	v_dual_mov_b32 v8, v6 :: v_dual_mov_b32 v7, v5
	s_and_saveexec_b32 s12, s2
; %bb.11:
	v_bfe_u32 v7, v5, 20, 1
	s_delay_alu instid0(VALU_DEP_1) | instskip(NEXT) | instid1(VALU_DEP_1)
	v_add_co_u32 v7, s2, v5, v7
	v_add_co_u32 v7, s2, v7, -1
; %bb.12:
	s_or_b32 exec_lo, exec_lo, s12
	v_add_nc_u32_e32 v8, 0xffffff81, v10
	v_lshrrev_b32_e32 v10, 23, v5
	s_delay_alu instid0(VALU_DEP_3) | instskip(SKIP_1) | instid1(VALU_DEP_3)
	v_and_b32_e32 v7, 0xfffff, v7
	s_mov_b32 s2, exec_lo
	v_cndmask_b32_e64 v8, v8, 0xffffff82, vcc_lo
	s_delay_alu instid0(VALU_DEP_2) | instskip(SKIP_1) | instid1(VALU_DEP_3)
	v_add_co_u32 v5, vcc_lo, v7, v5
	v_add_co_ci_u32_e32 v6, vcc_lo, 0, v6, vcc_lo
	v_add3_u32 v8, v15, v8, v10
                                        ; implicit-def: $vgpr7
	s_delay_alu instid0(VALU_DEP_1) | instskip(NEXT) | instid1(VALU_DEP_1)
	v_add_nc_u32_e32 v10, 6, v8
	v_cmpx_ne_u32_e32 0, v10
	s_xor_b32 s2, exec_lo, s2
; %bb.13:
	v_cmp_lt_u64_e32 vcc_lo, 0xffffff, v[5:6]
	v_add_nc_u32_e32 v7, 7, v8
	v_cndmask_b32_e64 v8, 0, 1, vcc_lo
	s_delay_alu instid0(VALU_DEP_2) | instskip(NEXT) | instid1(VALU_DEP_2)
	v_cndmask_b32_e32 v7, v10, v7, vcc_lo
	v_lshrrev_b64 v[5:6], v8, v[5:6]
; %bb.14:
	s_and_not1_saveexec_b32 s2, s2
; %bb.15:
	s_delay_alu instid0(VALU_DEP_1)
	v_bfe_u32 v7, v5, 23, 1
; %bb.16:
	s_or_b32 exec_lo, exec_lo, s2
	s_delay_alu instid0(VALU_DEP_2) | instskip(NEXT) | instid1(VALU_DEP_2)
	v_lshrrev_b64 v[5:6], 20, v[5:6]
	v_cmp_gt_i32_e32 vcc_lo, 16, v7
	v_cmp_ne_u32_e64 s2, 0, v7
	s_delay_alu instid0(VALU_DEP_3) | instskip(NEXT) | instid1(VALU_DEP_1)
	v_dual_cndmask_b32 v6, 0, v6 :: v_dual_cndmask_b32 v5, 7, v5
	v_cmp_ne_u64_e32 vcc_lo, 0, v[5:6]
                                        ; implicit-def: $vgpr6
	s_delay_alu instid0(VALU_DEP_3) | instskip(NEXT) | instid1(SALU_CYCLE_1)
	s_or_b32 s2, s2, vcc_lo
	s_and_saveexec_b32 s12, s2
	s_delay_alu instid0(SALU_CYCLE_1)
	s_xor_b32 s2, exec_lo, s12
; %bb.17:
	v_min_i32_e32 v6, 15, v7
	s_delay_alu instid0(VALU_DEP_1) | instskip(NEXT) | instid1(VALU_DEP_1)
	v_lshl_or_b32 v1, v6, 3, v1
	v_and_or_b32 v6, v5, 7, v1
                                        ; implicit-def: $vgpr1
; %bb.18:
	s_and_not1_saveexec_b32 s2, s2
; %bb.19:
	v_mov_b32_e32 v6, v1
; %bb.20:
	s_or_b32 exec_lo, exec_lo, s2
.LBB14_21:
	s_delay_alu instid0(SALU_CYCLE_1)
	s_or_b32 exec_lo, exec_lo, s11
                                        ; implicit-def: $vgpr7
.LBB14_22:
	s_and_not1_saveexec_b32 s2, s10
; %bb.23:
	v_mov_b32_e32 v6, v7
; %bb.24:
	s_or_b32 exec_lo, exec_lo, s2
                                        ; implicit-def: $vgpr10
                                        ; implicit-def: $vgpr7
.LBB14_25:
	s_and_not1_saveexec_b32 s2, s6
; %bb.26:
	s_delay_alu instid0(VALU_DEP_1) | instskip(SKIP_1) | instid1(VALU_DEP_1)
	v_cmp_eq_u64_e32 vcc_lo, 0, v[5:6]
	v_or_b32_e32 v1, 0x7f, v10
	v_cndmask_b32_e32 v6, v1, v7, vcc_lo
; %bb.27:
	s_or_b32 exec_lo, exec_lo, s2
	v_cvt_f32_f16_e32 v1, v9
	s_mov_b32 s2, exec_lo
	s_delay_alu instid0(VALU_DEP_1) | instskip(NEXT) | instid1(VALU_DEP_1)
	v_div_scale_f32 v5, null, v12, v12, v1
	v_rcp_f32_e32 v7, v5
	s_waitcnt_depctr 0xfff
	v_fma_f32 v8, -v5, v7, 1.0
	s_delay_alu instid0(VALU_DEP_1) | instskip(SKIP_1) | instid1(VALU_DEP_1)
	v_fmac_f32_e32 v7, v8, v7
	v_div_scale_f32 v8, vcc_lo, v1, v12, v1
	v_mul_f32_e32 v9, v8, v7
	s_delay_alu instid0(VALU_DEP_1) | instskip(NEXT) | instid1(VALU_DEP_1)
	v_fma_f32 v10, -v5, v9, v8
	v_fmac_f32_e32 v9, v10, v7
	s_delay_alu instid0(VALU_DEP_1) | instskip(SKIP_1) | instid1(VALU_DEP_1)
	v_fma_f32 v5, -v5, v9, v8
	v_mov_b32_e32 v8, 0
	v_mov_b32_e32 v16, v8
	s_delay_alu instid0(VALU_DEP_3) | instskip(NEXT) | instid1(VALU_DEP_1)
	v_div_fmas_f32 v5, v5, v7, v9
	v_div_fixup_f32 v1, v5, v12, v1
	s_delay_alu instid0(VALU_DEP_1) | instskip(NEXT) | instid1(VALU_DEP_1)
	v_cvt_f16_f32_e32 v1, v1
	v_cvt_f32_f16_e32 v9, v1
	s_delay_alu instid0(VALU_DEP_1) | instskip(SKIP_2) | instid1(VALU_DEP_3)
	v_lshrrev_b32_e32 v10, 24, v9
	v_and_b32_e32 v15, 0x7f800000, v9
	v_and_b32_e32 v7, 0x7fffff, v9
	;; [unrolled: 1-line block ×3, first 2 shown]
	s_delay_alu instid0(VALU_DEP_1) | instskip(NEXT) | instid1(VALU_DEP_4)
	v_or_b32_e32 v5, 0x7e, v1
	v_cmpx_ne_u64_e32 0x7f800000, v[15:16]
	s_xor_b32 s6, exec_lo, s2
	s_cbranch_execz .LBB14_43
; %bb.28:
	v_dual_mov_b32 v16, v8 :: v_dual_and_b32 v15, 0x7fffffff, v9
	s_mov_b32 s2, exec_lo
	s_delay_alu instid0(VALU_DEP_1)
	v_cmpx_gt_u64_e32 0x43e00001, v[15:16]
	s_xor_b32 s10, exec_lo, s2
	s_cbranch_execz .LBB14_42
; %bb.29:
	v_mov_b32_e32 v5, 0
	s_mov_b32 s11, exec_lo
	v_cmpx_ne_u32_e32 0, v9
	s_cbranch_execz .LBB14_41
; %bb.30:
	v_bfe_u32 v5, v9, 23, 8
	v_or_b32_e32 v16, 0x800000, v7
	s_delay_alu instid0(VALU_DEP_2) | instskip(SKIP_1) | instid1(VALU_DEP_2)
	v_sub_nc_u32_e32 v9, 0x79, v5
	v_cmp_gt_u32_e32 vcc_lo, 0x7a, v5
	v_cndmask_b32_e32 v9, 0, v9, vcc_lo
	v_cmp_eq_u32_e32 vcc_lo, 0, v5
	s_delay_alu instid0(VALU_DEP_2) | instskip(SKIP_1) | instid1(VALU_DEP_2)
	v_cndmask_b32_e64 v15, v9, 0x78, vcc_lo
	v_cndmask_b32_e32 v7, v16, v7, vcc_lo
	v_add_nc_u32_e32 v16, 19, v15
	v_add_nc_u32_e32 v9, 20, v15
	s_delay_alu instid0(VALU_DEP_1) | instskip(NEXT) | instid1(VALU_DEP_1)
	v_lshlrev_b64 v[9:10], v9, -1
	v_not_b32_e32 v18, v9
	s_delay_alu instid0(VALU_DEP_2) | instskip(SKIP_1) | instid1(VALU_DEP_3)
	v_not_b32_e32 v17, v10
	v_lshlrev_b64 v[9:10], v16, 1
	v_and_b32_e32 v16, v7, v18
	v_lshrrev_b64 v[7:8], v15, v[7:8]
	s_delay_alu instid0(VALU_DEP_4) | instskip(NEXT) | instid1(VALU_DEP_1)
	v_and_b32_e32 v17, 0, v17
	v_cmp_eq_u64_e64 s2, v[16:17], v[9:10]
	s_delay_alu instid0(VALU_DEP_3) | instskip(NEXT) | instid1(VALU_DEP_2)
	v_dual_mov_b32 v10, v8 :: v_dual_mov_b32 v9, v7
	s_and_saveexec_b32 s12, s2
; %bb.31:
	v_bfe_u32 v9, v7, 20, 1
	s_delay_alu instid0(VALU_DEP_1) | instskip(NEXT) | instid1(VALU_DEP_1)
	v_add_co_u32 v9, s2, v7, v9
	v_add_co_u32 v9, s2, v9, -1
; %bb.32:
	s_or_b32 exec_lo, exec_lo, s12
	v_add_nc_u32_e32 v5, 0xffffff81, v5
	v_lshrrev_b32_e32 v10, 23, v7
	s_delay_alu instid0(VALU_DEP_3) | instskip(SKIP_1) | instid1(VALU_DEP_3)
	v_and_b32_e32 v9, 0xfffff, v9
	s_mov_b32 s2, exec_lo
	v_cndmask_b32_e64 v5, v5, 0xffffff82, vcc_lo
	s_delay_alu instid0(VALU_DEP_2) | instskip(SKIP_1) | instid1(VALU_DEP_3)
	v_add_co_u32 v7, vcc_lo, v9, v7
	v_add_co_ci_u32_e32 v8, vcc_lo, 0, v8, vcc_lo
	v_add3_u32 v5, v15, v5, v10
                                        ; implicit-def: $vgpr9
	s_delay_alu instid0(VALU_DEP_1) | instskip(NEXT) | instid1(VALU_DEP_1)
	v_add_nc_u32_e32 v10, 6, v5
	v_cmpx_ne_u32_e32 0, v10
	s_xor_b32 s2, exec_lo, s2
; %bb.33:
	v_cmp_lt_u64_e32 vcc_lo, 0xffffff, v[7:8]
	v_add_nc_u32_e32 v5, 7, v5
	s_delay_alu instid0(VALU_DEP_1) | instskip(SKIP_1) | instid1(VALU_DEP_1)
	v_cndmask_b32_e32 v9, v10, v5, vcc_lo
	v_cndmask_b32_e64 v5, 0, 1, vcc_lo
	v_lshrrev_b64 v[7:8], v5, v[7:8]
; %bb.34:
	s_and_not1_saveexec_b32 s2, s2
; %bb.35:
	s_delay_alu instid0(VALU_DEP_1)
	v_bfe_u32 v9, v7, 23, 1
; %bb.36:
	s_or_b32 exec_lo, exec_lo, s2
	s_delay_alu instid0(VALU_DEP_2) | instskip(NEXT) | instid1(VALU_DEP_2)
	v_lshrrev_b64 v[7:8], 20, v[7:8]
	v_cmp_gt_i32_e32 vcc_lo, 16, v9
	v_cmp_ne_u32_e64 s2, 0, v9
                                        ; implicit-def: $vgpr5
	s_delay_alu instid0(VALU_DEP_3) | instskip(NEXT) | instid1(VALU_DEP_1)
	v_dual_cndmask_b32 v8, 0, v8 :: v_dual_cndmask_b32 v7, 7, v7
	v_cmp_ne_u64_e32 vcc_lo, 0, v[7:8]
	s_delay_alu instid0(VALU_DEP_3) | instskip(NEXT) | instid1(SALU_CYCLE_1)
	s_or_b32 s2, s2, vcc_lo
	s_and_saveexec_b32 s12, s2
	s_delay_alu instid0(SALU_CYCLE_1)
	s_xor_b32 s2, exec_lo, s12
; %bb.37:
	v_min_i32_e32 v5, 15, v9
	s_delay_alu instid0(VALU_DEP_1) | instskip(NEXT) | instid1(VALU_DEP_1)
	v_lshl_or_b32 v1, v5, 3, v1
	v_and_or_b32 v5, v7, 7, v1
                                        ; implicit-def: $vgpr1
; %bb.38:
	s_and_not1_saveexec_b32 s2, s2
; %bb.39:
	v_mov_b32_e32 v5, v1
; %bb.40:
	s_or_b32 exec_lo, exec_lo, s2
.LBB14_41:
	s_delay_alu instid0(SALU_CYCLE_1)
	s_or_b32 exec_lo, exec_lo, s11
.LBB14_42:
	s_and_not1_saveexec_b32 s2, s10
	s_delay_alu instid0(SALU_CYCLE_1)
	s_or_b32 exec_lo, exec_lo, s2
                                        ; implicit-def: $vgpr10
                                        ; implicit-def: $vgpr7_vgpr8
.LBB14_43:
	s_and_not1_saveexec_b32 s2, s6
; %bb.44:
	v_cmp_eq_u64_e32 vcc_lo, 0, v[7:8]
	v_or_b32_e32 v1, 0x7f, v10
	s_delay_alu instid0(VALU_DEP_1)
	v_cndmask_b32_e32 v5, v1, v5, vcc_lo
; %bb.45:
	s_or_b32 exec_lo, exec_lo, s2
	v_cvt_f32_f16_e32 v1, v2
	s_mov_b32 s2, exec_lo
	s_delay_alu instid0(VALU_DEP_1) | instskip(NEXT) | instid1(VALU_DEP_1)
	v_div_scale_f32 v2, null, v12, v12, v1
	v_rcp_f32_e32 v7, v2
	s_waitcnt_depctr 0xfff
	v_fma_f32 v8, -v2, v7, 1.0
	s_delay_alu instid0(VALU_DEP_1) | instskip(SKIP_1) | instid1(VALU_DEP_1)
	v_fmac_f32_e32 v7, v8, v7
	v_div_scale_f32 v8, vcc_lo, v1, v12, v1
	v_mul_f32_e32 v9, v8, v7
	s_delay_alu instid0(VALU_DEP_1) | instskip(NEXT) | instid1(VALU_DEP_1)
	v_fma_f32 v10, -v2, v9, v8
	v_fmac_f32_e32 v9, v10, v7
	s_delay_alu instid0(VALU_DEP_1) | instskip(NEXT) | instid1(VALU_DEP_1)
	v_fma_f32 v2, -v2, v9, v8
	v_div_fmas_f32 v2, v2, v7, v9
	s_delay_alu instid0(VALU_DEP_1) | instskip(SKIP_1) | instid1(VALU_DEP_2)
	v_div_fixup_f32 v1, v2, v12, v1
	v_mov_b32_e32 v2, 0
	v_cvt_f16_f32_e32 v1, v1
	s_delay_alu instid0(VALU_DEP_2) | instskip(NEXT) | instid1(VALU_DEP_2)
	v_mov_b32_e32 v16, v2
	v_cvt_f32_f16_e32 v7, v1
	s_delay_alu instid0(VALU_DEP_1) | instskip(SKIP_2) | instid1(VALU_DEP_3)
	v_lshrrev_b32_e32 v8, 24, v7
	v_and_b32_e32 v15, 0x7f800000, v7
	v_and_b32_e32 v1, 0x7fffff, v7
	;; [unrolled: 1-line block ×3, first 2 shown]
	s_delay_alu instid0(VALU_DEP_1) | instskip(NEXT) | instid1(VALU_DEP_4)
	v_or_b32_e32 v9, 0x7e, v10
	v_cmpx_ne_u64_e32 0x7f800000, v[15:16]
	s_xor_b32 s6, exec_lo, s2
	s_cbranch_execz .LBB14_61
; %bb.46:
	v_dual_mov_b32 v16, v2 :: v_dual_and_b32 v15, 0x7fffffff, v7
	s_mov_b32 s2, exec_lo
	s_delay_alu instid0(VALU_DEP_1)
	v_cmpx_gt_u64_e32 0x43e00001, v[15:16]
	s_xor_b32 s10, exec_lo, s2
	s_cbranch_execz .LBB14_60
; %bb.47:
	v_mov_b32_e32 v9, 0
	s_mov_b32 s11, exec_lo
	v_cmpx_ne_u32_e32 0, v7
	s_cbranch_execz .LBB14_59
; %bb.48:
	v_bfe_u32 v9, v7, 23, 8
	v_or_b32_e32 v16, 0x800000, v1
	s_delay_alu instid0(VALU_DEP_2) | instskip(SKIP_1) | instid1(VALU_DEP_2)
	v_sub_nc_u32_e32 v7, 0x79, v9
	v_cmp_gt_u32_e32 vcc_lo, 0x7a, v9
	v_cndmask_b32_e32 v7, 0, v7, vcc_lo
	v_cmp_eq_u32_e32 vcc_lo, 0, v9
	s_delay_alu instid0(VALU_DEP_2) | instskip(NEXT) | instid1(VALU_DEP_1)
	v_cndmask_b32_e64 v15, v7, 0x78, vcc_lo
	v_dual_cndmask_b32 v1, v16, v1 :: v_dual_add_nc_u32 v16, 19, v15
	v_add_nc_u32_e32 v7, 20, v15
	s_delay_alu instid0(VALU_DEP_1) | instskip(NEXT) | instid1(VALU_DEP_1)
	v_lshlrev_b64 v[7:8], v7, -1
	v_not_b32_e32 v18, v7
	s_delay_alu instid0(VALU_DEP_2) | instskip(SKIP_1) | instid1(VALU_DEP_3)
	v_not_b32_e32 v17, v8
	v_lshlrev_b64 v[7:8], v16, 1
	v_and_b32_e32 v16, v1, v18
	v_lshrrev_b64 v[1:2], v15, v[1:2]
	s_delay_alu instid0(VALU_DEP_4) | instskip(NEXT) | instid1(VALU_DEP_1)
	v_and_b32_e32 v17, 0, v17
	v_cmp_eq_u64_e64 s2, v[16:17], v[7:8]
	s_delay_alu instid0(VALU_DEP_3) | instskip(NEXT) | instid1(VALU_DEP_2)
	v_dual_mov_b32 v8, v2 :: v_dual_mov_b32 v7, v1
	s_and_saveexec_b32 s12, s2
; %bb.49:
	v_bfe_u32 v7, v1, 20, 1
	s_delay_alu instid0(VALU_DEP_1) | instskip(NEXT) | instid1(VALU_DEP_1)
	v_add_co_u32 v7, s2, v1, v7
	v_add_co_u32 v7, s2, v7, -1
; %bb.50:
	s_or_b32 exec_lo, exec_lo, s12
	v_add_nc_u32_e32 v8, 0xffffff81, v9
	v_lshrrev_b32_e32 v9, 23, v1
	s_delay_alu instid0(VALU_DEP_3) | instskip(SKIP_1) | instid1(VALU_DEP_3)
	v_and_b32_e32 v7, 0xfffff, v7
	s_mov_b32 s2, exec_lo
	v_cndmask_b32_e64 v8, v8, 0xffffff82, vcc_lo
	s_delay_alu instid0(VALU_DEP_2) | instskip(SKIP_1) | instid1(VALU_DEP_3)
	v_add_co_u32 v1, vcc_lo, v7, v1
	v_add_co_ci_u32_e32 v2, vcc_lo, 0, v2, vcc_lo
	v_add3_u32 v8, v15, v8, v9
                                        ; implicit-def: $vgpr7
	s_delay_alu instid0(VALU_DEP_1) | instskip(NEXT) | instid1(VALU_DEP_1)
	v_add_nc_u32_e32 v9, 6, v8
	v_cmpx_ne_u32_e32 0, v9
	s_xor_b32 s2, exec_lo, s2
; %bb.51:
	v_cmp_lt_u64_e32 vcc_lo, 0xffffff, v[1:2]
	v_add_nc_u32_e32 v7, 7, v8
	v_cndmask_b32_e64 v8, 0, 1, vcc_lo
	s_delay_alu instid0(VALU_DEP_2) | instskip(NEXT) | instid1(VALU_DEP_2)
	v_cndmask_b32_e32 v7, v9, v7, vcc_lo
	v_lshrrev_b64 v[1:2], v8, v[1:2]
; %bb.52:
	s_and_not1_saveexec_b32 s2, s2
; %bb.53:
	s_delay_alu instid0(VALU_DEP_1)
	v_bfe_u32 v7, v1, 23, 1
; %bb.54:
	s_or_b32 exec_lo, exec_lo, s2
	s_delay_alu instid0(VALU_DEP_2) | instskip(NEXT) | instid1(VALU_DEP_2)
	v_lshrrev_b64 v[1:2], 20, v[1:2]
	v_cmp_gt_i32_e32 vcc_lo, 16, v7
	v_cmp_ne_u32_e64 s2, 0, v7
                                        ; implicit-def: $vgpr9
	s_delay_alu instid0(VALU_DEP_3) | instskip(NEXT) | instid1(VALU_DEP_1)
	v_dual_cndmask_b32 v2, 0, v2 :: v_dual_cndmask_b32 v1, 7, v1
	v_cmp_ne_u64_e32 vcc_lo, 0, v[1:2]
	s_delay_alu instid0(VALU_DEP_3) | instskip(NEXT) | instid1(SALU_CYCLE_1)
	s_or_b32 s2, s2, vcc_lo
	s_and_saveexec_b32 s12, s2
	s_delay_alu instid0(SALU_CYCLE_1)
	s_xor_b32 s2, exec_lo, s12
; %bb.55:
	v_min_i32_e32 v2, 15, v7
	s_delay_alu instid0(VALU_DEP_1) | instskip(NEXT) | instid1(VALU_DEP_1)
	v_lshl_or_b32 v2, v2, 3, v10
                                        ; implicit-def: $vgpr10
	v_and_or_b32 v9, v1, 7, v2
; %bb.56:
	s_and_not1_saveexec_b32 s2, s2
; %bb.57:
	v_mov_b32_e32 v9, v10
; %bb.58:
	s_or_b32 exec_lo, exec_lo, s2
.LBB14_59:
	s_delay_alu instid0(SALU_CYCLE_1)
	s_or_b32 exec_lo, exec_lo, s11
.LBB14_60:
	s_and_not1_saveexec_b32 s2, s10
	s_delay_alu instid0(SALU_CYCLE_1)
	s_or_b32 exec_lo, exec_lo, s2
                                        ; implicit-def: $vgpr8
                                        ; implicit-def: $vgpr1_vgpr2
.LBB14_61:
	s_and_not1_saveexec_b32 s2, s6
; %bb.62:
	v_cmp_eq_u64_e32 vcc_lo, 0, v[1:2]
	v_or_b32_e32 v7, 0x7f, v8
	s_delay_alu instid0(VALU_DEP_1)
	v_cndmask_b32_e32 v9, v7, v9, vcc_lo
; %bb.63:
	s_or_b32 exec_lo, exec_lo, s2
	v_cvt_f32_f16_e32 v1, v14
	s_mov_b32 s2, exec_lo
	s_delay_alu instid0(VALU_DEP_1) | instskip(NEXT) | instid1(VALU_DEP_1)
	v_div_scale_f32 v2, null, v12, v12, v1
	v_rcp_f32_e32 v7, v2
	s_waitcnt_depctr 0xfff
	v_fma_f32 v8, -v2, v7, 1.0
	s_delay_alu instid0(VALU_DEP_1) | instskip(SKIP_1) | instid1(VALU_DEP_1)
	v_fmac_f32_e32 v7, v8, v7
	v_div_scale_f32 v8, vcc_lo, v1, v12, v1
	v_mul_f32_e32 v10, v8, v7
	s_delay_alu instid0(VALU_DEP_1) | instskip(NEXT) | instid1(VALU_DEP_1)
	v_fma_f32 v14, -v2, v10, v8
	v_fmac_f32_e32 v10, v14, v7
	s_delay_alu instid0(VALU_DEP_1) | instskip(NEXT) | instid1(VALU_DEP_1)
	v_fma_f32 v2, -v2, v10, v8
	v_div_fmas_f32 v2, v2, v7, v10
	s_delay_alu instid0(VALU_DEP_1) | instskip(SKIP_1) | instid1(VALU_DEP_2)
	v_div_fixup_f32 v1, v2, v12, v1
	v_mov_b32_e32 v2, 0
	v_cvt_f16_f32_e32 v1, v1
	s_delay_alu instid0(VALU_DEP_2) | instskip(NEXT) | instid1(VALU_DEP_2)
	v_mov_b32_e32 v16, v2
	v_cvt_f32_f16_e32 v7, v1
	s_delay_alu instid0(VALU_DEP_1) | instskip(SKIP_2) | instid1(VALU_DEP_3)
	v_lshrrev_b32_e32 v8, 24, v7
	v_and_b32_e32 v15, 0x7f800000, v7
	v_and_b32_e32 v1, 0x7fffff, v7
	;; [unrolled: 1-line block ×3, first 2 shown]
	s_delay_alu instid0(VALU_DEP_1) | instskip(NEXT) | instid1(VALU_DEP_4)
	v_or_b32_e32 v10, 0x7e, v14
	v_cmpx_ne_u64_e32 0x7f800000, v[15:16]
	s_xor_b32 s6, exec_lo, s2
	s_cbranch_execz .LBB14_79
; %bb.64:
	v_dual_mov_b32 v16, v2 :: v_dual_and_b32 v15, 0x7fffffff, v7
	s_mov_b32 s2, exec_lo
	s_delay_alu instid0(VALU_DEP_1)
	v_cmpx_gt_u64_e32 0x43e00001, v[15:16]
	s_xor_b32 s10, exec_lo, s2
	s_cbranch_execz .LBB14_78
; %bb.65:
	v_mov_b32_e32 v10, 0
	s_mov_b32 s11, exec_lo
	v_cmpx_ne_u32_e32 0, v7
	s_cbranch_execz .LBB14_77
; %bb.66:
	v_bfe_u32 v10, v7, 23, 8
	v_or_b32_e32 v16, 0x800000, v1
	s_delay_alu instid0(VALU_DEP_2) | instskip(SKIP_1) | instid1(VALU_DEP_2)
	v_sub_nc_u32_e32 v7, 0x79, v10
	v_cmp_gt_u32_e32 vcc_lo, 0x7a, v10
	v_cndmask_b32_e32 v7, 0, v7, vcc_lo
	v_cmp_eq_u32_e32 vcc_lo, 0, v10
	s_delay_alu instid0(VALU_DEP_2) | instskip(NEXT) | instid1(VALU_DEP_1)
	v_cndmask_b32_e64 v15, v7, 0x78, vcc_lo
	v_dual_cndmask_b32 v1, v16, v1 :: v_dual_add_nc_u32 v16, 19, v15
	v_add_nc_u32_e32 v7, 20, v15
	s_delay_alu instid0(VALU_DEP_1) | instskip(NEXT) | instid1(VALU_DEP_1)
	v_lshlrev_b64 v[7:8], v7, -1
	v_not_b32_e32 v18, v7
	s_delay_alu instid0(VALU_DEP_2) | instskip(SKIP_1) | instid1(VALU_DEP_3)
	v_not_b32_e32 v17, v8
	v_lshlrev_b64 v[7:8], v16, 1
	v_and_b32_e32 v16, v1, v18
	v_lshrrev_b64 v[1:2], v15, v[1:2]
	s_delay_alu instid0(VALU_DEP_4) | instskip(NEXT) | instid1(VALU_DEP_1)
	v_and_b32_e32 v17, 0, v17
	v_cmp_eq_u64_e64 s2, v[16:17], v[7:8]
	s_delay_alu instid0(VALU_DEP_3) | instskip(NEXT) | instid1(VALU_DEP_2)
	v_dual_mov_b32 v8, v2 :: v_dual_mov_b32 v7, v1
	s_and_saveexec_b32 s12, s2
; %bb.67:
	v_bfe_u32 v7, v1, 20, 1
	s_delay_alu instid0(VALU_DEP_1) | instskip(NEXT) | instid1(VALU_DEP_1)
	v_add_co_u32 v7, s2, v1, v7
	v_add_co_u32 v7, s2, v7, -1
; %bb.68:
	s_or_b32 exec_lo, exec_lo, s12
	v_add_nc_u32_e32 v8, 0xffffff81, v10
	v_lshrrev_b32_e32 v10, 23, v1
	s_delay_alu instid0(VALU_DEP_3) | instskip(SKIP_1) | instid1(VALU_DEP_3)
	v_and_b32_e32 v7, 0xfffff, v7
	s_mov_b32 s2, exec_lo
	v_cndmask_b32_e64 v8, v8, 0xffffff82, vcc_lo
	s_delay_alu instid0(VALU_DEP_2) | instskip(SKIP_1) | instid1(VALU_DEP_3)
	v_add_co_u32 v1, vcc_lo, v7, v1
	v_add_co_ci_u32_e32 v2, vcc_lo, 0, v2, vcc_lo
	v_add3_u32 v8, v15, v8, v10
                                        ; implicit-def: $vgpr7
	s_delay_alu instid0(VALU_DEP_1) | instskip(NEXT) | instid1(VALU_DEP_1)
	v_add_nc_u32_e32 v10, 6, v8
	v_cmpx_ne_u32_e32 0, v10
	s_xor_b32 s2, exec_lo, s2
; %bb.69:
	v_cmp_lt_u64_e32 vcc_lo, 0xffffff, v[1:2]
	v_add_nc_u32_e32 v7, 7, v8
	v_cndmask_b32_e64 v8, 0, 1, vcc_lo
	s_delay_alu instid0(VALU_DEP_2) | instskip(NEXT) | instid1(VALU_DEP_2)
	v_cndmask_b32_e32 v7, v10, v7, vcc_lo
	v_lshrrev_b64 v[1:2], v8, v[1:2]
; %bb.70:
	s_and_not1_saveexec_b32 s2, s2
; %bb.71:
	s_delay_alu instid0(VALU_DEP_1)
	v_bfe_u32 v7, v1, 23, 1
; %bb.72:
	s_or_b32 exec_lo, exec_lo, s2
	s_delay_alu instid0(VALU_DEP_2) | instskip(NEXT) | instid1(VALU_DEP_2)
	v_lshrrev_b64 v[1:2], 20, v[1:2]
	v_cmp_gt_i32_e32 vcc_lo, 16, v7
	v_cmp_ne_u32_e64 s2, 0, v7
                                        ; implicit-def: $vgpr10
	s_delay_alu instid0(VALU_DEP_3) | instskip(NEXT) | instid1(VALU_DEP_1)
	v_dual_cndmask_b32 v2, 0, v2 :: v_dual_cndmask_b32 v1, 7, v1
	v_cmp_ne_u64_e32 vcc_lo, 0, v[1:2]
	s_delay_alu instid0(VALU_DEP_3) | instskip(NEXT) | instid1(SALU_CYCLE_1)
	s_or_b32 s2, s2, vcc_lo
	s_and_saveexec_b32 s12, s2
	s_delay_alu instid0(SALU_CYCLE_1)
	s_xor_b32 s2, exec_lo, s12
; %bb.73:
	v_min_i32_e32 v2, 15, v7
	s_delay_alu instid0(VALU_DEP_1) | instskip(NEXT) | instid1(VALU_DEP_1)
	v_lshl_or_b32 v2, v2, 3, v14
                                        ; implicit-def: $vgpr14
	v_and_or_b32 v10, v1, 7, v2
; %bb.74:
	s_and_not1_saveexec_b32 s2, s2
; %bb.75:
	v_mov_b32_e32 v10, v14
; %bb.76:
	s_or_b32 exec_lo, exec_lo, s2
.LBB14_77:
	s_delay_alu instid0(SALU_CYCLE_1)
	s_or_b32 exec_lo, exec_lo, s11
.LBB14_78:
	s_and_not1_saveexec_b32 s2, s10
	s_delay_alu instid0(SALU_CYCLE_1)
	s_or_b32 exec_lo, exec_lo, s2
                                        ; implicit-def: $vgpr8
                                        ; implicit-def: $vgpr1_vgpr2
.LBB14_79:
	s_and_not1_saveexec_b32 s2, s6
; %bb.80:
	v_cmp_eq_u64_e32 vcc_lo, 0, v[1:2]
	v_or_b32_e32 v7, 0x7f, v8
	s_delay_alu instid0(VALU_DEP_1)
	v_cndmask_b32_e32 v10, v7, v10, vcc_lo
; %bb.81:
	s_or_b32 exec_lo, exec_lo, s2
	v_cvt_f32_f16_e32 v1, v3
	s_delay_alu instid0(VALU_DEP_1) | instskip(NEXT) | instid1(VALU_DEP_1)
	v_div_scale_f32 v2, null, v12, v12, v1
	v_rcp_f32_e32 v3, v2
	s_waitcnt_depctr 0xfff
	v_fma_f32 v7, -v2, v3, 1.0
	s_delay_alu instid0(VALU_DEP_1) | instskip(SKIP_1) | instid1(VALU_DEP_1)
	v_fmac_f32_e32 v3, v7, v3
	v_div_scale_f32 v7, vcc_lo, v1, v12, v1
	v_mul_f32_e32 v8, v7, v3
	s_delay_alu instid0(VALU_DEP_1) | instskip(NEXT) | instid1(VALU_DEP_1)
	v_fma_f32 v14, -v2, v8, v7
	v_fmac_f32_e32 v8, v14, v3
	s_delay_alu instid0(VALU_DEP_1) | instskip(NEXT) | instid1(VALU_DEP_1)
	v_fma_f32 v2, -v2, v8, v7
	v_div_fmas_f32 v2, v2, v3, v8
	s_delay_alu instid0(VALU_DEP_1) | instskip(SKIP_1) | instid1(VALU_DEP_2)
	v_div_fixup_f32 v1, v2, v12, v1
	v_mov_b32_e32 v2, 0
	v_cvt_f16_f32_e32 v1, v1
	s_delay_alu instid0(VALU_DEP_2) | instskip(NEXT) | instid1(VALU_DEP_2)
	v_mov_b32_e32 v15, v2
	v_cvt_f32_f16_e32 v7, v1
	s_delay_alu instid0(VALU_DEP_1) | instskip(SKIP_2) | instid1(VALU_DEP_3)
	v_lshrrev_b32_e32 v8, 24, v7
	v_and_b32_e32 v14, 0x7f800000, v7
	v_and_b32_e32 v1, 0x7fffff, v7
	;; [unrolled: 1-line block ×3, first 2 shown]
	s_delay_alu instid0(VALU_DEP_3) | instskip(NEXT) | instid1(VALU_DEP_2)
	v_cmp_ne_u64_e32 vcc_lo, 0x7f800000, v[14:15]
	v_or_b32_e32 v14, 0x7e, v3
	s_and_saveexec_b32 s2, vcc_lo
	s_delay_alu instid0(SALU_CYCLE_1)
	s_xor_b32 s6, exec_lo, s2
	s_cbranch_execz .LBB14_97
; %bb.82:
	v_dual_mov_b32 v16, v2 :: v_dual_and_b32 v15, 0x7fffffff, v7
	s_mov_b32 s2, exec_lo
	s_delay_alu instid0(VALU_DEP_1)
	v_cmpx_gt_u64_e32 0x43e00001, v[15:16]
	s_xor_b32 s10, exec_lo, s2
	s_cbranch_execz .LBB14_96
; %bb.83:
	v_mov_b32_e32 v14, 0
	s_mov_b32 s11, exec_lo
	v_cmpx_ne_u32_e32 0, v7
	s_cbranch_execz .LBB14_95
; %bb.84:
	v_bfe_u32 v14, v7, 23, 8
	v_or_b32_e32 v16, 0x800000, v1
	s_delay_alu instid0(VALU_DEP_2) | instskip(SKIP_1) | instid1(VALU_DEP_2)
	v_sub_nc_u32_e32 v7, 0x79, v14
	v_cmp_gt_u32_e32 vcc_lo, 0x7a, v14
	v_cndmask_b32_e32 v7, 0, v7, vcc_lo
	v_cmp_eq_u32_e32 vcc_lo, 0, v14
	s_delay_alu instid0(VALU_DEP_2) | instskip(NEXT) | instid1(VALU_DEP_1)
	v_cndmask_b32_e64 v15, v7, 0x78, vcc_lo
	v_dual_cndmask_b32 v1, v16, v1 :: v_dual_add_nc_u32 v16, 19, v15
	v_add_nc_u32_e32 v7, 20, v15
	s_delay_alu instid0(VALU_DEP_1) | instskip(NEXT) | instid1(VALU_DEP_1)
	v_lshlrev_b64 v[7:8], v7, -1
	v_not_b32_e32 v18, v7
	s_delay_alu instid0(VALU_DEP_2) | instskip(SKIP_1) | instid1(VALU_DEP_3)
	v_not_b32_e32 v17, v8
	v_lshlrev_b64 v[7:8], v16, 1
	v_and_b32_e32 v16, v1, v18
	v_lshrrev_b64 v[1:2], v15, v[1:2]
	s_delay_alu instid0(VALU_DEP_4) | instskip(NEXT) | instid1(VALU_DEP_1)
	v_and_b32_e32 v17, 0, v17
	v_cmp_eq_u64_e64 s2, v[16:17], v[7:8]
	s_delay_alu instid0(VALU_DEP_3) | instskip(NEXT) | instid1(VALU_DEP_2)
	v_dual_mov_b32 v8, v2 :: v_dual_mov_b32 v7, v1
	s_and_saveexec_b32 s12, s2
; %bb.85:
	v_bfe_u32 v7, v1, 20, 1
	s_delay_alu instid0(VALU_DEP_1) | instskip(NEXT) | instid1(VALU_DEP_1)
	v_add_co_u32 v7, s2, v1, v7
	v_add_co_u32 v7, s2, v7, -1
; %bb.86:
	s_or_b32 exec_lo, exec_lo, s12
	v_add_nc_u32_e32 v8, 0xffffff81, v14
	v_lshrrev_b32_e32 v14, 23, v1
	s_delay_alu instid0(VALU_DEP_3) | instskip(SKIP_1) | instid1(VALU_DEP_3)
	v_and_b32_e32 v7, 0xfffff, v7
	s_mov_b32 s2, exec_lo
	v_cndmask_b32_e64 v8, v8, 0xffffff82, vcc_lo
	s_delay_alu instid0(VALU_DEP_2) | instskip(SKIP_1) | instid1(VALU_DEP_3)
	v_add_co_u32 v1, vcc_lo, v7, v1
	v_add_co_ci_u32_e32 v2, vcc_lo, 0, v2, vcc_lo
	v_add3_u32 v8, v15, v8, v14
                                        ; implicit-def: $vgpr7
	s_delay_alu instid0(VALU_DEP_1) | instskip(NEXT) | instid1(VALU_DEP_1)
	v_add_nc_u32_e32 v14, 6, v8
	v_cmpx_ne_u32_e32 0, v14
	s_xor_b32 s2, exec_lo, s2
; %bb.87:
	v_cmp_lt_u64_e32 vcc_lo, 0xffffff, v[1:2]
	v_add_nc_u32_e32 v7, 7, v8
	v_cndmask_b32_e64 v8, 0, 1, vcc_lo
	s_delay_alu instid0(VALU_DEP_2) | instskip(NEXT) | instid1(VALU_DEP_2)
	v_cndmask_b32_e32 v7, v14, v7, vcc_lo
	v_lshrrev_b64 v[1:2], v8, v[1:2]
; %bb.88:
	s_and_not1_saveexec_b32 s2, s2
; %bb.89:
	s_delay_alu instid0(VALU_DEP_1)
	v_bfe_u32 v7, v1, 23, 1
; %bb.90:
	s_or_b32 exec_lo, exec_lo, s2
	s_delay_alu instid0(VALU_DEP_2) | instskip(NEXT) | instid1(VALU_DEP_2)
	v_lshrrev_b64 v[1:2], 20, v[1:2]
	v_cmp_gt_i32_e32 vcc_lo, 16, v7
	v_cmp_ne_u32_e64 s2, 0, v7
                                        ; implicit-def: $vgpr14
	s_delay_alu instid0(VALU_DEP_3) | instskip(NEXT) | instid1(VALU_DEP_1)
	v_dual_cndmask_b32 v2, 0, v2 :: v_dual_cndmask_b32 v1, 7, v1
	v_cmp_ne_u64_e32 vcc_lo, 0, v[1:2]
	s_delay_alu instid0(VALU_DEP_3) | instskip(NEXT) | instid1(SALU_CYCLE_1)
	s_or_b32 s2, s2, vcc_lo
	s_and_saveexec_b32 s12, s2
	s_delay_alu instid0(SALU_CYCLE_1)
	s_xor_b32 s2, exec_lo, s12
; %bb.91:
	v_min_i32_e32 v2, 15, v7
	s_delay_alu instid0(VALU_DEP_1) | instskip(NEXT) | instid1(VALU_DEP_1)
	v_lshl_or_b32 v2, v2, 3, v3
                                        ; implicit-def: $vgpr3
	v_and_or_b32 v14, v1, 7, v2
; %bb.92:
	s_and_not1_saveexec_b32 s2, s2
; %bb.93:
	v_mov_b32_e32 v14, v3
; %bb.94:
	s_or_b32 exec_lo, exec_lo, s2
.LBB14_95:
	s_delay_alu instid0(SALU_CYCLE_1)
	s_or_b32 exec_lo, exec_lo, s11
.LBB14_96:
	s_and_not1_saveexec_b32 s2, s10
	s_delay_alu instid0(SALU_CYCLE_1)
	s_or_b32 exec_lo, exec_lo, s2
                                        ; implicit-def: $vgpr8
                                        ; implicit-def: $vgpr1_vgpr2
.LBB14_97:
	s_and_not1_saveexec_b32 s2, s6
; %bb.98:
	v_cmp_eq_u64_e32 vcc_lo, 0, v[1:2]
	v_or_b32_e32 v3, 0x7f, v8
	s_delay_alu instid0(VALU_DEP_1)
	v_cndmask_b32_e32 v14, v3, v14, vcc_lo
; %bb.99:
	s_or_b32 exec_lo, exec_lo, s2
	v_cvt_f32_f16_e32 v1, v13
	s_mov_b32 s2, exec_lo
	s_delay_alu instid0(VALU_DEP_1) | instskip(NEXT) | instid1(VALU_DEP_1)
	v_div_scale_f32 v2, null, v12, v12, v1
	v_rcp_f32_e32 v3, v2
	s_waitcnt_depctr 0xfff
	v_fma_f32 v7, -v2, v3, 1.0
	s_delay_alu instid0(VALU_DEP_1) | instskip(SKIP_1) | instid1(VALU_DEP_1)
	v_fmac_f32_e32 v3, v7, v3
	v_div_scale_f32 v7, vcc_lo, v1, v12, v1
	v_mul_f32_e32 v8, v7, v3
	s_delay_alu instid0(VALU_DEP_1) | instskip(NEXT) | instid1(VALU_DEP_1)
	v_fma_f32 v13, -v2, v8, v7
	v_fmac_f32_e32 v8, v13, v3
	s_delay_alu instid0(VALU_DEP_1) | instskip(NEXT) | instid1(VALU_DEP_1)
	v_fma_f32 v2, -v2, v8, v7
	v_div_fmas_f32 v2, v2, v3, v8
	s_delay_alu instid0(VALU_DEP_1) | instskip(SKIP_1) | instid1(VALU_DEP_2)
	v_div_fixup_f32 v1, v2, v12, v1
	v_mov_b32_e32 v2, 0
	v_cvt_f16_f32_e32 v1, v1
	s_delay_alu instid0(VALU_DEP_2) | instskip(NEXT) | instid1(VALU_DEP_2)
	v_mov_b32_e32 v16, v2
	v_cvt_f32_f16_e32 v8, v1
	s_delay_alu instid0(VALU_DEP_1) | instskip(SKIP_2) | instid1(VALU_DEP_3)
	v_lshrrev_b32_e32 v13, 24, v8
	v_and_b32_e32 v15, 0x7f800000, v8
	v_and_b32_e32 v1, 0x7fffff, v8
	v_and_b32_e32 v3, 0x80, v13
	s_delay_alu instid0(VALU_DEP_1) | instskip(NEXT) | instid1(VALU_DEP_4)
	v_or_b32_e32 v7, 0x7e, v3
	v_cmpx_ne_u64_e32 0x7f800000, v[15:16]
	s_xor_b32 s6, exec_lo, s2
	s_cbranch_execz .LBB14_115
; %bb.100:
	v_dual_mov_b32 v16, v2 :: v_dual_and_b32 v15, 0x7fffffff, v8
	s_mov_b32 s2, exec_lo
	s_delay_alu instid0(VALU_DEP_1)
	v_cmpx_gt_u64_e32 0x43e00001, v[15:16]
	s_xor_b32 s10, exec_lo, s2
	s_cbranch_execz .LBB14_114
; %bb.101:
	v_mov_b32_e32 v7, 0
	s_mov_b32 s11, exec_lo
	v_cmpx_ne_u32_e32 0, v8
	s_cbranch_execz .LBB14_113
; %bb.102:
	v_bfe_u32 v13, v8, 23, 8
	v_or_b32_e32 v16, 0x800000, v1
	s_delay_alu instid0(VALU_DEP_2) | instskip(SKIP_1) | instid1(VALU_DEP_2)
	v_sub_nc_u32_e32 v7, 0x79, v13
	v_cmp_gt_u32_e32 vcc_lo, 0x7a, v13
	v_cndmask_b32_e32 v7, 0, v7, vcc_lo
	v_cmp_eq_u32_e32 vcc_lo, 0, v13
	s_delay_alu instid0(VALU_DEP_2) | instskip(NEXT) | instid1(VALU_DEP_1)
	v_cndmask_b32_e64 v15, v7, 0x78, vcc_lo
	v_dual_cndmask_b32 v1, v16, v1 :: v_dual_add_nc_u32 v16, 19, v15
	v_add_nc_u32_e32 v7, 20, v15
	s_delay_alu instid0(VALU_DEP_1) | instskip(NEXT) | instid1(VALU_DEP_1)
	v_lshlrev_b64 v[7:8], v7, -1
	v_not_b32_e32 v18, v7
	s_delay_alu instid0(VALU_DEP_2) | instskip(SKIP_1) | instid1(VALU_DEP_3)
	v_not_b32_e32 v17, v8
	v_lshlrev_b64 v[7:8], v16, 1
	v_and_b32_e32 v16, v1, v18
	v_lshrrev_b64 v[1:2], v15, v[1:2]
	s_delay_alu instid0(VALU_DEP_4) | instskip(NEXT) | instid1(VALU_DEP_1)
	v_and_b32_e32 v17, 0, v17
	v_cmp_eq_u64_e64 s2, v[16:17], v[7:8]
	s_delay_alu instid0(VALU_DEP_3) | instskip(NEXT) | instid1(VALU_DEP_2)
	v_dual_mov_b32 v8, v2 :: v_dual_mov_b32 v7, v1
	s_and_saveexec_b32 s12, s2
; %bb.103:
	v_bfe_u32 v7, v1, 20, 1
	s_delay_alu instid0(VALU_DEP_1) | instskip(NEXT) | instid1(VALU_DEP_1)
	v_add_co_u32 v7, s2, v1, v7
	v_add_co_u32 v7, s2, v7, -1
; %bb.104:
	s_or_b32 exec_lo, exec_lo, s12
	v_add_nc_u32_e32 v8, 0xffffff81, v13
	v_lshrrev_b32_e32 v13, 23, v1
	s_mov_b32 s2, exec_lo
	s_delay_alu instid0(VALU_DEP_2) | instskip(NEXT) | instid1(VALU_DEP_1)
	v_cndmask_b32_e64 v8, v8, 0xffffff82, vcc_lo
	v_add3_u32 v13, v15, v8, v13
	v_and_b32_e32 v8, 0xfffff, v7
	s_delay_alu instid0(VALU_DEP_2) | instskip(NEXT) | instid1(VALU_DEP_2)
	v_add_nc_u32_e32 v7, 6, v13
	v_add_co_u32 v1, vcc_lo, v8, v1
	v_add_co_ci_u32_e32 v2, vcc_lo, 0, v2, vcc_lo
                                        ; implicit-def: $vgpr8
	s_delay_alu instid0(VALU_DEP_3)
	v_cmpx_ne_u32_e32 0, v7
	s_xor_b32 s2, exec_lo, s2
; %bb.105:
	s_delay_alu instid0(VALU_DEP_2) | instskip(SKIP_1) | instid1(VALU_DEP_1)
	v_cmp_lt_u64_e32 vcc_lo, 0xffffff, v[1:2]
	v_add_nc_u32_e32 v8, 7, v13
	v_cndmask_b32_e32 v8, v7, v8, vcc_lo
	v_cndmask_b32_e64 v7, 0, 1, vcc_lo
	s_delay_alu instid0(VALU_DEP_1)
	v_lshrrev_b64 v[1:2], v7, v[1:2]
; %bb.106:
	s_and_not1_saveexec_b32 s2, s2
; %bb.107:
	s_delay_alu instid0(VALU_DEP_1)
	v_bfe_u32 v8, v1, 23, 1
; %bb.108:
	s_or_b32 exec_lo, exec_lo, s2
	s_delay_alu instid0(VALU_DEP_2) | instskip(NEXT) | instid1(VALU_DEP_2)
	v_lshrrev_b64 v[1:2], 20, v[1:2]
	v_cmp_gt_i32_e32 vcc_lo, 16, v8
	v_cmp_ne_u32_e64 s2, 0, v8
                                        ; implicit-def: $vgpr7
	s_delay_alu instid0(VALU_DEP_3) | instskip(NEXT) | instid1(VALU_DEP_1)
	v_dual_cndmask_b32 v2, 0, v2 :: v_dual_cndmask_b32 v1, 7, v1
	v_cmp_ne_u64_e32 vcc_lo, 0, v[1:2]
	s_delay_alu instid0(VALU_DEP_3) | instskip(NEXT) | instid1(SALU_CYCLE_1)
	s_or_b32 s2, s2, vcc_lo
	s_and_saveexec_b32 s12, s2
	s_delay_alu instid0(SALU_CYCLE_1)
	s_xor_b32 s2, exec_lo, s12
; %bb.109:
	v_min_i32_e32 v2, 15, v8
	s_delay_alu instid0(VALU_DEP_1) | instskip(NEXT) | instid1(VALU_DEP_1)
	v_lshl_or_b32 v2, v2, 3, v3
                                        ; implicit-def: $vgpr3
	v_and_or_b32 v7, v1, 7, v2
; %bb.110:
	s_and_not1_saveexec_b32 s2, s2
; %bb.111:
	v_mov_b32_e32 v7, v3
; %bb.112:
	s_or_b32 exec_lo, exec_lo, s2
.LBB14_113:
	s_delay_alu instid0(SALU_CYCLE_1)
	s_or_b32 exec_lo, exec_lo, s11
.LBB14_114:
	s_and_not1_saveexec_b32 s2, s10
	s_delay_alu instid0(SALU_CYCLE_1)
	s_or_b32 exec_lo, exec_lo, s2
                                        ; implicit-def: $vgpr13
                                        ; implicit-def: $vgpr1_vgpr2
.LBB14_115:
	s_and_not1_saveexec_b32 s2, s6
; %bb.116:
	v_cmp_eq_u64_e32 vcc_lo, 0, v[1:2]
	v_or_b32_e32 v3, 0x7f, v13
	s_delay_alu instid0(VALU_DEP_1)
	v_cndmask_b32_e32 v7, v3, v7, vcc_lo
; %bb.117:
	s_or_b32 exec_lo, exec_lo, s2
	v_cvt_f32_f16_e32 v1, v4
	s_mov_b32 s2, exec_lo
	s_delay_alu instid0(VALU_DEP_1) | instskip(NEXT) | instid1(VALU_DEP_1)
	v_div_scale_f32 v2, null, v12, v12, v1
	v_rcp_f32_e32 v3, v2
	s_waitcnt_depctr 0xfff
	v_fma_f32 v4, -v2, v3, 1.0
	s_delay_alu instid0(VALU_DEP_1) | instskip(SKIP_1) | instid1(VALU_DEP_1)
	v_fmac_f32_e32 v3, v4, v3
	v_div_scale_f32 v4, vcc_lo, v1, v12, v1
	v_mul_f32_e32 v8, v4, v3
	s_delay_alu instid0(VALU_DEP_1) | instskip(NEXT) | instid1(VALU_DEP_1)
	v_fma_f32 v13, -v2, v8, v4
	v_fmac_f32_e32 v8, v13, v3
	s_delay_alu instid0(VALU_DEP_1) | instskip(NEXT) | instid1(VALU_DEP_1)
	v_fma_f32 v2, -v2, v8, v4
	v_div_fmas_f32 v2, v2, v3, v8
	s_delay_alu instid0(VALU_DEP_1) | instskip(SKIP_1) | instid1(VALU_DEP_2)
	v_div_fixup_f32 v1, v2, v12, v1
	v_mov_b32_e32 v2, 0
	v_cvt_f16_f32_e32 v1, v1
	s_delay_alu instid0(VALU_DEP_2) | instskip(NEXT) | instid1(VALU_DEP_2)
	v_mov_b32_e32 v16, v2
	v_cvt_f32_f16_e32 v3, v1
	s_delay_alu instid0(VALU_DEP_1) | instskip(SKIP_2) | instid1(VALU_DEP_3)
	v_lshrrev_b32_e32 v13, 24, v3
	v_and_b32_e32 v15, 0x7f800000, v3
	v_and_b32_e32 v1, 0x7fffff, v3
	;; [unrolled: 1-line block ×3, first 2 shown]
	s_delay_alu instid0(VALU_DEP_1) | instskip(NEXT) | instid1(VALU_DEP_4)
	v_or_b32_e32 v4, 0x7e, v8
	v_cmpx_ne_u64_e32 0x7f800000, v[15:16]
	s_xor_b32 s6, exec_lo, s2
	s_cbranch_execz .LBB14_133
; %bb.118:
	v_dual_mov_b32 v16, v2 :: v_dual_and_b32 v15, 0x7fffffff, v3
	s_mov_b32 s2, exec_lo
	s_delay_alu instid0(VALU_DEP_1)
	v_cmpx_gt_u64_e32 0x43e00001, v[15:16]
	s_xor_b32 s10, exec_lo, s2
	s_cbranch_execz .LBB14_132
; %bb.119:
	v_mov_b32_e32 v4, 0
	s_mov_b32 s11, exec_lo
	v_cmpx_ne_u32_e32 0, v3
	s_cbranch_execz .LBB14_131
; %bb.120:
	v_bfe_u32 v13, v3, 23, 8
	v_or_b32_e32 v16, 0x800000, v1
	s_delay_alu instid0(VALU_DEP_2) | instskip(SKIP_1) | instid1(VALU_DEP_2)
	v_sub_nc_u32_e32 v3, 0x79, v13
	v_cmp_gt_u32_e32 vcc_lo, 0x7a, v13
	v_cndmask_b32_e32 v3, 0, v3, vcc_lo
	v_cmp_eq_u32_e32 vcc_lo, 0, v13
	s_delay_alu instid0(VALU_DEP_2) | instskip(NEXT) | instid1(VALU_DEP_1)
	v_cndmask_b32_e64 v15, v3, 0x78, vcc_lo
	v_dual_cndmask_b32 v1, v16, v1 :: v_dual_add_nc_u32 v16, 19, v15
	v_add_nc_u32_e32 v3, 20, v15
	s_delay_alu instid0(VALU_DEP_1) | instskip(NEXT) | instid1(VALU_DEP_1)
	v_lshlrev_b64 v[3:4], v3, -1
	v_not_b32_e32 v18, v3
	s_delay_alu instid0(VALU_DEP_2) | instskip(SKIP_1) | instid1(VALU_DEP_3)
	v_not_b32_e32 v17, v4
	v_lshlrev_b64 v[3:4], v16, 1
	v_and_b32_e32 v16, v1, v18
	v_lshrrev_b64 v[1:2], v15, v[1:2]
	s_delay_alu instid0(VALU_DEP_4) | instskip(NEXT) | instid1(VALU_DEP_1)
	v_and_b32_e32 v17, 0, v17
	v_cmp_eq_u64_e64 s2, v[16:17], v[3:4]
	s_delay_alu instid0(VALU_DEP_3) | instskip(NEXT) | instid1(VALU_DEP_2)
	v_dual_mov_b32 v4, v2 :: v_dual_mov_b32 v3, v1
	s_and_saveexec_b32 s12, s2
; %bb.121:
	v_bfe_u32 v3, v1, 20, 1
	s_delay_alu instid0(VALU_DEP_1) | instskip(NEXT) | instid1(VALU_DEP_1)
	v_add_co_u32 v3, s2, v1, v3
	v_add_co_u32 v3, s2, v3, -1
; %bb.122:
	s_or_b32 exec_lo, exec_lo, s12
	v_add_nc_u32_e32 v4, 0xffffff81, v13
	v_lshrrev_b32_e32 v13, 23, v1
	s_delay_alu instid0(VALU_DEP_3) | instskip(SKIP_1) | instid1(VALU_DEP_3)
	v_and_b32_e32 v3, 0xfffff, v3
	s_mov_b32 s2, exec_lo
	v_cndmask_b32_e64 v4, v4, 0xffffff82, vcc_lo
	s_delay_alu instid0(VALU_DEP_2) | instskip(SKIP_1) | instid1(VALU_DEP_3)
	v_add_co_u32 v1, vcc_lo, v3, v1
	v_add_co_ci_u32_e32 v2, vcc_lo, 0, v2, vcc_lo
	v_add3_u32 v4, v15, v4, v13
                                        ; implicit-def: $vgpr3
	s_delay_alu instid0(VALU_DEP_1) | instskip(NEXT) | instid1(VALU_DEP_1)
	v_add_nc_u32_e32 v13, 6, v4
	v_cmpx_ne_u32_e32 0, v13
	s_xor_b32 s2, exec_lo, s2
; %bb.123:
	v_cmp_lt_u64_e32 vcc_lo, 0xffffff, v[1:2]
	v_add_nc_u32_e32 v3, 7, v4
	v_cndmask_b32_e64 v4, 0, 1, vcc_lo
	s_delay_alu instid0(VALU_DEP_2) | instskip(NEXT) | instid1(VALU_DEP_2)
	v_cndmask_b32_e32 v3, v13, v3, vcc_lo
	v_lshrrev_b64 v[1:2], v4, v[1:2]
; %bb.124:
	s_and_not1_saveexec_b32 s2, s2
; %bb.125:
	s_delay_alu instid0(VALU_DEP_1)
	v_bfe_u32 v3, v1, 23, 1
; %bb.126:
	s_or_b32 exec_lo, exec_lo, s2
	s_delay_alu instid0(VALU_DEP_2) | instskip(NEXT) | instid1(VALU_DEP_2)
	v_lshrrev_b64 v[1:2], 20, v[1:2]
	v_cmp_gt_i32_e32 vcc_lo, 16, v3
	v_cmp_ne_u32_e64 s2, 0, v3
                                        ; implicit-def: $vgpr4
	s_delay_alu instid0(VALU_DEP_3) | instskip(NEXT) | instid1(VALU_DEP_1)
	v_dual_cndmask_b32 v2, 0, v2 :: v_dual_cndmask_b32 v1, 7, v1
	v_cmp_ne_u64_e32 vcc_lo, 0, v[1:2]
	s_delay_alu instid0(VALU_DEP_3) | instskip(NEXT) | instid1(SALU_CYCLE_1)
	s_or_b32 s2, s2, vcc_lo
	s_and_saveexec_b32 s12, s2
	s_delay_alu instid0(SALU_CYCLE_1)
	s_xor_b32 s2, exec_lo, s12
; %bb.127:
	v_min_i32_e32 v2, 15, v3
	s_delay_alu instid0(VALU_DEP_1) | instskip(NEXT) | instid1(VALU_DEP_1)
	v_lshl_or_b32 v2, v2, 3, v8
                                        ; implicit-def: $vgpr8
	v_and_or_b32 v4, v1, 7, v2
; %bb.128:
	s_and_not1_saveexec_b32 s2, s2
; %bb.129:
	v_mov_b32_e32 v4, v8
; %bb.130:
	s_or_b32 exec_lo, exec_lo, s2
.LBB14_131:
	s_delay_alu instid0(SALU_CYCLE_1)
	s_or_b32 exec_lo, exec_lo, s11
.LBB14_132:
	s_and_not1_saveexec_b32 s2, s10
	s_delay_alu instid0(SALU_CYCLE_1)
	s_or_b32 exec_lo, exec_lo, s2
                                        ; implicit-def: $vgpr13
                                        ; implicit-def: $vgpr1_vgpr2
.LBB14_133:
	s_and_not1_saveexec_b32 s2, s6
; %bb.134:
	v_cmp_eq_u64_e32 vcc_lo, 0, v[1:2]
	v_or_b32_e32 v3, 0x7f, v13
	s_delay_alu instid0(VALU_DEP_1)
	v_cndmask_b32_e32 v4, v3, v4, vcc_lo
; %bb.135:
	s_or_b32 exec_lo, exec_lo, s2
	v_cvt_f32_f16_e32 v1, v11
	s_mov_b32 s2, exec_lo
	s_delay_alu instid0(VALU_DEP_1) | instskip(NEXT) | instid1(VALU_DEP_1)
	v_div_scale_f32 v2, null, v12, v12, v1
	v_rcp_f32_e32 v3, v2
	s_waitcnt_depctr 0xfff
	v_fma_f32 v8, -v2, v3, 1.0
	s_delay_alu instid0(VALU_DEP_1) | instskip(SKIP_1) | instid1(VALU_DEP_1)
	v_fmac_f32_e32 v3, v8, v3
	v_div_scale_f32 v8, vcc_lo, v1, v12, v1
	v_mul_f32_e32 v11, v8, v3
	s_delay_alu instid0(VALU_DEP_1) | instskip(NEXT) | instid1(VALU_DEP_1)
	v_fma_f32 v13, -v2, v11, v8
	v_fmac_f32_e32 v11, v13, v3
	s_delay_alu instid0(VALU_DEP_1) | instskip(SKIP_1) | instid1(VALU_DEP_2)
	v_fma_f32 v2, -v2, v11, v8
	v_lshlrev_b32_e32 v8, 3, v0
	v_div_fmas_f32 v2, v2, v3, v11
	s_delay_alu instid0(VALU_DEP_1) | instskip(NEXT) | instid1(VALU_DEP_1)
	v_div_fixup_f32 v1, v2, v12, v1
	v_cvt_f16_f32_e32 v1, v1
	s_delay_alu instid0(VALU_DEP_1) | instskip(NEXT) | instid1(VALU_DEP_1)
	v_cvt_f32_f16_e32 v3, v1
	v_dual_mov_b32 v1, 0 :: v_dual_and_b32 v0, 0x7fffff, v3
	v_lshrrev_b32_e32 v12, 24, v3
	s_delay_alu instid0(VALU_DEP_2) | instskip(NEXT) | instid1(VALU_DEP_2)
	v_dual_mov_b32 v16, v1 :: v_dual_and_b32 v15, 0x7f800000, v3
	v_and_b32_e32 v11, 0x80, v12
	s_delay_alu instid0(VALU_DEP_1) | instskip(NEXT) | instid1(VALU_DEP_3)
	v_or_b32_e32 v2, 0x7e, v11
	v_cmpx_ne_u64_e32 0x7f800000, v[15:16]
	s_xor_b32 s6, exec_lo, s2
	s_cbranch_execz .LBB14_151
; %bb.136:
	v_dual_mov_b32 v13, v1 :: v_dual_and_b32 v12, 0x7fffffff, v3
	s_mov_b32 s2, exec_lo
	s_delay_alu instid0(VALU_DEP_1)
	v_cmpx_gt_u64_e32 0x43e00001, v[12:13]
	s_xor_b32 s10, exec_lo, s2
	s_cbranch_execz .LBB14_150
; %bb.137:
	v_mov_b32_e32 v2, 0
	s_mov_b32 s11, exec_lo
	v_cmpx_ne_u32_e32 0, v3
	s_cbranch_execz .LBB14_149
; %bb.138:
	v_bfe_u32 v12, v3, 23, 8
	v_or_b32_e32 v15, 0x800000, v0
	s_delay_alu instid0(VALU_DEP_2) | instskip(SKIP_1) | instid1(VALU_DEP_2)
	v_sub_nc_u32_e32 v2, 0x79, v12
	v_cmp_gt_u32_e32 vcc_lo, 0x7a, v12
	v_cndmask_b32_e32 v2, 0, v2, vcc_lo
	v_cmp_eq_u32_e32 vcc_lo, 0, v12
	s_delay_alu instid0(VALU_DEP_2) | instskip(NEXT) | instid1(VALU_DEP_1)
	v_cndmask_b32_e64 v13, v2, 0x78, vcc_lo
	v_dual_cndmask_b32 v0, v15, v0 :: v_dual_add_nc_u32 v15, 19, v13
	v_add_nc_u32_e32 v2, 20, v13
	s_delay_alu instid0(VALU_DEP_1) | instskip(NEXT) | instid1(VALU_DEP_1)
	v_lshlrev_b64 v[2:3], v2, -1
	v_not_b32_e32 v17, v2
	s_delay_alu instid0(VALU_DEP_2) | instskip(SKIP_1) | instid1(VALU_DEP_3)
	v_not_b32_e32 v16, v3
	v_lshlrev_b64 v[2:3], v15, 1
	v_and_b32_e32 v15, v0, v17
	v_lshrrev_b64 v[0:1], v13, v[0:1]
	s_delay_alu instid0(VALU_DEP_4) | instskip(NEXT) | instid1(VALU_DEP_1)
	v_and_b32_e32 v16, 0, v16
	v_cmp_eq_u64_e64 s2, v[15:16], v[2:3]
	s_delay_alu instid0(VALU_DEP_3) | instskip(NEXT) | instid1(VALU_DEP_2)
	v_dual_mov_b32 v3, v1 :: v_dual_mov_b32 v2, v0
	s_and_saveexec_b32 s12, s2
; %bb.139:
	v_bfe_u32 v2, v0, 20, 1
	s_delay_alu instid0(VALU_DEP_1) | instskip(NEXT) | instid1(VALU_DEP_1)
	v_add_co_u32 v2, s2, v0, v2
	v_add_co_u32 v2, s2, v2, -1
; %bb.140:
	s_or_b32 exec_lo, exec_lo, s12
	v_add_nc_u32_e32 v3, 0xffffff81, v12
	v_lshrrev_b32_e32 v12, 23, v0
	s_mov_b32 s2, exec_lo
	s_delay_alu instid0(VALU_DEP_2) | instskip(NEXT) | instid1(VALU_DEP_1)
	v_cndmask_b32_e64 v3, v3, 0xffffff82, vcc_lo
	v_add3_u32 v12, v13, v3, v12
	v_and_b32_e32 v3, 0xfffff, v2
	s_delay_alu instid0(VALU_DEP_2) | instskip(NEXT) | instid1(VALU_DEP_2)
	v_add_nc_u32_e32 v2, 6, v12
	v_add_co_u32 v0, vcc_lo, v3, v0
	v_add_co_ci_u32_e32 v1, vcc_lo, 0, v1, vcc_lo
                                        ; implicit-def: $vgpr3
	s_delay_alu instid0(VALU_DEP_3)
	v_cmpx_ne_u32_e32 0, v2
	s_xor_b32 s2, exec_lo, s2
; %bb.141:
	s_delay_alu instid0(VALU_DEP_2) | instskip(SKIP_1) | instid1(VALU_DEP_1)
	v_cmp_lt_u64_e32 vcc_lo, 0xffffff, v[0:1]
	v_add_nc_u32_e32 v3, 7, v12
	v_cndmask_b32_e32 v3, v2, v3, vcc_lo
	v_cndmask_b32_e64 v2, 0, 1, vcc_lo
	s_delay_alu instid0(VALU_DEP_1)
	v_lshrrev_b64 v[0:1], v2, v[0:1]
; %bb.142:
	s_and_not1_saveexec_b32 s2, s2
; %bb.143:
	s_delay_alu instid0(VALU_DEP_1)
	v_bfe_u32 v3, v0, 23, 1
; %bb.144:
	s_or_b32 exec_lo, exec_lo, s2
	s_delay_alu instid0(VALU_DEP_2) | instskip(NEXT) | instid1(VALU_DEP_2)
	v_lshrrev_b64 v[0:1], 20, v[0:1]
	v_cmp_gt_i32_e32 vcc_lo, 16, v3
	v_cmp_ne_u32_e64 s2, 0, v3
                                        ; implicit-def: $vgpr2
	s_delay_alu instid0(VALU_DEP_3) | instskip(NEXT) | instid1(VALU_DEP_1)
	v_dual_cndmask_b32 v1, 0, v1 :: v_dual_cndmask_b32 v0, 7, v0
	v_cmp_ne_u64_e32 vcc_lo, 0, v[0:1]
	s_delay_alu instid0(VALU_DEP_3) | instskip(NEXT) | instid1(SALU_CYCLE_1)
	s_or_b32 s2, s2, vcc_lo
	s_and_saveexec_b32 s12, s2
	s_delay_alu instid0(SALU_CYCLE_1)
	s_xor_b32 s2, exec_lo, s12
; %bb.145:
	v_min_i32_e32 v1, 15, v3
	s_delay_alu instid0(VALU_DEP_1) | instskip(NEXT) | instid1(VALU_DEP_1)
	v_lshl_or_b32 v1, v1, 3, v11
                                        ; implicit-def: $vgpr11
	v_and_or_b32 v2, v0, 7, v1
; %bb.146:
	s_and_not1_saveexec_b32 s2, s2
; %bb.147:
	v_mov_b32_e32 v2, v11
; %bb.148:
	s_or_b32 exec_lo, exec_lo, s2
.LBB14_149:
	s_delay_alu instid0(SALU_CYCLE_1)
	s_or_b32 exec_lo, exec_lo, s11
.LBB14_150:
	s_and_not1_saveexec_b32 s2, s10
	s_delay_alu instid0(SALU_CYCLE_1)
	s_or_b32 exec_lo, exec_lo, s2
                                        ; implicit-def: $vgpr12
                                        ; implicit-def: $vgpr0_vgpr1
.LBB14_151:
	s_and_not1_saveexec_b32 s2, s6
; %bb.152:
	v_cmp_eq_u64_e32 vcc_lo, 0, v[0:1]
	v_or_b32_e32 v3, 0x7f, v12
	s_delay_alu instid0(VALU_DEP_1)
	v_cndmask_b32_e32 v2, v3, v2, vcc_lo
; %bb.153:
	s_or_b32 exec_lo, exec_lo, s2
	v_lshlrev_b16 v0, 8, v7
	v_and_b32_e32 v1, 0xff, v14
	s_delay_alu instid0(VALU_DEP_3)
	v_lshlrev_b16 v2, 8, v2
	v_and_b32_e32 v3, 0xff, v4
	v_lshlrev_b16 v4, 8, v5
	v_and_b32_e32 v5, 0xff, v6
	;; [unrolled: 2-line block ×3, first 2 shown]
	v_or_b32_e32 v0, v1, v0
	v_or_b32_e32 v1, v3, v2
	;; [unrolled: 1-line block ×3, first 2 shown]
	s_delay_alu instid0(VALU_DEP_4) | instskip(NEXT) | instid1(VALU_DEP_4)
	v_or_b32_e32 v3, v7, v6
	v_and_b32_e32 v0, 0xffff, v0
	s_delay_alu instid0(VALU_DEP_4) | instskip(NEXT) | instid1(VALU_DEP_4)
	v_lshlrev_b32_e32 v1, 16, v1
	v_and_b32_e32 v2, 0xffff, v2
	s_delay_alu instid0(VALU_DEP_4) | instskip(NEXT) | instid1(VALU_DEP_3)
	v_lshlrev_b32_e32 v3, 16, v3
	v_or_b32_e32 v1, v0, v1
	s_delay_alu instid0(VALU_DEP_2)
	v_or_b32_e32 v0, v2, v3
	v_lshlrev_b32_e32 v2, 1, v8
	global_store_b64 v2, v[0:1], s[4:5]
                                        ; implicit-def: $vgpr0
.LBB14_154:
	s_and_not1_saveexec_b32 s2, s3
	s_cbranch_execz .LBB14_156
; %bb.155:
	v_lshlrev_b16 v0, 1, v0
	s_load_b64 s[0:1], s[0:1], 0x8
	s_ashr_i32 s2, s7, 31
	s_mul_hi_u32 s3, s7, s8
	s_mul_i32 s6, s2, s8
	v_xor_b32_e32 v0, 0x80, v0
	s_mul_i32 s2, s7, s8
	s_add_i32 s3, s3, s6
	s_delay_alu instid0(SALU_CYCLE_1) | instskip(NEXT) | instid1(VALU_DEP_1)
	s_lshl_b64 s[2:3], s[2:3], 1
	v_bfe_i32 v0, v0, 0, 8
	s_delay_alu instid0(VALU_DEP_1) | instskip(NEXT) | instid1(VALU_DEP_1)
	v_ashrrev_i32_e32 v1, 31, v0
	v_lshlrev_b64 v[2:3], 1, v[0:1]
	s_waitcnt lgkmcnt(0)
	s_add_u32 s0, s0, s2
	s_addc_u32 s1, s1, s3
	s_delay_alu instid0(VALU_DEP_1) | instskip(NEXT) | instid1(VALU_DEP_2)
	v_add_co_u32 v2, vcc_lo, s0, v2
	v_add_co_ci_u32_e32 v3, vcc_lo, s1, v3, vcc_lo
	s_lshr_b32 s0, s9, 31
	s_delay_alu instid0(SALU_CYCLE_1) | instskip(SKIP_2) | instid1(SALU_CYCLE_1)
	s_add_i32 s9, s9, s0
	global_load_b32 v2, v[2:3], off
	s_ashr_i32 s0, s9, 1
	s_ashr_i32 s1, s0, 31
	v_add_co_u32 v0, vcc_lo, v0, s0
	v_add_co_ci_u32_e32 v1, vcc_lo, s1, v1, vcc_lo
	s_delay_alu instid0(VALU_DEP_1) | instskip(NEXT) | instid1(VALU_DEP_1)
	v_lshlrev_b64 v[0:1], 1, v[0:1]
	v_add_co_u32 v0, vcc_lo, s4, v0
	s_delay_alu instid0(VALU_DEP_2)
	v_add_co_ci_u32_e32 v1, vcc_lo, s5, v1, vcc_lo
	s_waitcnt vmcnt(0)
	global_store_b32 v[0:1], v2, off offset:16
.LBB14_156:
	s_nop 0
	s_sendmsg sendmsg(MSG_DEALLOC_VGPRS)
	s_endpgm
.LBB14_157:
                                        ; implicit-def: $sgpr14_sgpr15
	s_branch .LBB14_3
	.section	.rodata,"a",@progbits
	.p2align	6, 0x0
	.amdhsa_kernel _ZN4vllm30concat_and_cache_ds_mla_kernelIttLNS_18Fp8KVCacheDataTypeE0EEEvPKT_S4_PT0_PKliiiiiiiPKf
		.amdhsa_group_segment_fixed_size 0
		.amdhsa_private_segment_fixed_size 0
		.amdhsa_kernarg_size 72
		.amdhsa_user_sgpr_count 15
		.amdhsa_user_sgpr_dispatch_ptr 0
		.amdhsa_user_sgpr_queue_ptr 0
		.amdhsa_user_sgpr_kernarg_segment_ptr 1
		.amdhsa_user_sgpr_dispatch_id 0
		.amdhsa_user_sgpr_private_segment_size 0
		.amdhsa_wavefront_size32 1
		.amdhsa_uses_dynamic_stack 0
		.amdhsa_enable_private_segment 0
		.amdhsa_system_sgpr_workgroup_id_x 1
		.amdhsa_system_sgpr_workgroup_id_y 0
		.amdhsa_system_sgpr_workgroup_id_z 0
		.amdhsa_system_sgpr_workgroup_info 0
		.amdhsa_system_vgpr_workitem_id 0
		.amdhsa_next_free_vgpr 20
		.amdhsa_next_free_sgpr 25
		.amdhsa_reserve_vcc 1
		.amdhsa_float_round_mode_32 0
		.amdhsa_float_round_mode_16_64 0
		.amdhsa_float_denorm_mode_32 3
		.amdhsa_float_denorm_mode_16_64 3
		.amdhsa_dx10_clamp 1
		.amdhsa_ieee_mode 1
		.amdhsa_fp16_overflow 0
		.amdhsa_workgroup_processor_mode 1
		.amdhsa_memory_ordered 1
		.amdhsa_forward_progress 0
		.amdhsa_shared_vgpr_count 0
		.amdhsa_exception_fp_ieee_invalid_op 0
		.amdhsa_exception_fp_denorm_src 0
		.amdhsa_exception_fp_ieee_div_zero 0
		.amdhsa_exception_fp_ieee_overflow 0
		.amdhsa_exception_fp_ieee_underflow 0
		.amdhsa_exception_fp_ieee_inexact 0
		.amdhsa_exception_int_div_zero 0
	.end_amdhsa_kernel
	.section	.text._ZN4vllm30concat_and_cache_ds_mla_kernelIttLNS_18Fp8KVCacheDataTypeE0EEEvPKT_S4_PT0_PKliiiiiiiPKf,"axG",@progbits,_ZN4vllm30concat_and_cache_ds_mla_kernelIttLNS_18Fp8KVCacheDataTypeE0EEEvPKT_S4_PT0_PKliiiiiiiPKf,comdat
.Lfunc_end14:
	.size	_ZN4vllm30concat_and_cache_ds_mla_kernelIttLNS_18Fp8KVCacheDataTypeE0EEEvPKT_S4_PT0_PKliiiiiiiPKf, .Lfunc_end14-_ZN4vllm30concat_and_cache_ds_mla_kernelIttLNS_18Fp8KVCacheDataTypeE0EEEvPKT_S4_PT0_PKliiiiiiiPKf
                                        ; -- End function
	.section	.AMDGPU.csdata,"",@progbits
; Kernel info:
; codeLenInByte = 7504
; NumSgprs: 27
; NumVgprs: 20
; ScratchSize: 0
; MemoryBound: 0
; FloatMode: 240
; IeeeMode: 1
; LDSByteSize: 0 bytes/workgroup (compile time only)
; SGPRBlocks: 3
; VGPRBlocks: 2
; NumSGPRsForWavesPerEU: 27
; NumVGPRsForWavesPerEU: 20
; Occupancy: 16
; WaveLimiterHint : 0
; COMPUTE_PGM_RSRC2:SCRATCH_EN: 0
; COMPUTE_PGM_RSRC2:USER_SGPR: 15
; COMPUTE_PGM_RSRC2:TRAP_HANDLER: 0
; COMPUTE_PGM_RSRC2:TGID_X_EN: 1
; COMPUTE_PGM_RSRC2:TGID_Y_EN: 0
; COMPUTE_PGM_RSRC2:TGID_Z_EN: 0
; COMPUTE_PGM_RSRC2:TIDIG_COMP_CNT: 0
	.section	.text._ZN4vllm30concat_and_cache_ds_mla_kernelI14__hip_bfloat16S1_LNS_18Fp8KVCacheDataTypeE0EEEvPKT_S5_PT0_PKliiiiiiiPKf,"axG",@progbits,_ZN4vllm30concat_and_cache_ds_mla_kernelI14__hip_bfloat16S1_LNS_18Fp8KVCacheDataTypeE0EEEvPKT_S5_PT0_PKliiiiiiiPKf,comdat
	.protected	_ZN4vllm30concat_and_cache_ds_mla_kernelI14__hip_bfloat16S1_LNS_18Fp8KVCacheDataTypeE0EEEvPKT_S5_PT0_PKliiiiiiiPKf ; -- Begin function _ZN4vllm30concat_and_cache_ds_mla_kernelI14__hip_bfloat16S1_LNS_18Fp8KVCacheDataTypeE0EEEvPKT_S5_PT0_PKliiiiiiiPKf
	.globl	_ZN4vllm30concat_and_cache_ds_mla_kernelI14__hip_bfloat16S1_LNS_18Fp8KVCacheDataTypeE0EEEvPKT_S5_PT0_PKliiiiiiiPKf
	.p2align	8
	.type	_ZN4vllm30concat_and_cache_ds_mla_kernelI14__hip_bfloat16S1_LNS_18Fp8KVCacheDataTypeE0EEEvPKT_S5_PT0_PKliiiiiiiPKf,@function
_ZN4vllm30concat_and_cache_ds_mla_kernelI14__hip_bfloat16S1_LNS_18Fp8KVCacheDataTypeE0EEEvPKT_S5_PT0_PKliiiiiiiPKf: ; @_ZN4vllm30concat_and_cache_ds_mla_kernelI14__hip_bfloat16S1_LNS_18Fp8KVCacheDataTypeE0EEEvPKT_S5_PT0_PKliiiiiiiPKf
; %bb.0:
	s_load_b64 s[2:3], s[0:1], 0x18
	s_mov_b32 s8, s15
	s_mov_b32 s9, 0
	s_delay_alu instid0(SALU_CYCLE_1)
	s_lshl_b64 s[4:5], s[8:9], 3
	s_waitcnt lgkmcnt(0)
	s_add_u32 s2, s2, s4
	s_addc_u32 s3, s3, s5
	s_load_b64 s[10:11], s[2:3], 0x0
	s_waitcnt lgkmcnt(0)
	v_cmp_lt_i64_e64 s2, s[10:11], 0
	s_delay_alu instid0(VALU_DEP_1)
	s_and_b32 vcc_lo, exec_lo, s2
	s_cbranch_vccnz .LBB15_156
; %bb.1:
	s_clause 0x1
	s_load_b32 s12, s[0:1], 0x38
	s_load_b64 s[2:3], s[0:1], 0x10
	s_waitcnt lgkmcnt(0)
	s_ashr_i32 s13, s12, 31
	s_delay_alu instid0(SALU_CYCLE_1) | instskip(SKIP_1) | instid1(SALU_CYCLE_1)
	s_or_b64 s[4:5], s[10:11], s[12:13]
	s_mov_b32 s4, s9
	s_cmp_lg_u64 s[4:5], 0
	s_cbranch_scc0 .LBB15_157
; %bb.2:
	s_add_u32 s6, s12, s13
	s_mov_b32 s4, s13
	s_mov_b32 s5, s13
	s_addc_u32 s7, s13, s13
	s_delay_alu instid0(SALU_CYCLE_1) | instskip(NEXT) | instid1(SALU_CYCLE_1)
	s_xor_b64 s[6:7], s[6:7], s[4:5]
	v_cvt_f32_u32_e32 v1, s6
	v_cvt_f32_u32_e32 v2, s7
	s_sub_u32 s15, 0, s6
	s_subb_u32 s16, 0, s7
	s_delay_alu instid0(VALU_DEP_1) | instskip(NEXT) | instid1(VALU_DEP_1)
	v_fmamk_f32 v1, v2, 0x4f800000, v1
	v_rcp_f32_e32 v1, v1
	s_waitcnt_depctr 0xfff
	v_mul_f32_e32 v1, 0x5f7ffffc, v1
	s_delay_alu instid0(VALU_DEP_1) | instskip(NEXT) | instid1(VALU_DEP_1)
	v_mul_f32_e32 v2, 0x2f800000, v1
	v_trunc_f32_e32 v2, v2
	s_delay_alu instid0(VALU_DEP_1) | instskip(SKIP_1) | instid1(VALU_DEP_2)
	v_fmamk_f32 v1, v2, 0xcf800000, v1
	v_cvt_u32_f32_e32 v2, v2
	v_cvt_u32_f32_e32 v1, v1
	s_delay_alu instid0(VALU_DEP_2) | instskip(NEXT) | instid1(VALU_DEP_2)
	v_readfirstlane_b32 s9, v2
	v_readfirstlane_b32 s14, v1
	s_delay_alu instid0(VALU_DEP_2) | instskip(NEXT) | instid1(VALU_DEP_1)
	s_mul_i32 s17, s15, s9
	s_mul_hi_u32 s19, s15, s14
	s_mul_i32 s18, s16, s14
	s_add_i32 s17, s19, s17
	s_mul_i32 s20, s15, s14
	s_add_i32 s17, s17, s18
	s_mul_hi_u32 s19, s14, s20
	s_mul_hi_u32 s21, s9, s20
	s_mul_i32 s18, s9, s20
	s_mul_hi_u32 s20, s14, s17
	s_mul_i32 s14, s14, s17
	s_mul_hi_u32 s22, s9, s17
	s_add_u32 s14, s19, s14
	s_addc_u32 s19, 0, s20
	s_add_u32 s14, s14, s18
	s_mul_i32 s17, s9, s17
	s_addc_u32 s14, s19, s21
	s_addc_u32 s18, s22, 0
	s_add_u32 s14, s14, s17
	s_addc_u32 s17, 0, s18
	v_add_co_u32 v1, s14, v1, s14
	s_delay_alu instid0(VALU_DEP_1) | instskip(SKIP_1) | instid1(VALU_DEP_1)
	s_cmp_lg_u32 s14, 0
	s_addc_u32 s9, s9, s17
	v_readfirstlane_b32 s14, v1
	s_mul_i32 s17, s15, s9
	s_delay_alu instid0(VALU_DEP_1)
	s_mul_hi_u32 s18, s15, s14
	s_mul_i32 s16, s16, s14
	s_add_i32 s17, s18, s17
	s_mul_i32 s15, s15, s14
	s_add_i32 s17, s17, s16
	s_mul_hi_u32 s18, s9, s15
	s_mul_i32 s19, s9, s15
	s_mul_hi_u32 s15, s14, s15
	s_mul_hi_u32 s20, s14, s17
	s_mul_i32 s14, s14, s17
	s_mul_hi_u32 s16, s9, s17
	s_add_u32 s14, s15, s14
	s_addc_u32 s15, 0, s20
	s_add_u32 s14, s14, s19
	s_mul_i32 s17, s9, s17
	s_addc_u32 s14, s15, s18
	s_addc_u32 s15, s16, 0
	s_add_u32 s14, s14, s17
	s_addc_u32 s15, 0, s15
	v_add_co_u32 v1, s14, v1, s14
	s_delay_alu instid0(VALU_DEP_1) | instskip(SKIP_2) | instid1(VALU_DEP_1)
	s_cmp_lg_u32 s14, 0
	s_addc_u32 s9, s9, s15
	s_ashr_i32 s14, s11, 31
	v_readfirstlane_b32 s18, v1
	s_add_u32 s16, s10, s14
	s_mov_b32 s15, s14
	s_addc_u32 s17, s11, s14
	s_delay_alu instid0(SALU_CYCLE_1) | instskip(NEXT) | instid1(SALU_CYCLE_1)
	s_xor_b64 s[16:17], s[16:17], s[14:15]
	s_mul_i32 s20, s16, s9
	s_mul_hi_u32 s21, s16, s18
	s_mul_hi_u32 s19, s16, s9
	s_mul_hi_u32 s23, s17, s18
	s_mul_i32 s18, s17, s18
	s_add_u32 s20, s21, s20
	s_addc_u32 s19, 0, s19
	s_mul_hi_u32 s22, s17, s9
	s_add_u32 s18, s20, s18
	s_mul_i32 s9, s17, s9
	s_addc_u32 s18, s19, s23
	s_addc_u32 s19, s22, 0
	s_add_u32 s9, s18, s9
	s_addc_u32 s18, 0, s19
	s_mul_i32 s22, s6, s9
	s_mul_hi_u32 s19, s6, s9
	s_mul_i32 s21, s6, s18
	v_sub_co_u32 v1, s16, s16, s22
	s_mul_i32 s20, s7, s9
	s_add_i32 s19, s19, s21
	s_delay_alu instid0(SALU_CYCLE_1) | instskip(NEXT) | instid1(VALU_DEP_1)
	s_add_i32 s19, s19, s20
	v_sub_co_u32 v2, s21, v1, s6
	s_sub_i32 s20, s17, s19
	s_cmp_lg_u32 s16, 0
	s_subb_u32 s20, s20, s7
	s_cmp_lg_u32 s21, 0
	v_readfirstlane_b32 s21, v2
	s_subb_u32 s20, s20, 0
	s_delay_alu instid0(SALU_CYCLE_1) | instskip(SKIP_1) | instid1(VALU_DEP_1)
	s_cmp_ge_u32 s20, s7
	s_cselect_b32 s22, -1, 0
	s_cmp_ge_u32 s21, s6
	s_cselect_b32 s21, -1, 0
	s_cmp_eq_u32 s20, s7
	s_cselect_b32 s20, s21, s22
	s_add_u32 s21, s9, 1
	s_addc_u32 s22, s18, 0
	s_add_u32 s23, s9, 2
	s_addc_u32 s24, s18, 0
	s_cmp_lg_u32 s20, 0
	s_cselect_b32 s20, s23, s21
	s_cselect_b32 s21, s24, s22
	s_cmp_lg_u32 s16, 0
	v_readfirstlane_b32 s16, v1
	s_subb_u32 s17, s17, s19
	s_delay_alu instid0(SALU_CYCLE_1) | instskip(SKIP_1) | instid1(VALU_DEP_1)
	s_cmp_ge_u32 s17, s7
	s_cselect_b32 s19, -1, 0
	s_cmp_ge_u32 s16, s6
	s_cselect_b32 s6, -1, 0
	s_cmp_eq_u32 s17, s7
	s_cselect_b32 s6, s6, s19
	s_delay_alu instid0(SALU_CYCLE_1) | instskip(SKIP_3) | instid1(SALU_CYCLE_1)
	s_cmp_lg_u32 s6, 0
	s_cselect_b32 s7, s21, s18
	s_cselect_b32 s6, s20, s9
	s_xor_b64 s[14:15], s[14:15], s[4:5]
	s_xor_b64 s[6:7], s[6:7], s[14:15]
	s_delay_alu instid0(SALU_CYCLE_1)
	s_sub_u32 s14, s6, s14
	s_subb_u32 s15, s7, s15
	s_cbranch_execnz .LBB15_4
.LBB15_3:
	v_cvt_f32_u32_e32 v1, s12
	s_sub_i32 s5, 0, s12
	s_mov_b32 s15, 0
	s_delay_alu instid0(VALU_DEP_1) | instskip(SKIP_2) | instid1(VALU_DEP_1)
	v_rcp_iflag_f32_e32 v1, v1
	s_waitcnt_depctr 0xfff
	v_mul_f32_e32 v1, 0x4f7ffffe, v1
	v_cvt_u32_f32_e32 v1, v1
	s_delay_alu instid0(VALU_DEP_1) | instskip(NEXT) | instid1(VALU_DEP_1)
	v_readfirstlane_b32 s4, v1
	s_mul_i32 s5, s5, s4
	s_delay_alu instid0(SALU_CYCLE_1) | instskip(NEXT) | instid1(SALU_CYCLE_1)
	s_mul_hi_u32 s5, s4, s5
	s_add_i32 s4, s4, s5
	s_delay_alu instid0(SALU_CYCLE_1) | instskip(NEXT) | instid1(SALU_CYCLE_1)
	s_mul_hi_u32 s4, s10, s4
	s_mul_i32 s5, s4, s12
	s_add_i32 s6, s4, 1
	s_sub_i32 s5, s10, s5
	s_delay_alu instid0(SALU_CYCLE_1)
	s_sub_i32 s7, s5, s12
	s_cmp_ge_u32 s5, s12
	s_cselect_b32 s4, s6, s4
	s_cselect_b32 s5, s7, s5
	s_add_i32 s6, s4, 1
	s_cmp_ge_u32 s5, s12
	s_cselect_b32 s14, s6, s4
.LBB15_4:
	s_clause 0x1
	s_load_b128 s[4:7], s[0:1], 0x20
	s_load_b32 s9, s[0:1], 0x30
	s_mul_i32 s13, s14, s13
	s_mul_hi_u32 s16, s14, s12
	s_mul_i32 s17, s15, s12
	s_add_i32 s13, s16, s13
	s_mul_i32 s12, s14, s12
	s_add_i32 s13, s13, s17
	s_sub_u32 s12, s10, s12
	s_subb_u32 s10, s11, s13
	s_waitcnt lgkmcnt(0)
	s_ashr_i32 s11, s4, 31
	s_mul_hi_u32 s13, s14, s4
	s_mul_i32 s11, s14, s11
	s_ashr_i32 s16, s5, 31
	s_mul_i32 s15, s15, s4
	s_mul_hi_u32 s17, s12, s5
	s_mul_i32 s18, s10, s5
	s_mul_i32 s10, s12, s5
	s_add_i32 s5, s13, s11
	s_mul_i32 s12, s12, s16
	s_mul_i32 s4, s14, s4
	s_add_i32 s5, s5, s15
	s_add_i32 s11, s17, s12
	s_lshl_b64 s[4:5], s[4:5], 1
	s_add_i32 s11, s11, s18
	s_add_u32 s4, s2, s4
	s_addc_u32 s5, s3, s5
	s_lshl_b64 s[2:3], s[10:11], 1
	s_delay_alu instid0(SALU_CYCLE_1)
	s_add_u32 s4, s4, s2
	s_addc_u32 s5, s5, s3
	s_mov_b32 s2, exec_lo
	v_cmpx_gt_u32_e32 64, v0
	s_xor_b32 s3, exec_lo, s2
	s_cbranch_execz .LBB15_154
; %bb.5:
	s_load_b64 s[10:11], s[0:1], 0x0
	s_ashr_i32 s2, s6, 31
	s_mul_hi_u32 s13, s6, s8
	s_mul_i32 s2, s2, s8
	s_mul_i32 s12, s6, s8
	s_add_i32 s13, s13, s2
	v_lshlrev_b32_e32 v1, 4, v0
	s_lshl_b64 s[12:13], s[12:13], 1
	v_mbcnt_lo_u32_b32 v2, -1, 0
	s_mov_b32 s2, exec_lo
	s_delay_alu instid0(VALU_DEP_1)
	v_xor_b32_e32 v3, 8, v2
	s_waitcnt lgkmcnt(0)
	s_add_u32 s10, s10, s12
	s_addc_u32 s11, s11, s13
	global_load_b128 v[7:10], v1, s[10:11]
	s_waitcnt vmcnt(0)
	v_and_b32_e32 v5, 0xffff0000, v7
	v_lshlrev_b32_e32 v11, 16, v8
	v_and_b32_e32 v13, 0xffff0000, v8
	v_lshlrev_b32_e32 v14, 16, v9
	v_and_b32_e32 v12, 0xffff0000, v9
	v_max_f32_e64 v9, |v5|, |v5|
	v_and_b32_e32 v1, 16, v2
	v_max_f32_e64 v16, |v13|, |v13|
	v_max_f32_e64 v17, |v11|, |v11|
	s_delay_alu instid0(VALU_DEP_3) | instskip(SKIP_3) | instid1(VALU_DEP_4)
	v_add_nc_u32_e32 v4, 16, v1
	v_lshlrev_b32_e32 v1, 16, v7
	v_and_b32_e32 v7, 0xffff0000, v10
	v_lshlrev_b32_e32 v10, 16, v10
	v_cmp_lt_i32_e32 vcc_lo, v3, v4
	s_delay_alu instid0(VALU_DEP_4) | instskip(NEXT) | instid1(VALU_DEP_4)
	v_max_f32_e64 v15, |v1|, |v1|
	v_max_f32_e64 v6, |v7|, |v7|
	s_delay_alu instid0(VALU_DEP_4) | instskip(NEXT) | instid1(VALU_DEP_1)
	v_max_f32_e64 v8, |v10|, |v10|
	v_dual_cndmask_b32 v3, v2, v3 :: v_dual_max_f32 v6, v8, v6
	s_delay_alu instid0(VALU_DEP_4) | instskip(NEXT) | instid1(VALU_DEP_2)
	v_dual_max_f32 v8, v15, v9 :: v_dual_max_f32 v9, v17, v16
	v_lshlrev_b32_e32 v3, 2, v3
	s_delay_alu instid0(VALU_DEP_3) | instskip(NEXT) | instid1(VALU_DEP_1)
	v_max3_f32 v6, |v14|, |v12|, v6
	v_max3_f32 v6, v8, v9, v6
	v_xor_b32_e32 v8, 4, v2
	ds_bpermute_b32 v3, v3, v6
	v_cmp_lt_i32_e32 vcc_lo, v8, v4
	s_waitcnt lgkmcnt(0)
	v_dual_cndmask_b32 v8, v2, v8 :: v_dual_max_f32 v3, v3, v3
	s_delay_alu instid0(VALU_DEP_1) | instskip(SKIP_2) | instid1(VALU_DEP_1)
	v_dual_max_f32 v3, v6, v3 :: v_dual_lshlrev_b32 v8, 2, v8
	ds_bpermute_b32 v6, v8, v3
	v_xor_b32_e32 v8, 2, v2
	v_cmp_lt_i32_e32 vcc_lo, v8, v4
	v_cndmask_b32_e32 v8, v2, v8, vcc_lo
	s_delay_alu instid0(VALU_DEP_1) | instskip(SKIP_2) | instid1(VALU_DEP_1)
	v_lshlrev_b32_e32 v8, 2, v8
	s_waitcnt lgkmcnt(0)
	v_max_f32_e32 v6, v6, v6
	v_max_f32_e32 v3, v3, v6
	ds_bpermute_b32 v6, v8, v3
	v_xor_b32_e32 v8, 1, v2
	s_delay_alu instid0(VALU_DEP_1) | instskip(SKIP_3) | instid1(VALU_DEP_1)
	v_cmp_lt_i32_e32 vcc_lo, v8, v4
	v_cndmask_b32_e32 v2, v2, v8, vcc_lo
	s_waitcnt lgkmcnt(0)
	v_max_f32_e32 v4, v6, v6
	v_dual_max_f32 v3, v3, v4 :: v_dual_lshlrev_b32 v2, 2, v2
	ds_bpermute_b32 v2, v2, v3
	s_waitcnt lgkmcnt(0)
	v_max_f32_e32 v2, v2, v2
	s_delay_alu instid0(VALU_DEP_1) | instskip(NEXT) | instid1(VALU_DEP_1)
	v_max_f32_e32 v2, v3, v2
	v_div_scale_f32 v3, null, 0x43e00000, 0x43e00000, v2
	v_div_scale_f32 v8, vcc_lo, v2, 0x43e00000, v2
	s_delay_alu instid0(VALU_DEP_2) | instskip(SKIP_2) | instid1(VALU_DEP_1)
	v_rcp_f32_e32 v4, v3
	s_waitcnt_depctr 0xfff
	v_fma_f32 v6, -v3, v4, 1.0
	v_fmac_f32_e32 v4, v6, v4
	s_delay_alu instid0(VALU_DEP_1) | instskip(NEXT) | instid1(VALU_DEP_1)
	v_mul_f32_e32 v6, v8, v4
	v_fma_f32 v9, -v3, v6, v8
	s_delay_alu instid0(VALU_DEP_1) | instskip(NEXT) | instid1(VALU_DEP_1)
	v_fmac_f32_e32 v6, v9, v4
	v_fma_f32 v3, -v3, v6, v8
	s_delay_alu instid0(VALU_DEP_1) | instskip(NEXT) | instid1(VALU_DEP_1)
	v_div_fmas_f32 v3, v3, v4, v6
	v_div_fixup_f32 v2, v3, 0x43e00000, v2
	s_delay_alu instid0(VALU_DEP_1) | instskip(NEXT) | instid1(VALU_DEP_1)
	v_dual_max_f32 v8, 0x800000, v2 :: v_dual_and_b32 v3, 15, v0
	v_cmpx_eq_u32_e32 0, v3
	s_cbranch_execz .LBB15_7
; %bb.6:
	s_ashr_i32 s6, s9, 31
	v_lshrrev_b32_e32 v2, 4, v0
	s_lshr_b32 s6, s6, 30
	s_delay_alu instid0(SALU_CYCLE_1) | instskip(NEXT) | instid1(SALU_CYCLE_1)
	s_add_i32 s6, s9, s6
	s_ashr_i32 s6, s6, 2
	s_delay_alu instid0(VALU_DEP_1) | instid1(SALU_CYCLE_1)
	v_add_nc_u32_e32 v2, s6, v2
	s_delay_alu instid0(VALU_DEP_1) | instskip(NEXT) | instid1(VALU_DEP_1)
	v_ashrrev_i32_e32 v3, 31, v2
	v_lshlrev_b64 v[2:3], 2, v[2:3]
	s_delay_alu instid0(VALU_DEP_1) | instskip(NEXT) | instid1(VALU_DEP_2)
	v_add_co_u32 v2, vcc_lo, s4, v2
	v_add_co_ci_u32_e32 v3, vcc_lo, s5, v3, vcc_lo
	global_store_b32 v[2:3], v8, off
.LBB15_7:
	s_or_b32 exec_lo, exec_lo, s2
	s_delay_alu instid0(VALU_DEP_2) | instskip(SKIP_1) | instid1(VALU_DEP_1)
	v_div_scale_f32 v2, null, v8, v8, v1
	s_mov_b32 s2, exec_lo
	v_rcp_f32_e32 v3, v2
	s_waitcnt_depctr 0xfff
	v_fma_f32 v4, -v2, v3, 1.0
	s_delay_alu instid0(VALU_DEP_1) | instskip(SKIP_1) | instid1(VALU_DEP_1)
	v_fmac_f32_e32 v3, v4, v3
	v_div_scale_f32 v4, vcc_lo, v1, v8, v1
	v_mul_f32_e32 v6, v4, v3
	s_delay_alu instid0(VALU_DEP_1) | instskip(NEXT) | instid1(VALU_DEP_1)
	v_fma_f32 v9, -v2, v6, v4
	v_fmac_f32_e32 v6, v9, v3
	s_delay_alu instid0(VALU_DEP_1) | instskip(NEXT) | instid1(VALU_DEP_1)
	v_fma_f32 v2, -v2, v6, v4
	v_div_fmas_f32 v2, v2, v3, v6
	s_delay_alu instid0(VALU_DEP_1) | instskip(NEXT) | instid1(VALU_DEP_1)
	v_div_fixup_f32 v4, v2, v8, v1
	v_dual_mov_b32 v2, 0 :: v_dual_and_b32 v1, 0x7fffff, v4
	v_lshrrev_b32_e32 v9, 24, v4
	s_delay_alu instid0(VALU_DEP_2) | instskip(NEXT) | instid1(VALU_DEP_2)
	v_dual_mov_b32 v16, v2 :: v_dual_and_b32 v15, 0x7f800000, v4
	v_and_b32_e32 v6, 0x80, v9
	s_delay_alu instid0(VALU_DEP_1) | instskip(NEXT) | instid1(VALU_DEP_3)
	v_or_b32_e32 v3, 0x7e, v6
	v_cmpx_ne_u64_e32 0x7f800000, v[15:16]
	s_xor_b32 s6, exec_lo, s2
	s_cbranch_execz .LBB15_25
; %bb.8:
	v_dual_mov_b32 v16, v2 :: v_dual_and_b32 v15, 0x7fffffff, v4
	s_mov_b32 s2, exec_lo
	s_delay_alu instid0(VALU_DEP_1)
	v_cmpx_gt_u64_e32 0x43e00001, v[15:16]
	s_xor_b32 s10, exec_lo, s2
	s_cbranch_execz .LBB15_22
; %bb.9:
	s_mov_b32 s11, exec_lo
	v_cmpx_ne_u32_e32 0, v4
	s_cbranch_execz .LBB15_21
; %bb.10:
	v_bfe_u32 v9, v4, 23, 8
	v_or_b32_e32 v16, 0x800000, v1
	s_delay_alu instid0(VALU_DEP_2) | instskip(SKIP_1) | instid1(VALU_DEP_2)
	v_sub_nc_u32_e32 v3, 0x79, v9
	v_cmp_gt_u32_e32 vcc_lo, 0x7a, v9
	v_cndmask_b32_e32 v3, 0, v3, vcc_lo
	v_cmp_eq_u32_e32 vcc_lo, 0, v9
	s_delay_alu instid0(VALU_DEP_2) | instskip(NEXT) | instid1(VALU_DEP_1)
	v_cndmask_b32_e64 v15, v3, 0x78, vcc_lo
	v_dual_cndmask_b32 v1, v16, v1 :: v_dual_add_nc_u32 v16, 19, v15
	v_add_nc_u32_e32 v3, 20, v15
	s_delay_alu instid0(VALU_DEP_1) | instskip(NEXT) | instid1(VALU_DEP_1)
	v_lshlrev_b64 v[3:4], v3, -1
	v_not_b32_e32 v18, v3
	s_delay_alu instid0(VALU_DEP_2) | instskip(SKIP_1) | instid1(VALU_DEP_3)
	v_not_b32_e32 v17, v4
	v_lshlrev_b64 v[3:4], v16, 1
	v_and_b32_e32 v16, v1, v18
	v_lshrrev_b64 v[1:2], v15, v[1:2]
	s_delay_alu instid0(VALU_DEP_4) | instskip(NEXT) | instid1(VALU_DEP_1)
	v_and_b32_e32 v17, 0, v17
	v_cmp_eq_u64_e64 s2, v[16:17], v[3:4]
	s_delay_alu instid0(VALU_DEP_3) | instskip(NEXT) | instid1(VALU_DEP_2)
	v_dual_mov_b32 v4, v2 :: v_dual_mov_b32 v3, v1
	s_and_saveexec_b32 s12, s2
; %bb.11:
	v_bfe_u32 v3, v1, 20, 1
	s_delay_alu instid0(VALU_DEP_1) | instskip(NEXT) | instid1(VALU_DEP_1)
	v_add_co_u32 v3, s2, v1, v3
	v_add_co_u32 v3, s2, v3, -1
; %bb.12:
	s_or_b32 exec_lo, exec_lo, s12
	v_add_nc_u32_e32 v4, 0xffffff81, v9
	v_lshrrev_b32_e32 v9, 23, v1
	s_delay_alu instid0(VALU_DEP_3) | instskip(SKIP_1) | instid1(VALU_DEP_3)
	v_and_b32_e32 v3, 0xfffff, v3
	s_mov_b32 s2, exec_lo
	v_cndmask_b32_e64 v4, v4, 0xffffff82, vcc_lo
	s_delay_alu instid0(VALU_DEP_2) | instskip(SKIP_1) | instid1(VALU_DEP_3)
	v_add_co_u32 v1, vcc_lo, v3, v1
	v_add_co_ci_u32_e32 v2, vcc_lo, 0, v2, vcc_lo
	v_add3_u32 v4, v15, v4, v9
                                        ; implicit-def: $vgpr3
	s_delay_alu instid0(VALU_DEP_1) | instskip(NEXT) | instid1(VALU_DEP_1)
	v_add_nc_u32_e32 v9, 6, v4
	v_cmpx_ne_u32_e32 0, v9
	s_xor_b32 s2, exec_lo, s2
; %bb.13:
	v_cmp_lt_u64_e32 vcc_lo, 0xffffff, v[1:2]
	v_add_nc_u32_e32 v3, 7, v4
	v_cndmask_b32_e64 v4, 0, 1, vcc_lo
	s_delay_alu instid0(VALU_DEP_2) | instskip(NEXT) | instid1(VALU_DEP_2)
	v_cndmask_b32_e32 v3, v9, v3, vcc_lo
	v_lshrrev_b64 v[1:2], v4, v[1:2]
; %bb.14:
	s_and_not1_saveexec_b32 s2, s2
; %bb.15:
	s_delay_alu instid0(VALU_DEP_1)
	v_bfe_u32 v3, v1, 23, 1
; %bb.16:
	s_or_b32 exec_lo, exec_lo, s2
	s_delay_alu instid0(VALU_DEP_2) | instskip(NEXT) | instid1(VALU_DEP_2)
	v_lshrrev_b64 v[1:2], 20, v[1:2]
	v_cmp_gt_i32_e32 vcc_lo, 16, v3
	v_cmp_ne_u32_e64 s2, 0, v3
	s_delay_alu instid0(VALU_DEP_3) | instskip(NEXT) | instid1(VALU_DEP_1)
	v_dual_cndmask_b32 v2, 0, v2 :: v_dual_cndmask_b32 v1, 7, v1
	v_cmp_ne_u64_e32 vcc_lo, 0, v[1:2]
                                        ; implicit-def: $vgpr2
	s_delay_alu instid0(VALU_DEP_3) | instskip(NEXT) | instid1(SALU_CYCLE_1)
	s_or_b32 s2, s2, vcc_lo
	s_and_saveexec_b32 s12, s2
	s_delay_alu instid0(SALU_CYCLE_1)
	s_xor_b32 s2, exec_lo, s12
; %bb.17:
	v_min_i32_e32 v2, 15, v3
	s_delay_alu instid0(VALU_DEP_1) | instskip(NEXT) | instid1(VALU_DEP_1)
	v_lshl_or_b32 v2, v2, 3, v6
                                        ; implicit-def: $vgpr6
	v_and_or_b32 v2, v1, 7, v2
; %bb.18:
	s_and_not1_saveexec_b32 s2, s2
; %bb.19:
	v_mov_b32_e32 v2, v6
; %bb.20:
	s_or_b32 exec_lo, exec_lo, s2
.LBB15_21:
	s_delay_alu instid0(SALU_CYCLE_1)
	s_or_b32 exec_lo, exec_lo, s11
                                        ; implicit-def: $vgpr3
.LBB15_22:
	s_and_not1_saveexec_b32 s2, s10
; %bb.23:
	v_mov_b32_e32 v2, v3
; %bb.24:
	s_or_b32 exec_lo, exec_lo, s2
                                        ; implicit-def: $vgpr9
                                        ; implicit-def: $vgpr3
.LBB15_25:
	s_and_not1_saveexec_b32 s2, s6
; %bb.26:
	s_delay_alu instid0(VALU_DEP_1) | instskip(SKIP_1) | instid1(VALU_DEP_1)
	v_cmp_eq_u64_e32 vcc_lo, 0, v[1:2]
	v_or_b32_e32 v4, 0x7f, v9
	v_cndmask_b32_e32 v2, v4, v3, vcc_lo
; %bb.27:
	s_or_b32 exec_lo, exec_lo, s2
	v_div_scale_f32 v1, null, v8, v8, v5
	s_mov_b32 s2, exec_lo
	s_delay_alu instid0(VALU_DEP_1) | instskip(SKIP_2) | instid1(VALU_DEP_1)
	v_rcp_f32_e32 v3, v1
	s_waitcnt_depctr 0xfff
	v_fma_f32 v4, -v1, v3, 1.0
	v_fmac_f32_e32 v3, v4, v3
	v_div_scale_f32 v4, vcc_lo, v5, v8, v5
	s_delay_alu instid0(VALU_DEP_1) | instskip(NEXT) | instid1(VALU_DEP_1)
	v_mul_f32_e32 v6, v4, v3
	v_fma_f32 v9, -v1, v6, v4
	s_delay_alu instid0(VALU_DEP_1) | instskip(NEXT) | instid1(VALU_DEP_1)
	v_fmac_f32_e32 v6, v9, v3
	v_fma_f32 v1, -v1, v6, v4
	v_mov_b32_e32 v4, 0
	s_delay_alu instid0(VALU_DEP_2) | instskip(NEXT) | instid1(VALU_DEP_1)
	v_div_fmas_f32 v1, v1, v3, v6
	v_div_fixup_f32 v5, v1, v8, v5
	s_delay_alu instid0(VALU_DEP_1) | instskip(SKIP_2) | instid1(VALU_DEP_2)
	v_and_b32_e32 v3, 0x7fffff, v5
	v_lshrrev_b32_e32 v6, 24, v5
	v_dual_mov_b32 v16, v4 :: v_dual_and_b32 v15, 0x7f800000, v5
	v_and_b32_e32 v1, 0x80, v6
	s_delay_alu instid0(VALU_DEP_1) | instskip(NEXT) | instid1(VALU_DEP_3)
	v_or_b32_e32 v9, 0x7e, v1
	v_cmpx_ne_u64_e32 0x7f800000, v[15:16]
	s_xor_b32 s6, exec_lo, s2
	s_cbranch_execz .LBB15_43
; %bb.28:
	v_dual_mov_b32 v16, v4 :: v_dual_and_b32 v15, 0x7fffffff, v5
	s_mov_b32 s2, exec_lo
	s_delay_alu instid0(VALU_DEP_1)
	v_cmpx_gt_u64_e32 0x43e00001, v[15:16]
	s_xor_b32 s10, exec_lo, s2
	s_cbranch_execz .LBB15_42
; %bb.29:
	v_mov_b32_e32 v9, 0
	s_mov_b32 s11, exec_lo
	v_cmpx_ne_u32_e32 0, v5
	s_cbranch_execz .LBB15_41
; %bb.30:
	v_bfe_u32 v9, v5, 23, 8
	v_or_b32_e32 v16, 0x800000, v3
	s_delay_alu instid0(VALU_DEP_2) | instskip(SKIP_1) | instid1(VALU_DEP_2)
	v_sub_nc_u32_e32 v5, 0x79, v9
	v_cmp_gt_u32_e32 vcc_lo, 0x7a, v9
	v_cndmask_b32_e32 v5, 0, v5, vcc_lo
	v_cmp_eq_u32_e32 vcc_lo, 0, v9
	s_delay_alu instid0(VALU_DEP_2) | instskip(SKIP_1) | instid1(VALU_DEP_2)
	v_cndmask_b32_e64 v15, v5, 0x78, vcc_lo
	v_cndmask_b32_e32 v3, v16, v3, vcc_lo
	v_add_nc_u32_e32 v16, 19, v15
	v_add_nc_u32_e32 v5, 20, v15
	s_delay_alu instid0(VALU_DEP_1) | instskip(NEXT) | instid1(VALU_DEP_1)
	v_lshlrev_b64 v[5:6], v5, -1
	v_not_b32_e32 v18, v5
	s_delay_alu instid0(VALU_DEP_2) | instskip(SKIP_1) | instid1(VALU_DEP_3)
	v_not_b32_e32 v17, v6
	v_lshlrev_b64 v[5:6], v16, 1
	v_and_b32_e32 v16, v3, v18
	v_lshrrev_b64 v[3:4], v15, v[3:4]
	s_delay_alu instid0(VALU_DEP_4) | instskip(NEXT) | instid1(VALU_DEP_1)
	v_and_b32_e32 v17, 0, v17
	v_cmp_eq_u64_e64 s2, v[16:17], v[5:6]
	s_delay_alu instid0(VALU_DEP_3) | instskip(NEXT) | instid1(VALU_DEP_2)
	v_dual_mov_b32 v6, v4 :: v_dual_mov_b32 v5, v3
	s_and_saveexec_b32 s12, s2
; %bb.31:
	v_bfe_u32 v5, v3, 20, 1
	s_delay_alu instid0(VALU_DEP_1) | instskip(NEXT) | instid1(VALU_DEP_1)
	v_add_co_u32 v5, s2, v3, v5
	v_add_co_u32 v5, s2, v5, -1
; %bb.32:
	s_or_b32 exec_lo, exec_lo, s12
	v_add_nc_u32_e32 v6, 0xffffff81, v9
	v_lshrrev_b32_e32 v9, 23, v3
	s_delay_alu instid0(VALU_DEP_3) | instskip(SKIP_1) | instid1(VALU_DEP_3)
	v_and_b32_e32 v5, 0xfffff, v5
	s_mov_b32 s2, exec_lo
	v_cndmask_b32_e64 v6, v6, 0xffffff82, vcc_lo
	s_delay_alu instid0(VALU_DEP_2) | instskip(SKIP_1) | instid1(VALU_DEP_3)
	v_add_co_u32 v3, vcc_lo, v5, v3
	v_add_co_ci_u32_e32 v4, vcc_lo, 0, v4, vcc_lo
	v_add3_u32 v6, v15, v6, v9
                                        ; implicit-def: $vgpr5
	s_delay_alu instid0(VALU_DEP_1) | instskip(NEXT) | instid1(VALU_DEP_1)
	v_add_nc_u32_e32 v9, 6, v6
	v_cmpx_ne_u32_e32 0, v9
	s_xor_b32 s2, exec_lo, s2
; %bb.33:
	v_cmp_lt_u64_e32 vcc_lo, 0xffffff, v[3:4]
	v_add_nc_u32_e32 v5, 7, v6
	v_cndmask_b32_e64 v6, 0, 1, vcc_lo
	s_delay_alu instid0(VALU_DEP_2) | instskip(NEXT) | instid1(VALU_DEP_2)
	v_cndmask_b32_e32 v5, v9, v5, vcc_lo
	v_lshrrev_b64 v[3:4], v6, v[3:4]
; %bb.34:
	s_and_not1_saveexec_b32 s2, s2
; %bb.35:
	s_delay_alu instid0(VALU_DEP_1)
	v_bfe_u32 v5, v3, 23, 1
; %bb.36:
	s_or_b32 exec_lo, exec_lo, s2
	s_delay_alu instid0(VALU_DEP_2) | instskip(NEXT) | instid1(VALU_DEP_2)
	v_lshrrev_b64 v[3:4], 20, v[3:4]
	v_cmp_gt_i32_e32 vcc_lo, 16, v5
	v_cmp_ne_u32_e64 s2, 0, v5
                                        ; implicit-def: $vgpr9
	s_delay_alu instid0(VALU_DEP_3) | instskip(NEXT) | instid1(VALU_DEP_1)
	v_dual_cndmask_b32 v4, 0, v4 :: v_dual_cndmask_b32 v3, 7, v3
	v_cmp_ne_u64_e32 vcc_lo, 0, v[3:4]
	s_delay_alu instid0(VALU_DEP_3) | instskip(NEXT) | instid1(SALU_CYCLE_1)
	s_or_b32 s2, s2, vcc_lo
	s_and_saveexec_b32 s12, s2
	s_delay_alu instid0(SALU_CYCLE_1)
	s_xor_b32 s2, exec_lo, s12
; %bb.37:
	v_min_i32_e32 v4, 15, v5
	s_delay_alu instid0(VALU_DEP_1) | instskip(NEXT) | instid1(VALU_DEP_1)
	v_lshl_or_b32 v1, v4, 3, v1
	v_and_or_b32 v9, v3, 7, v1
                                        ; implicit-def: $vgpr1
; %bb.38:
	s_and_not1_saveexec_b32 s2, s2
; %bb.39:
	v_mov_b32_e32 v9, v1
; %bb.40:
	s_or_b32 exec_lo, exec_lo, s2
.LBB15_41:
	s_delay_alu instid0(SALU_CYCLE_1)
	s_or_b32 exec_lo, exec_lo, s11
.LBB15_42:
	s_and_not1_saveexec_b32 s2, s10
	s_delay_alu instid0(SALU_CYCLE_1)
	s_or_b32 exec_lo, exec_lo, s2
                                        ; implicit-def: $vgpr6
                                        ; implicit-def: $vgpr3_vgpr4
.LBB15_43:
	s_and_not1_saveexec_b32 s2, s6
; %bb.44:
	v_cmp_eq_u64_e32 vcc_lo, 0, v[3:4]
	v_or_b32_e32 v1, 0x7f, v6
	s_delay_alu instid0(VALU_DEP_1)
	v_cndmask_b32_e32 v9, v1, v9, vcc_lo
; %bb.45:
	s_or_b32 exec_lo, exec_lo, s2
	v_div_scale_f32 v1, null, v8, v8, v11
	s_mov_b32 s2, exec_lo
	s_delay_alu instid0(VALU_DEP_1) | instskip(SKIP_2) | instid1(VALU_DEP_1)
	v_rcp_f32_e32 v3, v1
	s_waitcnt_depctr 0xfff
	v_fma_f32 v4, -v1, v3, 1.0
	v_fmac_f32_e32 v3, v4, v3
	v_div_scale_f32 v4, vcc_lo, v11, v8, v11
	s_delay_alu instid0(VALU_DEP_1) | instskip(NEXT) | instid1(VALU_DEP_1)
	v_mul_f32_e32 v5, v4, v3
	v_fma_f32 v6, -v1, v5, v4
	s_delay_alu instid0(VALU_DEP_1) | instskip(NEXT) | instid1(VALU_DEP_1)
	v_fmac_f32_e32 v5, v6, v3
	v_fma_f32 v1, -v1, v5, v4
	v_mov_b32_e32 v4, 0
	s_delay_alu instid0(VALU_DEP_1) | instskip(NEXT) | instid1(VALU_DEP_3)
	v_mov_b32_e32 v16, v4
	v_div_fmas_f32 v1, v1, v3, v5
	s_delay_alu instid0(VALU_DEP_1) | instskip(NEXT) | instid1(VALU_DEP_1)
	v_div_fixup_f32 v5, v1, v8, v11
	v_lshrrev_b32_e32 v6, 24, v5
	v_and_b32_e32 v15, 0x7f800000, v5
	v_and_b32_e32 v3, 0x7fffff, v5
	s_delay_alu instid0(VALU_DEP_3) | instskip(NEXT) | instid1(VALU_DEP_1)
	v_and_b32_e32 v1, 0x80, v6
	v_or_b32_e32 v11, 0x7e, v1
	s_delay_alu instid0(VALU_DEP_4)
	v_cmpx_ne_u64_e32 0x7f800000, v[15:16]
	s_xor_b32 s6, exec_lo, s2
	s_cbranch_execz .LBB15_61
; %bb.46:
	v_dual_mov_b32 v16, v4 :: v_dual_and_b32 v15, 0x7fffffff, v5
	s_mov_b32 s2, exec_lo
	s_delay_alu instid0(VALU_DEP_1)
	v_cmpx_gt_u64_e32 0x43e00001, v[15:16]
	s_xor_b32 s10, exec_lo, s2
	s_cbranch_execz .LBB15_60
; %bb.47:
	v_mov_b32_e32 v11, 0
	s_mov_b32 s11, exec_lo
	v_cmpx_ne_u32_e32 0, v5
	s_cbranch_execz .LBB15_59
; %bb.48:
	v_bfe_u32 v11, v5, 23, 8
	v_or_b32_e32 v16, 0x800000, v3
	s_delay_alu instid0(VALU_DEP_2) | instskip(SKIP_1) | instid1(VALU_DEP_2)
	v_sub_nc_u32_e32 v5, 0x79, v11
	v_cmp_gt_u32_e32 vcc_lo, 0x7a, v11
	v_cndmask_b32_e32 v5, 0, v5, vcc_lo
	v_cmp_eq_u32_e32 vcc_lo, 0, v11
	s_delay_alu instid0(VALU_DEP_2) | instskip(SKIP_1) | instid1(VALU_DEP_2)
	v_cndmask_b32_e64 v15, v5, 0x78, vcc_lo
	v_cndmask_b32_e32 v3, v16, v3, vcc_lo
	v_add_nc_u32_e32 v16, 19, v15
	v_add_nc_u32_e32 v5, 20, v15
	s_delay_alu instid0(VALU_DEP_1) | instskip(NEXT) | instid1(VALU_DEP_1)
	v_lshlrev_b64 v[5:6], v5, -1
	v_not_b32_e32 v18, v5
	s_delay_alu instid0(VALU_DEP_2) | instskip(SKIP_1) | instid1(VALU_DEP_3)
	v_not_b32_e32 v17, v6
	v_lshlrev_b64 v[5:6], v16, 1
	v_and_b32_e32 v16, v3, v18
	v_lshrrev_b64 v[3:4], v15, v[3:4]
	s_delay_alu instid0(VALU_DEP_4) | instskip(NEXT) | instid1(VALU_DEP_1)
	v_and_b32_e32 v17, 0, v17
	v_cmp_eq_u64_e64 s2, v[16:17], v[5:6]
	s_delay_alu instid0(VALU_DEP_3) | instskip(NEXT) | instid1(VALU_DEP_2)
	v_dual_mov_b32 v6, v4 :: v_dual_mov_b32 v5, v3
	s_and_saveexec_b32 s12, s2
; %bb.49:
	v_bfe_u32 v5, v3, 20, 1
	s_delay_alu instid0(VALU_DEP_1) | instskip(NEXT) | instid1(VALU_DEP_1)
	v_add_co_u32 v5, s2, v3, v5
	v_add_co_u32 v5, s2, v5, -1
; %bb.50:
	s_or_b32 exec_lo, exec_lo, s12
	v_add_nc_u32_e32 v6, 0xffffff81, v11
	v_lshrrev_b32_e32 v11, 23, v3
	s_delay_alu instid0(VALU_DEP_3) | instskip(SKIP_1) | instid1(VALU_DEP_3)
	v_and_b32_e32 v5, 0xfffff, v5
	s_mov_b32 s2, exec_lo
	v_cndmask_b32_e64 v6, v6, 0xffffff82, vcc_lo
	s_delay_alu instid0(VALU_DEP_2) | instskip(SKIP_1) | instid1(VALU_DEP_3)
	v_add_co_u32 v3, vcc_lo, v5, v3
	v_add_co_ci_u32_e32 v4, vcc_lo, 0, v4, vcc_lo
	v_add3_u32 v6, v15, v6, v11
                                        ; implicit-def: $vgpr5
	s_delay_alu instid0(VALU_DEP_1) | instskip(NEXT) | instid1(VALU_DEP_1)
	v_add_nc_u32_e32 v11, 6, v6
	v_cmpx_ne_u32_e32 0, v11
	s_xor_b32 s2, exec_lo, s2
; %bb.51:
	v_cmp_lt_u64_e32 vcc_lo, 0xffffff, v[3:4]
	v_add_nc_u32_e32 v5, 7, v6
	v_cndmask_b32_e64 v6, 0, 1, vcc_lo
	s_delay_alu instid0(VALU_DEP_2) | instskip(NEXT) | instid1(VALU_DEP_2)
	v_cndmask_b32_e32 v5, v11, v5, vcc_lo
	v_lshrrev_b64 v[3:4], v6, v[3:4]
; %bb.52:
	s_and_not1_saveexec_b32 s2, s2
; %bb.53:
	s_delay_alu instid0(VALU_DEP_1)
	v_bfe_u32 v5, v3, 23, 1
; %bb.54:
	s_or_b32 exec_lo, exec_lo, s2
	s_delay_alu instid0(VALU_DEP_2) | instskip(NEXT) | instid1(VALU_DEP_2)
	v_lshrrev_b64 v[3:4], 20, v[3:4]
	v_cmp_gt_i32_e32 vcc_lo, 16, v5
	v_cmp_ne_u32_e64 s2, 0, v5
                                        ; implicit-def: $vgpr11
	s_delay_alu instid0(VALU_DEP_3) | instskip(NEXT) | instid1(VALU_DEP_1)
	v_dual_cndmask_b32 v4, 0, v4 :: v_dual_cndmask_b32 v3, 7, v3
	v_cmp_ne_u64_e32 vcc_lo, 0, v[3:4]
	s_delay_alu instid0(VALU_DEP_3) | instskip(NEXT) | instid1(SALU_CYCLE_1)
	s_or_b32 s2, s2, vcc_lo
	s_and_saveexec_b32 s12, s2
	s_delay_alu instid0(SALU_CYCLE_1)
	s_xor_b32 s2, exec_lo, s12
; %bb.55:
	v_min_i32_e32 v4, 15, v5
	s_delay_alu instid0(VALU_DEP_1) | instskip(NEXT) | instid1(VALU_DEP_1)
	v_lshl_or_b32 v1, v4, 3, v1
	v_and_or_b32 v11, v3, 7, v1
                                        ; implicit-def: $vgpr1
; %bb.56:
	s_and_not1_saveexec_b32 s2, s2
; %bb.57:
	v_mov_b32_e32 v11, v1
; %bb.58:
	s_or_b32 exec_lo, exec_lo, s2
.LBB15_59:
	s_delay_alu instid0(SALU_CYCLE_1)
	s_or_b32 exec_lo, exec_lo, s11
.LBB15_60:
	s_and_not1_saveexec_b32 s2, s10
	s_delay_alu instid0(SALU_CYCLE_1)
	s_or_b32 exec_lo, exec_lo, s2
                                        ; implicit-def: $vgpr6
                                        ; implicit-def: $vgpr3_vgpr4
.LBB15_61:
	s_and_not1_saveexec_b32 s2, s6
; %bb.62:
	v_cmp_eq_u64_e32 vcc_lo, 0, v[3:4]
	v_or_b32_e32 v1, 0x7f, v6
	s_delay_alu instid0(VALU_DEP_1)
	v_cndmask_b32_e32 v11, v1, v11, vcc_lo
; %bb.63:
	s_or_b32 exec_lo, exec_lo, s2
	v_div_scale_f32 v1, null, v8, v8, v13
	s_mov_b32 s2, exec_lo
	s_delay_alu instid0(VALU_DEP_1) | instskip(SKIP_2) | instid1(VALU_DEP_1)
	v_rcp_f32_e32 v3, v1
	s_waitcnt_depctr 0xfff
	v_fma_f32 v4, -v1, v3, 1.0
	v_fmac_f32_e32 v3, v4, v3
	v_div_scale_f32 v4, vcc_lo, v13, v8, v13
	s_delay_alu instid0(VALU_DEP_1) | instskip(NEXT) | instid1(VALU_DEP_1)
	v_mul_f32_e32 v5, v4, v3
	v_fma_f32 v6, -v1, v5, v4
	s_delay_alu instid0(VALU_DEP_1) | instskip(NEXT) | instid1(VALU_DEP_1)
	v_fmac_f32_e32 v5, v6, v3
	v_fma_f32 v1, -v1, v5, v4
	v_mov_b32_e32 v4, 0
	s_delay_alu instid0(VALU_DEP_1) | instskip(NEXT) | instid1(VALU_DEP_3)
	v_mov_b32_e32 v16, v4
	v_div_fmas_f32 v1, v1, v3, v5
	s_delay_alu instid0(VALU_DEP_1) | instskip(NEXT) | instid1(VALU_DEP_1)
	v_div_fixup_f32 v5, v1, v8, v13
	v_lshrrev_b32_e32 v6, 24, v5
	v_and_b32_e32 v15, 0x7f800000, v5
	v_and_b32_e32 v3, 0x7fffff, v5
	s_delay_alu instid0(VALU_DEP_3) | instskip(NEXT) | instid1(VALU_DEP_1)
	v_and_b32_e32 v1, 0x80, v6
	v_or_b32_e32 v13, 0x7e, v1
	s_delay_alu instid0(VALU_DEP_4)
	v_cmpx_ne_u64_e32 0x7f800000, v[15:16]
	s_xor_b32 s6, exec_lo, s2
	s_cbranch_execz .LBB15_79
; %bb.64:
	v_dual_mov_b32 v16, v4 :: v_dual_and_b32 v15, 0x7fffffff, v5
	s_mov_b32 s2, exec_lo
	s_delay_alu instid0(VALU_DEP_1)
	v_cmpx_gt_u64_e32 0x43e00001, v[15:16]
	s_xor_b32 s10, exec_lo, s2
	s_cbranch_execz .LBB15_78
; %bb.65:
	v_mov_b32_e32 v13, 0
	s_mov_b32 s11, exec_lo
	v_cmpx_ne_u32_e32 0, v5
	s_cbranch_execz .LBB15_77
; %bb.66:
	v_bfe_u32 v13, v5, 23, 8
	v_or_b32_e32 v16, 0x800000, v3
	s_delay_alu instid0(VALU_DEP_2) | instskip(SKIP_1) | instid1(VALU_DEP_2)
	v_sub_nc_u32_e32 v5, 0x79, v13
	v_cmp_gt_u32_e32 vcc_lo, 0x7a, v13
	v_cndmask_b32_e32 v5, 0, v5, vcc_lo
	v_cmp_eq_u32_e32 vcc_lo, 0, v13
	s_delay_alu instid0(VALU_DEP_2) | instskip(SKIP_1) | instid1(VALU_DEP_2)
	v_cndmask_b32_e64 v15, v5, 0x78, vcc_lo
	v_cndmask_b32_e32 v3, v16, v3, vcc_lo
	v_add_nc_u32_e32 v16, 19, v15
	v_add_nc_u32_e32 v5, 20, v15
	s_delay_alu instid0(VALU_DEP_1) | instskip(NEXT) | instid1(VALU_DEP_1)
	v_lshlrev_b64 v[5:6], v5, -1
	v_not_b32_e32 v18, v5
	s_delay_alu instid0(VALU_DEP_2) | instskip(SKIP_1) | instid1(VALU_DEP_3)
	v_not_b32_e32 v17, v6
	v_lshlrev_b64 v[5:6], v16, 1
	v_and_b32_e32 v16, v3, v18
	v_lshrrev_b64 v[3:4], v15, v[3:4]
	s_delay_alu instid0(VALU_DEP_4) | instskip(NEXT) | instid1(VALU_DEP_1)
	v_and_b32_e32 v17, 0, v17
	v_cmp_eq_u64_e64 s2, v[16:17], v[5:6]
	s_delay_alu instid0(VALU_DEP_3) | instskip(NEXT) | instid1(VALU_DEP_2)
	v_dual_mov_b32 v6, v4 :: v_dual_mov_b32 v5, v3
	s_and_saveexec_b32 s12, s2
; %bb.67:
	v_bfe_u32 v5, v3, 20, 1
	s_delay_alu instid0(VALU_DEP_1) | instskip(NEXT) | instid1(VALU_DEP_1)
	v_add_co_u32 v5, s2, v3, v5
	v_add_co_u32 v5, s2, v5, -1
; %bb.68:
	s_or_b32 exec_lo, exec_lo, s12
	v_add_nc_u32_e32 v6, 0xffffff81, v13
	v_lshrrev_b32_e32 v13, 23, v3
	s_delay_alu instid0(VALU_DEP_3) | instskip(SKIP_1) | instid1(VALU_DEP_3)
	v_and_b32_e32 v5, 0xfffff, v5
	s_mov_b32 s2, exec_lo
	v_cndmask_b32_e64 v6, v6, 0xffffff82, vcc_lo
	s_delay_alu instid0(VALU_DEP_2) | instskip(SKIP_1) | instid1(VALU_DEP_3)
	v_add_co_u32 v3, vcc_lo, v5, v3
	v_add_co_ci_u32_e32 v4, vcc_lo, 0, v4, vcc_lo
	v_add3_u32 v6, v15, v6, v13
                                        ; implicit-def: $vgpr5
	s_delay_alu instid0(VALU_DEP_1) | instskip(NEXT) | instid1(VALU_DEP_1)
	v_add_nc_u32_e32 v13, 6, v6
	v_cmpx_ne_u32_e32 0, v13
	s_xor_b32 s2, exec_lo, s2
; %bb.69:
	v_cmp_lt_u64_e32 vcc_lo, 0xffffff, v[3:4]
	v_add_nc_u32_e32 v5, 7, v6
	v_cndmask_b32_e64 v6, 0, 1, vcc_lo
	s_delay_alu instid0(VALU_DEP_2) | instskip(NEXT) | instid1(VALU_DEP_2)
	v_cndmask_b32_e32 v5, v13, v5, vcc_lo
	v_lshrrev_b64 v[3:4], v6, v[3:4]
; %bb.70:
	s_and_not1_saveexec_b32 s2, s2
; %bb.71:
	s_delay_alu instid0(VALU_DEP_1)
	v_bfe_u32 v5, v3, 23, 1
; %bb.72:
	s_or_b32 exec_lo, exec_lo, s2
	s_delay_alu instid0(VALU_DEP_2) | instskip(NEXT) | instid1(VALU_DEP_2)
	v_lshrrev_b64 v[3:4], 20, v[3:4]
	v_cmp_gt_i32_e32 vcc_lo, 16, v5
	v_cmp_ne_u32_e64 s2, 0, v5
                                        ; implicit-def: $vgpr13
	s_delay_alu instid0(VALU_DEP_3) | instskip(NEXT) | instid1(VALU_DEP_1)
	v_dual_cndmask_b32 v4, 0, v4 :: v_dual_cndmask_b32 v3, 7, v3
	v_cmp_ne_u64_e32 vcc_lo, 0, v[3:4]
	s_delay_alu instid0(VALU_DEP_3) | instskip(NEXT) | instid1(SALU_CYCLE_1)
	s_or_b32 s2, s2, vcc_lo
	s_and_saveexec_b32 s12, s2
	s_delay_alu instid0(SALU_CYCLE_1)
	s_xor_b32 s2, exec_lo, s12
; %bb.73:
	v_min_i32_e32 v4, 15, v5
	s_delay_alu instid0(VALU_DEP_1) | instskip(NEXT) | instid1(VALU_DEP_1)
	v_lshl_or_b32 v1, v4, 3, v1
	v_and_or_b32 v13, v3, 7, v1
                                        ; implicit-def: $vgpr1
; %bb.74:
	s_and_not1_saveexec_b32 s2, s2
; %bb.75:
	v_mov_b32_e32 v13, v1
; %bb.76:
	s_or_b32 exec_lo, exec_lo, s2
.LBB15_77:
	s_delay_alu instid0(SALU_CYCLE_1)
	s_or_b32 exec_lo, exec_lo, s11
.LBB15_78:
	s_and_not1_saveexec_b32 s2, s10
	s_delay_alu instid0(SALU_CYCLE_1)
	s_or_b32 exec_lo, exec_lo, s2
                                        ; implicit-def: $vgpr6
                                        ; implicit-def: $vgpr3_vgpr4
.LBB15_79:
	s_and_not1_saveexec_b32 s2, s6
; %bb.80:
	v_cmp_eq_u64_e32 vcc_lo, 0, v[3:4]
	v_or_b32_e32 v1, 0x7f, v6
	s_delay_alu instid0(VALU_DEP_1)
	v_cndmask_b32_e32 v13, v1, v13, vcc_lo
; %bb.81:
	s_or_b32 exec_lo, exec_lo, s2
	v_div_scale_f32 v1, null, v8, v8, v14
	s_delay_alu instid0(VALU_DEP_1) | instskip(SKIP_2) | instid1(VALU_DEP_1)
	v_rcp_f32_e32 v3, v1
	s_waitcnt_depctr 0xfff
	v_fma_f32 v4, -v1, v3, 1.0
	v_fmac_f32_e32 v3, v4, v3
	v_div_scale_f32 v4, vcc_lo, v14, v8, v14
	s_delay_alu instid0(VALU_DEP_1) | instskip(NEXT) | instid1(VALU_DEP_1)
	v_mul_f32_e32 v5, v4, v3
	v_fma_f32 v6, -v1, v5, v4
	s_delay_alu instid0(VALU_DEP_1) | instskip(NEXT) | instid1(VALU_DEP_1)
	v_fmac_f32_e32 v5, v6, v3
	v_fma_f32 v1, -v1, v5, v4
	v_mov_b32_e32 v4, 0
	s_delay_alu instid0(VALU_DEP_2) | instskip(NEXT) | instid1(VALU_DEP_2)
	v_div_fmas_f32 v1, v1, v3, v5
	v_mov_b32_e32 v15, v4
	s_delay_alu instid0(VALU_DEP_2) | instskip(NEXT) | instid1(VALU_DEP_1)
	v_div_fixup_f32 v5, v1, v8, v14
	v_lshrrev_b32_e32 v6, 24, v5
	v_and_b32_e32 v14, 0x7f800000, v5
	v_and_b32_e32 v3, 0x7fffff, v5
	s_delay_alu instid0(VALU_DEP_3) | instskip(NEXT) | instid1(VALU_DEP_3)
	v_and_b32_e32 v1, 0x80, v6
	v_cmp_ne_u64_e32 vcc_lo, 0x7f800000, v[14:15]
	s_delay_alu instid0(VALU_DEP_2) | instskip(SKIP_1) | instid1(SALU_CYCLE_1)
	v_or_b32_e32 v14, 0x7e, v1
	s_and_saveexec_b32 s2, vcc_lo
	s_xor_b32 s6, exec_lo, s2
	s_cbranch_execz .LBB15_97
; %bb.82:
	v_dual_mov_b32 v16, v4 :: v_dual_and_b32 v15, 0x7fffffff, v5
	s_mov_b32 s2, exec_lo
	s_delay_alu instid0(VALU_DEP_1)
	v_cmpx_gt_u64_e32 0x43e00001, v[15:16]
	s_xor_b32 s10, exec_lo, s2
	s_cbranch_execz .LBB15_96
; %bb.83:
	v_mov_b32_e32 v14, 0
	s_mov_b32 s11, exec_lo
	v_cmpx_ne_u32_e32 0, v5
	s_cbranch_execz .LBB15_95
; %bb.84:
	v_bfe_u32 v14, v5, 23, 8
	v_or_b32_e32 v16, 0x800000, v3
	s_delay_alu instid0(VALU_DEP_2) | instskip(SKIP_1) | instid1(VALU_DEP_2)
	v_sub_nc_u32_e32 v5, 0x79, v14
	v_cmp_gt_u32_e32 vcc_lo, 0x7a, v14
	v_cndmask_b32_e32 v5, 0, v5, vcc_lo
	v_cmp_eq_u32_e32 vcc_lo, 0, v14
	s_delay_alu instid0(VALU_DEP_2) | instskip(SKIP_1) | instid1(VALU_DEP_2)
	v_cndmask_b32_e64 v15, v5, 0x78, vcc_lo
	v_cndmask_b32_e32 v3, v16, v3, vcc_lo
	v_add_nc_u32_e32 v16, 19, v15
	v_add_nc_u32_e32 v5, 20, v15
	s_delay_alu instid0(VALU_DEP_1) | instskip(NEXT) | instid1(VALU_DEP_1)
	v_lshlrev_b64 v[5:6], v5, -1
	v_not_b32_e32 v18, v5
	s_delay_alu instid0(VALU_DEP_2) | instskip(SKIP_1) | instid1(VALU_DEP_3)
	v_not_b32_e32 v17, v6
	v_lshlrev_b64 v[5:6], v16, 1
	v_and_b32_e32 v16, v3, v18
	v_lshrrev_b64 v[3:4], v15, v[3:4]
	s_delay_alu instid0(VALU_DEP_4) | instskip(NEXT) | instid1(VALU_DEP_1)
	v_and_b32_e32 v17, 0, v17
	v_cmp_eq_u64_e64 s2, v[16:17], v[5:6]
	s_delay_alu instid0(VALU_DEP_3) | instskip(NEXT) | instid1(VALU_DEP_2)
	v_dual_mov_b32 v6, v4 :: v_dual_mov_b32 v5, v3
	s_and_saveexec_b32 s12, s2
; %bb.85:
	v_bfe_u32 v5, v3, 20, 1
	s_delay_alu instid0(VALU_DEP_1) | instskip(NEXT) | instid1(VALU_DEP_1)
	v_add_co_u32 v5, s2, v3, v5
	v_add_co_u32 v5, s2, v5, -1
; %bb.86:
	s_or_b32 exec_lo, exec_lo, s12
	v_add_nc_u32_e32 v6, 0xffffff81, v14
	v_lshrrev_b32_e32 v14, 23, v3
	s_delay_alu instid0(VALU_DEP_3) | instskip(SKIP_1) | instid1(VALU_DEP_3)
	v_and_b32_e32 v5, 0xfffff, v5
	s_mov_b32 s2, exec_lo
	v_cndmask_b32_e64 v6, v6, 0xffffff82, vcc_lo
	s_delay_alu instid0(VALU_DEP_2) | instskip(SKIP_1) | instid1(VALU_DEP_3)
	v_add_co_u32 v3, vcc_lo, v5, v3
	v_add_co_ci_u32_e32 v4, vcc_lo, 0, v4, vcc_lo
	v_add3_u32 v6, v15, v6, v14
                                        ; implicit-def: $vgpr5
	s_delay_alu instid0(VALU_DEP_1) | instskip(NEXT) | instid1(VALU_DEP_1)
	v_add_nc_u32_e32 v14, 6, v6
	v_cmpx_ne_u32_e32 0, v14
	s_xor_b32 s2, exec_lo, s2
; %bb.87:
	v_cmp_lt_u64_e32 vcc_lo, 0xffffff, v[3:4]
	v_add_nc_u32_e32 v5, 7, v6
	v_cndmask_b32_e64 v6, 0, 1, vcc_lo
	s_delay_alu instid0(VALU_DEP_2) | instskip(NEXT) | instid1(VALU_DEP_2)
	v_cndmask_b32_e32 v5, v14, v5, vcc_lo
	v_lshrrev_b64 v[3:4], v6, v[3:4]
; %bb.88:
	s_and_not1_saveexec_b32 s2, s2
; %bb.89:
	s_delay_alu instid0(VALU_DEP_1)
	v_bfe_u32 v5, v3, 23, 1
; %bb.90:
	s_or_b32 exec_lo, exec_lo, s2
	s_delay_alu instid0(VALU_DEP_2) | instskip(NEXT) | instid1(VALU_DEP_2)
	v_lshrrev_b64 v[3:4], 20, v[3:4]
	v_cmp_gt_i32_e32 vcc_lo, 16, v5
	v_cmp_ne_u32_e64 s2, 0, v5
                                        ; implicit-def: $vgpr14
	s_delay_alu instid0(VALU_DEP_3) | instskip(NEXT) | instid1(VALU_DEP_1)
	v_dual_cndmask_b32 v4, 0, v4 :: v_dual_cndmask_b32 v3, 7, v3
	v_cmp_ne_u64_e32 vcc_lo, 0, v[3:4]
	s_delay_alu instid0(VALU_DEP_3) | instskip(NEXT) | instid1(SALU_CYCLE_1)
	s_or_b32 s2, s2, vcc_lo
	s_and_saveexec_b32 s12, s2
	s_delay_alu instid0(SALU_CYCLE_1)
	s_xor_b32 s2, exec_lo, s12
; %bb.91:
	v_min_i32_e32 v4, 15, v5
	s_delay_alu instid0(VALU_DEP_1) | instskip(NEXT) | instid1(VALU_DEP_1)
	v_lshl_or_b32 v1, v4, 3, v1
	v_and_or_b32 v14, v3, 7, v1
                                        ; implicit-def: $vgpr1
; %bb.92:
	s_and_not1_saveexec_b32 s2, s2
; %bb.93:
	v_mov_b32_e32 v14, v1
; %bb.94:
	s_or_b32 exec_lo, exec_lo, s2
.LBB15_95:
	s_delay_alu instid0(SALU_CYCLE_1)
	s_or_b32 exec_lo, exec_lo, s11
.LBB15_96:
	s_and_not1_saveexec_b32 s2, s10
	s_delay_alu instid0(SALU_CYCLE_1)
	s_or_b32 exec_lo, exec_lo, s2
                                        ; implicit-def: $vgpr6
                                        ; implicit-def: $vgpr3_vgpr4
.LBB15_97:
	s_and_not1_saveexec_b32 s2, s6
; %bb.98:
	v_cmp_eq_u64_e32 vcc_lo, 0, v[3:4]
	v_or_b32_e32 v1, 0x7f, v6
	s_delay_alu instid0(VALU_DEP_1)
	v_cndmask_b32_e32 v14, v1, v14, vcc_lo
; %bb.99:
	s_or_b32 exec_lo, exec_lo, s2
	v_div_scale_f32 v1, null, v8, v8, v12
	s_mov_b32 s2, exec_lo
	s_delay_alu instid0(VALU_DEP_1) | instskip(SKIP_2) | instid1(VALU_DEP_1)
	v_rcp_f32_e32 v3, v1
	s_waitcnt_depctr 0xfff
	v_fma_f32 v4, -v1, v3, 1.0
	v_fmac_f32_e32 v3, v4, v3
	v_div_scale_f32 v4, vcc_lo, v12, v8, v12
	s_delay_alu instid0(VALU_DEP_1) | instskip(NEXT) | instid1(VALU_DEP_1)
	v_mul_f32_e32 v5, v4, v3
	v_fma_f32 v6, -v1, v5, v4
	s_delay_alu instid0(VALU_DEP_1) | instskip(NEXT) | instid1(VALU_DEP_1)
	v_fmac_f32_e32 v5, v6, v3
	v_fma_f32 v1, -v1, v5, v4
	v_mov_b32_e32 v4, 0
	s_delay_alu instid0(VALU_DEP_1) | instskip(NEXT) | instid1(VALU_DEP_3)
	v_mov_b32_e32 v16, v4
	v_div_fmas_f32 v1, v1, v3, v5
	s_delay_alu instid0(VALU_DEP_1) | instskip(NEXT) | instid1(VALU_DEP_1)
	v_div_fixup_f32 v5, v1, v8, v12
	v_lshrrev_b32_e32 v6, 24, v5
	v_and_b32_e32 v15, 0x7f800000, v5
	v_and_b32_e32 v3, 0x7fffff, v5
	s_delay_alu instid0(VALU_DEP_3) | instskip(NEXT) | instid1(VALU_DEP_1)
	v_and_b32_e32 v1, 0x80, v6
	v_or_b32_e32 v12, 0x7e, v1
	s_delay_alu instid0(VALU_DEP_4)
	v_cmpx_ne_u64_e32 0x7f800000, v[15:16]
	s_xor_b32 s6, exec_lo, s2
	s_cbranch_execz .LBB15_115
; %bb.100:
	v_dual_mov_b32 v16, v4 :: v_dual_and_b32 v15, 0x7fffffff, v5
	s_mov_b32 s2, exec_lo
	s_delay_alu instid0(VALU_DEP_1)
	v_cmpx_gt_u64_e32 0x43e00001, v[15:16]
	s_xor_b32 s10, exec_lo, s2
	s_cbranch_execz .LBB15_114
; %bb.101:
	v_mov_b32_e32 v12, 0
	s_mov_b32 s11, exec_lo
	v_cmpx_ne_u32_e32 0, v5
	s_cbranch_execz .LBB15_113
; %bb.102:
	v_bfe_u32 v12, v5, 23, 8
	v_or_b32_e32 v16, 0x800000, v3
	s_delay_alu instid0(VALU_DEP_2) | instskip(SKIP_1) | instid1(VALU_DEP_2)
	v_sub_nc_u32_e32 v5, 0x79, v12
	v_cmp_gt_u32_e32 vcc_lo, 0x7a, v12
	v_cndmask_b32_e32 v5, 0, v5, vcc_lo
	v_cmp_eq_u32_e32 vcc_lo, 0, v12
	s_delay_alu instid0(VALU_DEP_2) | instskip(SKIP_1) | instid1(VALU_DEP_2)
	v_cndmask_b32_e64 v15, v5, 0x78, vcc_lo
	v_cndmask_b32_e32 v3, v16, v3, vcc_lo
	v_add_nc_u32_e32 v16, 19, v15
	v_add_nc_u32_e32 v5, 20, v15
	s_delay_alu instid0(VALU_DEP_1) | instskip(NEXT) | instid1(VALU_DEP_1)
	v_lshlrev_b64 v[5:6], v5, -1
	v_not_b32_e32 v18, v5
	s_delay_alu instid0(VALU_DEP_2) | instskip(SKIP_1) | instid1(VALU_DEP_3)
	v_not_b32_e32 v17, v6
	v_lshlrev_b64 v[5:6], v16, 1
	v_and_b32_e32 v16, v3, v18
	v_lshrrev_b64 v[3:4], v15, v[3:4]
	s_delay_alu instid0(VALU_DEP_4) | instskip(NEXT) | instid1(VALU_DEP_1)
	v_and_b32_e32 v17, 0, v17
	v_cmp_eq_u64_e64 s2, v[16:17], v[5:6]
	s_delay_alu instid0(VALU_DEP_3) | instskip(NEXT) | instid1(VALU_DEP_2)
	v_dual_mov_b32 v6, v4 :: v_dual_mov_b32 v5, v3
	s_and_saveexec_b32 s12, s2
; %bb.103:
	v_bfe_u32 v5, v3, 20, 1
	s_delay_alu instid0(VALU_DEP_1) | instskip(NEXT) | instid1(VALU_DEP_1)
	v_add_co_u32 v5, s2, v3, v5
	v_add_co_u32 v5, s2, v5, -1
; %bb.104:
	s_or_b32 exec_lo, exec_lo, s12
	v_add_nc_u32_e32 v6, 0xffffff81, v12
	v_lshrrev_b32_e32 v12, 23, v3
	s_delay_alu instid0(VALU_DEP_3) | instskip(SKIP_1) | instid1(VALU_DEP_3)
	v_and_b32_e32 v5, 0xfffff, v5
	s_mov_b32 s2, exec_lo
	v_cndmask_b32_e64 v6, v6, 0xffffff82, vcc_lo
	s_delay_alu instid0(VALU_DEP_2) | instskip(SKIP_1) | instid1(VALU_DEP_3)
	v_add_co_u32 v3, vcc_lo, v5, v3
	v_add_co_ci_u32_e32 v4, vcc_lo, 0, v4, vcc_lo
	v_add3_u32 v6, v15, v6, v12
                                        ; implicit-def: $vgpr5
	s_delay_alu instid0(VALU_DEP_1) | instskip(NEXT) | instid1(VALU_DEP_1)
	v_add_nc_u32_e32 v12, 6, v6
	v_cmpx_ne_u32_e32 0, v12
	s_xor_b32 s2, exec_lo, s2
; %bb.105:
	v_cmp_lt_u64_e32 vcc_lo, 0xffffff, v[3:4]
	v_add_nc_u32_e32 v5, 7, v6
	v_cndmask_b32_e64 v6, 0, 1, vcc_lo
	s_delay_alu instid0(VALU_DEP_2) | instskip(NEXT) | instid1(VALU_DEP_2)
	v_cndmask_b32_e32 v5, v12, v5, vcc_lo
	v_lshrrev_b64 v[3:4], v6, v[3:4]
; %bb.106:
	s_and_not1_saveexec_b32 s2, s2
; %bb.107:
	s_delay_alu instid0(VALU_DEP_1)
	v_bfe_u32 v5, v3, 23, 1
; %bb.108:
	s_or_b32 exec_lo, exec_lo, s2
	s_delay_alu instid0(VALU_DEP_2) | instskip(NEXT) | instid1(VALU_DEP_2)
	v_lshrrev_b64 v[3:4], 20, v[3:4]
	v_cmp_gt_i32_e32 vcc_lo, 16, v5
	v_cmp_ne_u32_e64 s2, 0, v5
                                        ; implicit-def: $vgpr12
	s_delay_alu instid0(VALU_DEP_3) | instskip(NEXT) | instid1(VALU_DEP_1)
	v_dual_cndmask_b32 v4, 0, v4 :: v_dual_cndmask_b32 v3, 7, v3
	v_cmp_ne_u64_e32 vcc_lo, 0, v[3:4]
	s_delay_alu instid0(VALU_DEP_3) | instskip(NEXT) | instid1(SALU_CYCLE_1)
	s_or_b32 s2, s2, vcc_lo
	s_and_saveexec_b32 s12, s2
	s_delay_alu instid0(SALU_CYCLE_1)
	s_xor_b32 s2, exec_lo, s12
; %bb.109:
	v_min_i32_e32 v4, 15, v5
	s_delay_alu instid0(VALU_DEP_1) | instskip(NEXT) | instid1(VALU_DEP_1)
	v_lshl_or_b32 v1, v4, 3, v1
	v_and_or_b32 v12, v3, 7, v1
                                        ; implicit-def: $vgpr1
; %bb.110:
	s_and_not1_saveexec_b32 s2, s2
; %bb.111:
	v_mov_b32_e32 v12, v1
; %bb.112:
	s_or_b32 exec_lo, exec_lo, s2
.LBB15_113:
	s_delay_alu instid0(SALU_CYCLE_1)
	s_or_b32 exec_lo, exec_lo, s11
.LBB15_114:
	s_and_not1_saveexec_b32 s2, s10
	s_delay_alu instid0(SALU_CYCLE_1)
	s_or_b32 exec_lo, exec_lo, s2
                                        ; implicit-def: $vgpr6
                                        ; implicit-def: $vgpr3_vgpr4
.LBB15_115:
	s_and_not1_saveexec_b32 s2, s6
; %bb.116:
	v_cmp_eq_u64_e32 vcc_lo, 0, v[3:4]
	v_or_b32_e32 v1, 0x7f, v6
	s_delay_alu instid0(VALU_DEP_1)
	v_cndmask_b32_e32 v12, v1, v12, vcc_lo
; %bb.117:
	s_or_b32 exec_lo, exec_lo, s2
	v_div_scale_f32 v1, null, v8, v8, v10
	s_mov_b32 s2, exec_lo
	s_delay_alu instid0(VALU_DEP_1) | instskip(SKIP_2) | instid1(VALU_DEP_1)
	v_rcp_f32_e32 v3, v1
	s_waitcnt_depctr 0xfff
	v_fma_f32 v4, -v1, v3, 1.0
	v_fmac_f32_e32 v3, v4, v3
	v_div_scale_f32 v4, vcc_lo, v10, v8, v10
	s_delay_alu instid0(VALU_DEP_1) | instskip(NEXT) | instid1(VALU_DEP_1)
	v_mul_f32_e32 v5, v4, v3
	v_fma_f32 v6, -v1, v5, v4
	s_delay_alu instid0(VALU_DEP_1) | instskip(NEXT) | instid1(VALU_DEP_1)
	v_fmac_f32_e32 v5, v6, v3
	v_fma_f32 v1, -v1, v5, v4
	v_mov_b32_e32 v4, 0
	s_delay_alu instid0(VALU_DEP_1) | instskip(NEXT) | instid1(VALU_DEP_3)
	v_mov_b32_e32 v16, v4
	v_div_fmas_f32 v1, v1, v3, v5
	s_delay_alu instid0(VALU_DEP_1) | instskip(NEXT) | instid1(VALU_DEP_1)
	v_div_fixup_f32 v6, v1, v8, v10
	v_lshrrev_b32_e32 v10, 24, v6
	v_and_b32_e32 v15, 0x7f800000, v6
	v_and_b32_e32 v3, 0x7fffff, v6
	s_delay_alu instid0(VALU_DEP_3) | instskip(NEXT) | instid1(VALU_DEP_1)
	v_and_b32_e32 v1, 0x80, v10
	v_or_b32_e32 v5, 0x7e, v1
	s_delay_alu instid0(VALU_DEP_4)
	v_cmpx_ne_u64_e32 0x7f800000, v[15:16]
	s_xor_b32 s6, exec_lo, s2
	s_cbranch_execz .LBB15_133
; %bb.118:
	v_dual_mov_b32 v16, v4 :: v_dual_and_b32 v15, 0x7fffffff, v6
	s_mov_b32 s2, exec_lo
	s_delay_alu instid0(VALU_DEP_1)
	v_cmpx_gt_u64_e32 0x43e00001, v[15:16]
	s_xor_b32 s10, exec_lo, s2
	s_cbranch_execz .LBB15_132
; %bb.119:
	v_mov_b32_e32 v5, 0
	s_mov_b32 s11, exec_lo
	v_cmpx_ne_u32_e32 0, v6
	s_cbranch_execz .LBB15_131
; %bb.120:
	v_bfe_u32 v10, v6, 23, 8
	v_or_b32_e32 v16, 0x800000, v3
	s_delay_alu instid0(VALU_DEP_2) | instskip(SKIP_1) | instid1(VALU_DEP_2)
	v_sub_nc_u32_e32 v5, 0x79, v10
	v_cmp_gt_u32_e32 vcc_lo, 0x7a, v10
	v_cndmask_b32_e32 v5, 0, v5, vcc_lo
	v_cmp_eq_u32_e32 vcc_lo, 0, v10
	s_delay_alu instid0(VALU_DEP_2) | instskip(SKIP_1) | instid1(VALU_DEP_2)
	v_cndmask_b32_e64 v15, v5, 0x78, vcc_lo
	v_cndmask_b32_e32 v3, v16, v3, vcc_lo
	v_add_nc_u32_e32 v16, 19, v15
	v_add_nc_u32_e32 v5, 20, v15
	s_delay_alu instid0(VALU_DEP_1) | instskip(NEXT) | instid1(VALU_DEP_1)
	v_lshlrev_b64 v[5:6], v5, -1
	v_not_b32_e32 v18, v5
	s_delay_alu instid0(VALU_DEP_2) | instskip(SKIP_1) | instid1(VALU_DEP_3)
	v_not_b32_e32 v17, v6
	v_lshlrev_b64 v[5:6], v16, 1
	v_and_b32_e32 v16, v3, v18
	v_lshrrev_b64 v[3:4], v15, v[3:4]
	s_delay_alu instid0(VALU_DEP_4) | instskip(NEXT) | instid1(VALU_DEP_1)
	v_and_b32_e32 v17, 0, v17
	v_cmp_eq_u64_e64 s2, v[16:17], v[5:6]
	s_delay_alu instid0(VALU_DEP_3) | instskip(NEXT) | instid1(VALU_DEP_2)
	v_dual_mov_b32 v6, v4 :: v_dual_mov_b32 v5, v3
	s_and_saveexec_b32 s12, s2
; %bb.121:
	v_bfe_u32 v5, v3, 20, 1
	s_delay_alu instid0(VALU_DEP_1) | instskip(NEXT) | instid1(VALU_DEP_1)
	v_add_co_u32 v5, s2, v3, v5
	v_add_co_u32 v5, s2, v5, -1
; %bb.122:
	s_or_b32 exec_lo, exec_lo, s12
	v_add_nc_u32_e32 v6, 0xffffff81, v10
	v_lshrrev_b32_e32 v10, 23, v3
	s_mov_b32 s2, exec_lo
	s_delay_alu instid0(VALU_DEP_2) | instskip(NEXT) | instid1(VALU_DEP_1)
	v_cndmask_b32_e64 v6, v6, 0xffffff82, vcc_lo
	v_add3_u32 v10, v15, v6, v10
	v_and_b32_e32 v6, 0xfffff, v5
	s_delay_alu instid0(VALU_DEP_2) | instskip(NEXT) | instid1(VALU_DEP_2)
	v_add_nc_u32_e32 v5, 6, v10
	v_add_co_u32 v3, vcc_lo, v6, v3
	v_add_co_ci_u32_e32 v4, vcc_lo, 0, v4, vcc_lo
                                        ; implicit-def: $vgpr6
	s_delay_alu instid0(VALU_DEP_3)
	v_cmpx_ne_u32_e32 0, v5
	s_xor_b32 s2, exec_lo, s2
; %bb.123:
	s_delay_alu instid0(VALU_DEP_2) | instskip(SKIP_1) | instid1(VALU_DEP_1)
	v_cmp_lt_u64_e32 vcc_lo, 0xffffff, v[3:4]
	v_add_nc_u32_e32 v6, 7, v10
	v_cndmask_b32_e32 v6, v5, v6, vcc_lo
	v_cndmask_b32_e64 v5, 0, 1, vcc_lo
	s_delay_alu instid0(VALU_DEP_1)
	v_lshrrev_b64 v[3:4], v5, v[3:4]
; %bb.124:
	s_and_not1_saveexec_b32 s2, s2
; %bb.125:
	s_delay_alu instid0(VALU_DEP_1)
	v_bfe_u32 v6, v3, 23, 1
; %bb.126:
	s_or_b32 exec_lo, exec_lo, s2
	s_delay_alu instid0(VALU_DEP_2) | instskip(NEXT) | instid1(VALU_DEP_2)
	v_lshrrev_b64 v[3:4], 20, v[3:4]
	v_cmp_gt_i32_e32 vcc_lo, 16, v6
	v_cmp_ne_u32_e64 s2, 0, v6
                                        ; implicit-def: $vgpr5
	s_delay_alu instid0(VALU_DEP_3) | instskip(NEXT) | instid1(VALU_DEP_1)
	v_dual_cndmask_b32 v4, 0, v4 :: v_dual_cndmask_b32 v3, 7, v3
	v_cmp_ne_u64_e32 vcc_lo, 0, v[3:4]
	s_delay_alu instid0(VALU_DEP_3) | instskip(NEXT) | instid1(SALU_CYCLE_1)
	s_or_b32 s2, s2, vcc_lo
	s_and_saveexec_b32 s12, s2
	s_delay_alu instid0(SALU_CYCLE_1)
	s_xor_b32 s2, exec_lo, s12
; %bb.127:
	v_min_i32_e32 v4, 15, v6
	s_delay_alu instid0(VALU_DEP_1) | instskip(NEXT) | instid1(VALU_DEP_1)
	v_lshl_or_b32 v1, v4, 3, v1
	v_and_or_b32 v5, v3, 7, v1
                                        ; implicit-def: $vgpr1
; %bb.128:
	s_and_not1_saveexec_b32 s2, s2
; %bb.129:
	v_mov_b32_e32 v5, v1
; %bb.130:
	s_or_b32 exec_lo, exec_lo, s2
.LBB15_131:
	s_delay_alu instid0(SALU_CYCLE_1)
	s_or_b32 exec_lo, exec_lo, s11
.LBB15_132:
	s_and_not1_saveexec_b32 s2, s10
	s_delay_alu instid0(SALU_CYCLE_1)
	s_or_b32 exec_lo, exec_lo, s2
                                        ; implicit-def: $vgpr10
                                        ; implicit-def: $vgpr3_vgpr4
.LBB15_133:
	s_and_not1_saveexec_b32 s2, s6
; %bb.134:
	v_cmp_eq_u64_e32 vcc_lo, 0, v[3:4]
	v_or_b32_e32 v1, 0x7f, v10
	s_delay_alu instid0(VALU_DEP_1)
	v_cndmask_b32_e32 v5, v1, v5, vcc_lo
; %bb.135:
	s_or_b32 exec_lo, exec_lo, s2
	v_div_scale_f32 v1, null, v8, v8, v7
	s_mov_b32 s2, exec_lo
	s_delay_alu instid0(VALU_DEP_1) | instskip(SKIP_2) | instid1(VALU_DEP_1)
	v_rcp_f32_e32 v3, v1
	s_waitcnt_depctr 0xfff
	v_fma_f32 v4, -v1, v3, 1.0
	v_fmac_f32_e32 v3, v4, v3
	v_div_scale_f32 v4, vcc_lo, v7, v8, v7
	s_delay_alu instid0(VALU_DEP_1) | instskip(NEXT) | instid1(VALU_DEP_1)
	v_mul_f32_e32 v6, v4, v3
	v_fma_f32 v10, -v1, v6, v4
	s_delay_alu instid0(VALU_DEP_1) | instskip(NEXT) | instid1(VALU_DEP_1)
	v_fmac_f32_e32 v6, v10, v3
	v_fma_f32 v1, -v1, v6, v4
	s_delay_alu instid0(VALU_DEP_1) | instskip(SKIP_1) | instid1(VALU_DEP_2)
	v_div_fmas_f32 v1, v1, v3, v6
	v_lshlrev_b32_e32 v6, 3, v0
	v_div_fixup_f32 v4, v1, v8, v7
	v_mov_b32_e32 v1, 0
	s_delay_alu instid0(VALU_DEP_2) | instskip(SKIP_1) | instid1(VALU_DEP_3)
	v_and_b32_e32 v15, 0x7f800000, v4
	v_lshrrev_b32_e32 v8, 24, v4
	v_mov_b32_e32 v16, v1
	v_and_b32_e32 v0, 0x7fffff, v4
	s_delay_alu instid0(VALU_DEP_3) | instskip(NEXT) | instid1(VALU_DEP_1)
	v_and_b32_e32 v7, 0x80, v8
	v_or_b32_e32 v3, 0x7e, v7
	s_delay_alu instid0(VALU_DEP_4)
	v_cmpx_ne_u64_e32 0x7f800000, v[15:16]
	s_xor_b32 s6, exec_lo, s2
	s_cbranch_execz .LBB15_151
; %bb.136:
	v_dual_mov_b32 v16, v1 :: v_dual_and_b32 v15, 0x7fffffff, v4
	s_mov_b32 s2, exec_lo
	s_delay_alu instid0(VALU_DEP_1)
	v_cmpx_gt_u64_e32 0x43e00001, v[15:16]
	s_xor_b32 s10, exec_lo, s2
	s_cbranch_execz .LBB15_150
; %bb.137:
	v_mov_b32_e32 v3, 0
	s_mov_b32 s11, exec_lo
	v_cmpx_ne_u32_e32 0, v4
	s_cbranch_execz .LBB15_149
; %bb.138:
	v_bfe_u32 v8, v4, 23, 8
	v_or_b32_e32 v15, 0x800000, v0
	s_delay_alu instid0(VALU_DEP_2) | instskip(SKIP_1) | instid1(VALU_DEP_2)
	v_sub_nc_u32_e32 v3, 0x79, v8
	v_cmp_gt_u32_e32 vcc_lo, 0x7a, v8
	v_cndmask_b32_e32 v3, 0, v3, vcc_lo
	v_cmp_eq_u32_e32 vcc_lo, 0, v8
	v_cndmask_b32_e32 v0, v15, v0, vcc_lo
	s_delay_alu instid0(VALU_DEP_3) | instskip(NEXT) | instid1(VALU_DEP_1)
	v_cndmask_b32_e64 v10, v3, 0x78, vcc_lo
	v_add_nc_u32_e32 v3, 20, v10
	v_add_nc_u32_e32 v15, 19, v10
	s_delay_alu instid0(VALU_DEP_2) | instskip(NEXT) | instid1(VALU_DEP_1)
	v_lshlrev_b64 v[3:4], v3, -1
	v_not_b32_e32 v17, v3
	s_delay_alu instid0(VALU_DEP_2) | instskip(NEXT) | instid1(VALU_DEP_4)
	v_not_b32_e32 v16, v4
	v_lshlrev_b64 v[3:4], v15, 1
	s_delay_alu instid0(VALU_DEP_3) | instskip(SKIP_1) | instid1(VALU_DEP_4)
	v_and_b32_e32 v15, v0, v17
	v_lshrrev_b64 v[0:1], v10, v[0:1]
	v_and_b32_e32 v16, 0, v16
	s_delay_alu instid0(VALU_DEP_1) | instskip(NEXT) | instid1(VALU_DEP_3)
	v_cmp_eq_u64_e64 s2, v[15:16], v[3:4]
	v_dual_mov_b32 v4, v1 :: v_dual_mov_b32 v3, v0
	s_delay_alu instid0(VALU_DEP_2)
	s_and_saveexec_b32 s12, s2
; %bb.139:
	v_bfe_u32 v3, v0, 20, 1
	s_delay_alu instid0(VALU_DEP_1) | instskip(NEXT) | instid1(VALU_DEP_1)
	v_add_co_u32 v3, s2, v0, v3
	v_add_co_u32 v3, s2, v3, -1
; %bb.140:
	s_or_b32 exec_lo, exec_lo, s12
	v_add_nc_u32_e32 v4, 0xffffff81, v8
	v_lshrrev_b32_e32 v8, 23, v0
	s_mov_b32 s2, exec_lo
	s_delay_alu instid0(VALU_DEP_2) | instskip(NEXT) | instid1(VALU_DEP_1)
	v_cndmask_b32_e64 v4, v4, 0xffffff82, vcc_lo
	v_add3_u32 v8, v10, v4, v8
	v_and_b32_e32 v4, 0xfffff, v3
	s_delay_alu instid0(VALU_DEP_2) | instskip(NEXT) | instid1(VALU_DEP_2)
	v_add_nc_u32_e32 v3, 6, v8
	v_add_co_u32 v0, vcc_lo, v4, v0
	v_add_co_ci_u32_e32 v1, vcc_lo, 0, v1, vcc_lo
                                        ; implicit-def: $vgpr4
	s_delay_alu instid0(VALU_DEP_3)
	v_cmpx_ne_u32_e32 0, v3
	s_xor_b32 s2, exec_lo, s2
; %bb.141:
	s_delay_alu instid0(VALU_DEP_2) | instskip(SKIP_1) | instid1(VALU_DEP_1)
	v_cmp_lt_u64_e32 vcc_lo, 0xffffff, v[0:1]
	v_add_nc_u32_e32 v4, 7, v8
	v_cndmask_b32_e32 v4, v3, v4, vcc_lo
	v_cndmask_b32_e64 v3, 0, 1, vcc_lo
	s_delay_alu instid0(VALU_DEP_1)
	v_lshrrev_b64 v[0:1], v3, v[0:1]
; %bb.142:
	s_and_not1_saveexec_b32 s2, s2
; %bb.143:
	s_delay_alu instid0(VALU_DEP_1)
	v_bfe_u32 v4, v0, 23, 1
; %bb.144:
	s_or_b32 exec_lo, exec_lo, s2
	s_delay_alu instid0(VALU_DEP_2) | instskip(NEXT) | instid1(VALU_DEP_2)
	v_lshrrev_b64 v[0:1], 20, v[0:1]
	v_cmp_gt_i32_e32 vcc_lo, 16, v4
	v_cmp_ne_u32_e64 s2, 0, v4
                                        ; implicit-def: $vgpr3
	s_delay_alu instid0(VALU_DEP_3) | instskip(NEXT) | instid1(VALU_DEP_1)
	v_dual_cndmask_b32 v1, 0, v1 :: v_dual_cndmask_b32 v0, 7, v0
	v_cmp_ne_u64_e32 vcc_lo, 0, v[0:1]
	s_delay_alu instid0(VALU_DEP_3) | instskip(NEXT) | instid1(SALU_CYCLE_1)
	s_or_b32 s2, s2, vcc_lo
	s_and_saveexec_b32 s12, s2
	s_delay_alu instid0(SALU_CYCLE_1)
	s_xor_b32 s2, exec_lo, s12
; %bb.145:
	v_min_i32_e32 v1, 15, v4
	s_delay_alu instid0(VALU_DEP_1) | instskip(NEXT) | instid1(VALU_DEP_1)
	v_lshl_or_b32 v1, v1, 3, v7
                                        ; implicit-def: $vgpr7
	v_and_or_b32 v3, v0, 7, v1
; %bb.146:
	s_and_not1_saveexec_b32 s2, s2
; %bb.147:
	v_mov_b32_e32 v3, v7
; %bb.148:
	s_or_b32 exec_lo, exec_lo, s2
.LBB15_149:
	s_delay_alu instid0(SALU_CYCLE_1)
	s_or_b32 exec_lo, exec_lo, s11
.LBB15_150:
	s_and_not1_saveexec_b32 s2, s10
	s_delay_alu instid0(SALU_CYCLE_1)
	s_or_b32 exec_lo, exec_lo, s2
                                        ; implicit-def: $vgpr8
                                        ; implicit-def: $vgpr0_vgpr1
.LBB15_151:
	s_and_not1_saveexec_b32 s2, s6
; %bb.152:
	v_cmp_eq_u64_e32 vcc_lo, 0, v[0:1]
	v_or_b32_e32 v4, 0x7f, v8
	s_delay_alu instid0(VALU_DEP_1)
	v_cndmask_b32_e32 v3, v4, v3, vcc_lo
; %bb.153:
	s_or_b32 exec_lo, exec_lo, s2
	v_lshlrev_b16 v0, 8, v12
	v_and_b32_e32 v1, 0xff, v14
	s_delay_alu instid0(VALU_DEP_3)
	v_lshlrev_b16 v3, 8, v3
	v_and_b32_e32 v4, 0xff, v5
	v_lshlrev_b16 v5, 8, v9
	v_and_b32_e32 v2, 0xff, v2
	;; [unrolled: 2-line block ×3, first 2 shown]
	v_or_b32_e32 v0, v1, v0
	v_or_b32_e32 v1, v4, v3
	;; [unrolled: 1-line block ×3, first 2 shown]
	s_delay_alu instid0(VALU_DEP_4) | instskip(NEXT) | instid1(VALU_DEP_4)
	v_or_b32_e32 v3, v8, v7
	v_and_b32_e32 v0, 0xffff, v0
	s_delay_alu instid0(VALU_DEP_4) | instskip(NEXT) | instid1(VALU_DEP_4)
	v_lshlrev_b32_e32 v1, 16, v1
	v_and_b32_e32 v2, 0xffff, v2
	s_delay_alu instid0(VALU_DEP_4) | instskip(NEXT) | instid1(VALU_DEP_3)
	v_lshlrev_b32_e32 v3, 16, v3
	v_or_b32_e32 v1, v0, v1
	s_delay_alu instid0(VALU_DEP_2)
	v_or_b32_e32 v0, v2, v3
	v_lshlrev_b32_e32 v2, 1, v6
	global_store_b64 v2, v[0:1], s[4:5]
                                        ; implicit-def: $vgpr0
.LBB15_154:
	s_and_not1_saveexec_b32 s2, s3
	s_cbranch_execz .LBB15_156
; %bb.155:
	v_lshlrev_b16 v0, 1, v0
	s_load_b64 s[0:1], s[0:1], 0x8
	s_ashr_i32 s2, s7, 31
	s_mul_hi_u32 s3, s7, s8
	s_mul_i32 s6, s2, s8
	v_xor_b32_e32 v0, 0x80, v0
	s_mul_i32 s2, s7, s8
	s_add_i32 s3, s3, s6
	s_delay_alu instid0(SALU_CYCLE_1) | instskip(NEXT) | instid1(VALU_DEP_1)
	s_lshl_b64 s[2:3], s[2:3], 1
	v_bfe_i32 v0, v0, 0, 8
	s_delay_alu instid0(VALU_DEP_1) | instskip(NEXT) | instid1(VALU_DEP_1)
	v_ashrrev_i32_e32 v1, 31, v0
	v_lshlrev_b64 v[2:3], 1, v[0:1]
	s_waitcnt lgkmcnt(0)
	s_add_u32 s0, s0, s2
	s_addc_u32 s1, s1, s3
	s_delay_alu instid0(VALU_DEP_1) | instskip(NEXT) | instid1(VALU_DEP_2)
	v_add_co_u32 v2, vcc_lo, s0, v2
	v_add_co_ci_u32_e32 v3, vcc_lo, s1, v3, vcc_lo
	s_lshr_b32 s0, s9, 31
	s_delay_alu instid0(SALU_CYCLE_1) | instskip(SKIP_2) | instid1(SALU_CYCLE_1)
	s_add_i32 s9, s9, s0
	global_load_b32 v2, v[2:3], off
	s_ashr_i32 s0, s9, 1
	s_ashr_i32 s1, s0, 31
	v_add_co_u32 v0, vcc_lo, v0, s0
	v_add_co_ci_u32_e32 v1, vcc_lo, s1, v1, vcc_lo
	s_delay_alu instid0(VALU_DEP_1) | instskip(NEXT) | instid1(VALU_DEP_1)
	v_lshlrev_b64 v[0:1], 1, v[0:1]
	v_add_co_u32 v0, vcc_lo, s4, v0
	s_delay_alu instid0(VALU_DEP_2)
	v_add_co_ci_u32_e32 v1, vcc_lo, s5, v1, vcc_lo
	s_waitcnt vmcnt(0)
	global_store_b32 v[0:1], v2, off offset:16
.LBB15_156:
	s_nop 0
	s_sendmsg sendmsg(MSG_DEALLOC_VGPRS)
	s_endpgm
.LBB15_157:
                                        ; implicit-def: $sgpr14_sgpr15
	s_branch .LBB15_3
	.section	.rodata,"a",@progbits
	.p2align	6, 0x0
	.amdhsa_kernel _ZN4vllm30concat_and_cache_ds_mla_kernelI14__hip_bfloat16S1_LNS_18Fp8KVCacheDataTypeE0EEEvPKT_S5_PT0_PKliiiiiiiPKf
		.amdhsa_group_segment_fixed_size 0
		.amdhsa_private_segment_fixed_size 0
		.amdhsa_kernarg_size 72
		.amdhsa_user_sgpr_count 15
		.amdhsa_user_sgpr_dispatch_ptr 0
		.amdhsa_user_sgpr_queue_ptr 0
		.amdhsa_user_sgpr_kernarg_segment_ptr 1
		.amdhsa_user_sgpr_dispatch_id 0
		.amdhsa_user_sgpr_private_segment_size 0
		.amdhsa_wavefront_size32 1
		.amdhsa_uses_dynamic_stack 0
		.amdhsa_enable_private_segment 0
		.amdhsa_system_sgpr_workgroup_id_x 1
		.amdhsa_system_sgpr_workgroup_id_y 0
		.amdhsa_system_sgpr_workgroup_id_z 0
		.amdhsa_system_sgpr_workgroup_info 0
		.amdhsa_system_vgpr_workitem_id 0
		.amdhsa_next_free_vgpr 19
		.amdhsa_next_free_sgpr 25
		.amdhsa_reserve_vcc 1
		.amdhsa_float_round_mode_32 0
		.amdhsa_float_round_mode_16_64 0
		.amdhsa_float_denorm_mode_32 3
		.amdhsa_float_denorm_mode_16_64 3
		.amdhsa_dx10_clamp 1
		.amdhsa_ieee_mode 1
		.amdhsa_fp16_overflow 0
		.amdhsa_workgroup_processor_mode 1
		.amdhsa_memory_ordered 1
		.amdhsa_forward_progress 0
		.amdhsa_shared_vgpr_count 0
		.amdhsa_exception_fp_ieee_invalid_op 0
		.amdhsa_exception_fp_denorm_src 0
		.amdhsa_exception_fp_ieee_div_zero 0
		.amdhsa_exception_fp_ieee_overflow 0
		.amdhsa_exception_fp_ieee_underflow 0
		.amdhsa_exception_fp_ieee_inexact 0
		.amdhsa_exception_int_div_zero 0
	.end_amdhsa_kernel
	.section	.text._ZN4vllm30concat_and_cache_ds_mla_kernelI14__hip_bfloat16S1_LNS_18Fp8KVCacheDataTypeE0EEEvPKT_S5_PT0_PKliiiiiiiPKf,"axG",@progbits,_ZN4vllm30concat_and_cache_ds_mla_kernelI14__hip_bfloat16S1_LNS_18Fp8KVCacheDataTypeE0EEEvPKT_S5_PT0_PKliiiiiiiPKf,comdat
.Lfunc_end15:
	.size	_ZN4vllm30concat_and_cache_ds_mla_kernelI14__hip_bfloat16S1_LNS_18Fp8KVCacheDataTypeE0EEEvPKT_S5_PT0_PKliiiiiiiPKf, .Lfunc_end15-_ZN4vllm30concat_and_cache_ds_mla_kernelI14__hip_bfloat16S1_LNS_18Fp8KVCacheDataTypeE0EEEvPKT_S5_PT0_PKliiiiiiiPKf
                                        ; -- End function
	.section	.AMDGPU.csdata,"",@progbits
; Kernel info:
; codeLenInByte = 7392
; NumSgprs: 27
; NumVgprs: 19
; ScratchSize: 0
; MemoryBound: 0
; FloatMode: 240
; IeeeMode: 1
; LDSByteSize: 0 bytes/workgroup (compile time only)
; SGPRBlocks: 3
; VGPRBlocks: 2
; NumSGPRsForWavesPerEU: 27
; NumVGPRsForWavesPerEU: 19
; Occupancy: 16
; WaveLimiterHint : 0
; COMPUTE_PGM_RSRC2:SCRATCH_EN: 0
; COMPUTE_PGM_RSRC2:USER_SGPR: 15
; COMPUTE_PGM_RSRC2:TRAP_HANDLER: 0
; COMPUTE_PGM_RSRC2:TGID_X_EN: 1
; COMPUTE_PGM_RSRC2:TGID_Y_EN: 0
; COMPUTE_PGM_RSRC2:TGID_Z_EN: 0
; COMPUTE_PGM_RSRC2:TIDIG_COMP_CNT: 0
	.section	.text._ZN4vllm30concat_and_cache_ds_mla_kernelIfhLNS_18Fp8KVCacheDataTypeE1EEEvPKT_S4_PT0_PKliiiiiiiPKf,"axG",@progbits,_ZN4vllm30concat_and_cache_ds_mla_kernelIfhLNS_18Fp8KVCacheDataTypeE1EEEvPKT_S4_PT0_PKliiiiiiiPKf,comdat
	.protected	_ZN4vllm30concat_and_cache_ds_mla_kernelIfhLNS_18Fp8KVCacheDataTypeE1EEEvPKT_S4_PT0_PKliiiiiiiPKf ; -- Begin function _ZN4vllm30concat_and_cache_ds_mla_kernelIfhLNS_18Fp8KVCacheDataTypeE1EEEvPKT_S4_PT0_PKliiiiiiiPKf
	.globl	_ZN4vllm30concat_and_cache_ds_mla_kernelIfhLNS_18Fp8KVCacheDataTypeE1EEEvPKT_S4_PT0_PKliiiiiiiPKf
	.p2align	8
	.type	_ZN4vllm30concat_and_cache_ds_mla_kernelIfhLNS_18Fp8KVCacheDataTypeE1EEEvPKT_S4_PT0_PKliiiiiiiPKf,@function
_ZN4vllm30concat_and_cache_ds_mla_kernelIfhLNS_18Fp8KVCacheDataTypeE1EEEvPKT_S4_PT0_PKliiiiiiiPKf: ; @_ZN4vllm30concat_and_cache_ds_mla_kernelIfhLNS_18Fp8KVCacheDataTypeE1EEEvPKT_S4_PT0_PKliiiiiiiPKf
; %bb.0:
	s_load_b64 s[4:5], s[0:1], 0x18
	s_mov_b32 s2, s15
	s_mov_b32 s3, 0
	s_delay_alu instid0(SALU_CYCLE_1)
	s_lshl_b64 s[6:7], s[2:3], 3
	s_waitcnt lgkmcnt(0)
	s_add_u32 s4, s4, s6
	s_addc_u32 s5, s5, s7
	s_load_b64 s[8:9], s[4:5], 0x0
	s_waitcnt lgkmcnt(0)
	v_cmp_lt_i64_e64 s4, s[8:9], 0
	s_delay_alu instid0(VALU_DEP_1)
	s_and_b32 vcc_lo, exec_lo, s4
	s_cbranch_vccnz .LBB16_5
; %bb.1:
	s_clause 0x1
	s_load_b32 s10, s[0:1], 0x38
	s_load_b128 s[4:7], s[0:1], 0x8
	s_waitcnt lgkmcnt(0)
	s_ashr_i32 s11, s10, 31
	s_delay_alu instid0(SALU_CYCLE_1) | instskip(SKIP_1) | instid1(SALU_CYCLE_1)
	s_or_b64 s[12:13], s[8:9], s[10:11]
	s_mov_b32 s12, s3
	s_cmp_lg_u64 s[12:13], 0
	s_cbranch_scc0 .LBB16_6
; %bb.2:
	s_add_u32 s14, s10, s11
	s_mov_b32 s12, s11
	s_mov_b32 s13, s11
	s_addc_u32 s15, s11, s11
	s_delay_alu instid0(SALU_CYCLE_1) | instskip(NEXT) | instid1(SALU_CYCLE_1)
	s_xor_b64 s[14:15], s[14:15], s[12:13]
	v_cvt_f32_u32_e32 v1, s14
	v_cvt_f32_u32_e32 v2, s15
	s_sub_u32 s17, 0, s14
	s_subb_u32 s18, 0, s15
	s_delay_alu instid0(VALU_DEP_1) | instskip(NEXT) | instid1(VALU_DEP_1)
	v_fmamk_f32 v1, v2, 0x4f800000, v1
	v_rcp_f32_e32 v1, v1
	s_waitcnt_depctr 0xfff
	v_mul_f32_e32 v1, 0x5f7ffffc, v1
	s_delay_alu instid0(VALU_DEP_1) | instskip(NEXT) | instid1(VALU_DEP_1)
	v_mul_f32_e32 v2, 0x2f800000, v1
	v_trunc_f32_e32 v2, v2
	s_delay_alu instid0(VALU_DEP_1) | instskip(SKIP_1) | instid1(VALU_DEP_2)
	v_fmamk_f32 v1, v2, 0xcf800000, v1
	v_cvt_u32_f32_e32 v2, v2
	v_cvt_u32_f32_e32 v1, v1
	s_delay_alu instid0(VALU_DEP_2) | instskip(NEXT) | instid1(VALU_DEP_2)
	v_readfirstlane_b32 s3, v2
	v_readfirstlane_b32 s16, v1
	s_delay_alu instid0(VALU_DEP_2) | instskip(NEXT) | instid1(VALU_DEP_1)
	s_mul_i32 s19, s17, s3
	s_mul_hi_u32 s21, s17, s16
	s_mul_i32 s20, s18, s16
	s_add_i32 s19, s21, s19
	s_mul_i32 s22, s17, s16
	s_add_i32 s19, s19, s20
	s_mul_hi_u32 s21, s16, s22
	s_mul_hi_u32 s23, s3, s22
	s_mul_i32 s20, s3, s22
	s_mul_hi_u32 s22, s16, s19
	s_mul_i32 s16, s16, s19
	s_mul_hi_u32 s24, s3, s19
	s_add_u32 s16, s21, s16
	s_addc_u32 s21, 0, s22
	s_add_u32 s16, s16, s20
	s_mul_i32 s19, s3, s19
	s_addc_u32 s16, s21, s23
	s_addc_u32 s20, s24, 0
	s_add_u32 s16, s16, s19
	s_addc_u32 s19, 0, s20
	v_add_co_u32 v1, s16, v1, s16
	s_delay_alu instid0(VALU_DEP_1) | instskip(SKIP_1) | instid1(VALU_DEP_1)
	s_cmp_lg_u32 s16, 0
	s_addc_u32 s3, s3, s19
	v_readfirstlane_b32 s16, v1
	s_mul_i32 s19, s17, s3
	s_delay_alu instid0(VALU_DEP_1)
	s_mul_hi_u32 s20, s17, s16
	s_mul_i32 s18, s18, s16
	s_add_i32 s19, s20, s19
	s_mul_i32 s17, s17, s16
	s_add_i32 s19, s19, s18
	s_mul_hi_u32 s20, s3, s17
	s_mul_i32 s21, s3, s17
	s_mul_hi_u32 s17, s16, s17
	s_mul_hi_u32 s22, s16, s19
	s_mul_i32 s16, s16, s19
	s_mul_hi_u32 s18, s3, s19
	s_add_u32 s16, s17, s16
	s_addc_u32 s17, 0, s22
	s_add_u32 s16, s16, s21
	s_mul_i32 s19, s3, s19
	s_addc_u32 s16, s17, s20
	s_addc_u32 s17, s18, 0
	s_add_u32 s16, s16, s19
	s_addc_u32 s17, 0, s17
	v_add_co_u32 v1, s16, v1, s16
	s_delay_alu instid0(VALU_DEP_1) | instskip(SKIP_2) | instid1(VALU_DEP_1)
	s_cmp_lg_u32 s16, 0
	s_addc_u32 s3, s3, s17
	s_ashr_i32 s16, s9, 31
	v_readfirstlane_b32 s20, v1
	s_add_u32 s18, s8, s16
	s_mov_b32 s17, s16
	s_addc_u32 s19, s9, s16
	s_delay_alu instid0(SALU_CYCLE_1) | instskip(NEXT) | instid1(SALU_CYCLE_1)
	s_xor_b64 s[18:19], s[18:19], s[16:17]
	s_mul_i32 s22, s18, s3
	s_mul_hi_u32 s23, s18, s20
	s_mul_hi_u32 s21, s18, s3
	;; [unrolled: 1-line block ×3, first 2 shown]
	s_mul_i32 s20, s19, s20
	s_add_u32 s22, s23, s22
	s_addc_u32 s21, 0, s21
	s_mul_hi_u32 s24, s19, s3
	s_add_u32 s20, s22, s20
	s_mul_i32 s3, s19, s3
	s_addc_u32 s20, s21, s25
	s_addc_u32 s21, s24, 0
	s_add_u32 s3, s20, s3
	s_addc_u32 s20, 0, s21
	s_mul_i32 s24, s14, s3
	s_mul_hi_u32 s21, s14, s3
	s_mul_i32 s23, s14, s20
	v_sub_co_u32 v1, s18, s18, s24
	s_mul_i32 s22, s15, s3
	s_add_i32 s21, s21, s23
	s_delay_alu instid0(SALU_CYCLE_1) | instskip(NEXT) | instid1(VALU_DEP_1)
	s_add_i32 s21, s21, s22
	v_sub_co_u32 v2, s23, v1, s14
	s_sub_i32 s22, s19, s21
	s_cmp_lg_u32 s18, 0
	s_subb_u32 s22, s22, s15
	s_cmp_lg_u32 s23, 0
	v_readfirstlane_b32 s23, v2
	s_subb_u32 s22, s22, 0
	s_delay_alu instid0(SALU_CYCLE_1) | instskip(SKIP_1) | instid1(VALU_DEP_1)
	s_cmp_ge_u32 s22, s15
	s_cselect_b32 s24, -1, 0
	s_cmp_ge_u32 s23, s14
	s_cselect_b32 s23, -1, 0
	s_cmp_eq_u32 s22, s15
	s_cselect_b32 s22, s23, s24
	s_add_u32 s23, s3, 1
	s_addc_u32 s24, s20, 0
	s_add_u32 s25, s3, 2
	s_addc_u32 s26, s20, 0
	s_cmp_lg_u32 s22, 0
	s_cselect_b32 s22, s25, s23
	s_cselect_b32 s23, s26, s24
	s_cmp_lg_u32 s18, 0
	v_readfirstlane_b32 s18, v1
	s_subb_u32 s19, s19, s21
	s_delay_alu instid0(SALU_CYCLE_1) | instskip(SKIP_1) | instid1(VALU_DEP_1)
	s_cmp_ge_u32 s19, s15
	s_cselect_b32 s21, -1, 0
	s_cmp_ge_u32 s18, s14
	s_cselect_b32 s14, -1, 0
	s_cmp_eq_u32 s19, s15
	s_cselect_b32 s14, s14, s21
	s_delay_alu instid0(SALU_CYCLE_1) | instskip(SKIP_3) | instid1(SALU_CYCLE_1)
	s_cmp_lg_u32 s14, 0
	s_cselect_b32 s15, s23, s20
	s_cselect_b32 s14, s22, s3
	s_xor_b64 s[12:13], s[16:17], s[12:13]
	s_xor_b64 s[14:15], s[14:15], s[12:13]
	s_delay_alu instid0(SALU_CYCLE_1)
	s_sub_u32 s12, s14, s12
	s_subb_u32 s13, s15, s13
	s_cbranch_execnz .LBB16_4
.LBB16_3:
	v_cvt_f32_u32_e32 v1, s10
	s_sub_i32 s12, 0, s10
	s_delay_alu instid0(VALU_DEP_1) | instskip(SKIP_2) | instid1(VALU_DEP_1)
	v_rcp_iflag_f32_e32 v1, v1
	s_waitcnt_depctr 0xfff
	v_mul_f32_e32 v1, 0x4f7ffffe, v1
	v_cvt_u32_f32_e32 v1, v1
	s_delay_alu instid0(VALU_DEP_1) | instskip(NEXT) | instid1(VALU_DEP_1)
	v_readfirstlane_b32 s3, v1
	s_mul_i32 s12, s12, s3
	s_delay_alu instid0(SALU_CYCLE_1) | instskip(NEXT) | instid1(SALU_CYCLE_1)
	s_mul_hi_u32 s12, s3, s12
	s_add_i32 s3, s3, s12
	s_delay_alu instid0(SALU_CYCLE_1) | instskip(NEXT) | instid1(SALU_CYCLE_1)
	s_mul_hi_u32 s3, s8, s3
	s_mul_i32 s12, s3, s10
	s_add_i32 s13, s3, 1
	s_sub_i32 s12, s8, s12
	s_delay_alu instid0(SALU_CYCLE_1)
	s_sub_i32 s14, s12, s10
	s_cmp_ge_u32 s12, s10
	s_cselect_b32 s3, s13, s3
	s_cselect_b32 s12, s14, s12
	s_add_i32 s14, s3, 1
	s_cmp_ge_u32 s12, s10
	s_mov_b32 s13, 0
	s_cselect_b32 s12, s14, s3
.LBB16_4:
	s_clause 0x1
	s_load_b64 s[14:15], s[0:1], 0x20
	s_load_b64 s[0:1], s[0:1], 0x2c
	v_lshlrev_b16 v0, 1, v0
	s_mul_i32 s3, s12, s11
	s_mul_hi_u32 s11, s12, s10
	s_mul_i32 s16, s13, s10
	s_add_i32 s3, s11, s3
	s_mul_i32 s10, s12, s10
	s_add_i32 s3, s3, s16
	v_xor_b32_e32 v0, 0x80, v0
	s_sub_u32 s8, s8, s10
	s_subb_u32 s3, s9, s3
	s_delay_alu instid0(VALU_DEP_1) | instskip(NEXT) | instid1(VALU_DEP_1)
	v_bfe_i32 v0, v0, 0, 8
	v_ashrrev_i32_e32 v1, 31, v0
	s_waitcnt lgkmcnt(0)
	s_ashr_i32 s9, s14, 31
	s_mul_hi_u32 s10, s12, s14
	s_mul_i32 s11, s13, s14
	s_mul_i32 s13, s12, s14
	s_ashr_i32 s14, s15, 31
	s_mul_hi_u32 s16, s8, s15
	s_mul_i32 s3, s3, s15
	s_mul_i32 s15, s8, s15
	s_mul_i32 s9, s12, s9
	s_mul_i32 s8, s8, s14
	s_add_i32 s9, s10, s9
	s_add_i32 s8, s16, s8
	;; [unrolled: 1-line block ×4, first 2 shown]
	s_add_u32 s3, s6, s13
	s_addc_u32 s6, s7, s9
	s_add_u32 s7, s3, s15
	s_addc_u32 s6, s6, s8
	s_ashr_i32 s3, s0, 31
	s_mul_hi_u32 s8, s0, s2
	s_mul_i32 s3, s3, s2
	s_mul_i32 s2, s0, s2
	s_add_i32 s3, s8, s3
	v_lshlrev_b64 v[2:3], 2, v[0:1]
	s_lshl_b64 s[2:3], s[2:3], 2
	s_delay_alu instid0(SALU_CYCLE_1) | instskip(SKIP_1) | instid1(VALU_DEP_1)
	s_add_u32 s0, s4, s2
	s_addc_u32 s2, s5, s3
	v_add_co_u32 v2, vcc_lo, s0, v2
	s_delay_alu instid0(VALU_DEP_2) | instskip(SKIP_1) | instid1(SALU_CYCLE_1)
	v_add_co_ci_u32_e32 v3, vcc_lo, s2, v3, vcc_lo
	s_lshr_b32 s0, s1, 31
	s_add_i32 s0, s1, s0
	global_load_b32 v2, v[2:3], off
	s_ashr_i32 s0, s0, 1
	s_delay_alu instid0(SALU_CYCLE_1) | instskip(SKIP_2) | instid1(VALU_DEP_1)
	s_ashr_i32 s1, s0, 31
	v_add_co_u32 v0, vcc_lo, v0, s0
	v_add_co_ci_u32_e32 v1, vcc_lo, s1, v1, vcc_lo
	v_lshlrev_b64 v[0:1], 2, v[0:1]
	s_delay_alu instid0(VALU_DEP_1) | instskip(NEXT) | instid1(VALU_DEP_2)
	v_add_co_u32 v0, vcc_lo, s7, v0
	v_add_co_ci_u32_e32 v1, vcc_lo, s6, v1, vcc_lo
	s_waitcnt vmcnt(0)
	global_store_b32 v[0:1], v2, off offset:32
.LBB16_5:
	s_nop 0
	s_sendmsg sendmsg(MSG_DEALLOC_VGPRS)
	s_endpgm
.LBB16_6:
                                        ; implicit-def: $sgpr12_sgpr13
	s_branch .LBB16_3
	.section	.rodata,"a",@progbits
	.p2align	6, 0x0
	.amdhsa_kernel _ZN4vllm30concat_and_cache_ds_mla_kernelIfhLNS_18Fp8KVCacheDataTypeE1EEEvPKT_S4_PT0_PKliiiiiiiPKf
		.amdhsa_group_segment_fixed_size 0
		.amdhsa_private_segment_fixed_size 0
		.amdhsa_kernarg_size 72
		.amdhsa_user_sgpr_count 15
		.amdhsa_user_sgpr_dispatch_ptr 0
		.amdhsa_user_sgpr_queue_ptr 0
		.amdhsa_user_sgpr_kernarg_segment_ptr 1
		.amdhsa_user_sgpr_dispatch_id 0
		.amdhsa_user_sgpr_private_segment_size 0
		.amdhsa_wavefront_size32 1
		.amdhsa_uses_dynamic_stack 0
		.amdhsa_enable_private_segment 0
		.amdhsa_system_sgpr_workgroup_id_x 1
		.amdhsa_system_sgpr_workgroup_id_y 0
		.amdhsa_system_sgpr_workgroup_id_z 0
		.amdhsa_system_sgpr_workgroup_info 0
		.amdhsa_system_vgpr_workitem_id 0
		.amdhsa_next_free_vgpr 4
		.amdhsa_next_free_sgpr 27
		.amdhsa_reserve_vcc 1
		.amdhsa_float_round_mode_32 0
		.amdhsa_float_round_mode_16_64 0
		.amdhsa_float_denorm_mode_32 3
		.amdhsa_float_denorm_mode_16_64 3
		.amdhsa_dx10_clamp 1
		.amdhsa_ieee_mode 1
		.amdhsa_fp16_overflow 0
		.amdhsa_workgroup_processor_mode 1
		.amdhsa_memory_ordered 1
		.amdhsa_forward_progress 0
		.amdhsa_shared_vgpr_count 0
		.amdhsa_exception_fp_ieee_invalid_op 0
		.amdhsa_exception_fp_denorm_src 0
		.amdhsa_exception_fp_ieee_div_zero 0
		.amdhsa_exception_fp_ieee_overflow 0
		.amdhsa_exception_fp_ieee_underflow 0
		.amdhsa_exception_fp_ieee_inexact 0
		.amdhsa_exception_int_div_zero 0
	.end_amdhsa_kernel
	.section	.text._ZN4vllm30concat_and_cache_ds_mla_kernelIfhLNS_18Fp8KVCacheDataTypeE1EEEvPKT_S4_PT0_PKliiiiiiiPKf,"axG",@progbits,_ZN4vllm30concat_and_cache_ds_mla_kernelIfhLNS_18Fp8KVCacheDataTypeE1EEEvPKT_S4_PT0_PKliiiiiiiPKf,comdat
.Lfunc_end16:
	.size	_ZN4vllm30concat_and_cache_ds_mla_kernelIfhLNS_18Fp8KVCacheDataTypeE1EEEvPKT_S4_PT0_PKliiiiiiiPKf, .Lfunc_end16-_ZN4vllm30concat_and_cache_ds_mla_kernelIfhLNS_18Fp8KVCacheDataTypeE1EEEvPKT_S4_PT0_PKliiiiiiiPKf
                                        ; -- End function
	.section	.AMDGPU.csdata,"",@progbits
; Kernel info:
; codeLenInByte = 1156
; NumSgprs: 29
; NumVgprs: 4
; ScratchSize: 0
; MemoryBound: 0
; FloatMode: 240
; IeeeMode: 1
; LDSByteSize: 0 bytes/workgroup (compile time only)
; SGPRBlocks: 3
; VGPRBlocks: 0
; NumSGPRsForWavesPerEU: 29
; NumVGPRsForWavesPerEU: 4
; Occupancy: 16
; WaveLimiterHint : 0
; COMPUTE_PGM_RSRC2:SCRATCH_EN: 0
; COMPUTE_PGM_RSRC2:USER_SGPR: 15
; COMPUTE_PGM_RSRC2:TRAP_HANDLER: 0
; COMPUTE_PGM_RSRC2:TGID_X_EN: 1
; COMPUTE_PGM_RSRC2:TGID_Y_EN: 0
; COMPUTE_PGM_RSRC2:TGID_Z_EN: 0
; COMPUTE_PGM_RSRC2:TIDIG_COMP_CNT: 0
	.section	.text._ZN4vllm30concat_and_cache_ds_mla_kernelIthLNS_18Fp8KVCacheDataTypeE1EEEvPKT_S4_PT0_PKliiiiiiiPKf,"axG",@progbits,_ZN4vllm30concat_and_cache_ds_mla_kernelIthLNS_18Fp8KVCacheDataTypeE1EEEvPKT_S4_PT0_PKliiiiiiiPKf,comdat
	.protected	_ZN4vllm30concat_and_cache_ds_mla_kernelIthLNS_18Fp8KVCacheDataTypeE1EEEvPKT_S4_PT0_PKliiiiiiiPKf ; -- Begin function _ZN4vllm30concat_and_cache_ds_mla_kernelIthLNS_18Fp8KVCacheDataTypeE1EEEvPKT_S4_PT0_PKliiiiiiiPKf
	.globl	_ZN4vllm30concat_and_cache_ds_mla_kernelIthLNS_18Fp8KVCacheDataTypeE1EEEvPKT_S4_PT0_PKliiiiiiiPKf
	.p2align	8
	.type	_ZN4vllm30concat_and_cache_ds_mla_kernelIthLNS_18Fp8KVCacheDataTypeE1EEEvPKT_S4_PT0_PKliiiiiiiPKf,@function
_ZN4vllm30concat_and_cache_ds_mla_kernelIthLNS_18Fp8KVCacheDataTypeE1EEEvPKT_S4_PT0_PKliiiiiiiPKf: ; @_ZN4vllm30concat_and_cache_ds_mla_kernelIthLNS_18Fp8KVCacheDataTypeE1EEEvPKT_S4_PT0_PKliiiiiiiPKf
; %bb.0:
	s_load_b64 s[2:3], s[0:1], 0x18
	s_mov_b32 s8, s15
	s_mov_b32 s9, 0
	s_delay_alu instid0(SALU_CYCLE_1)
	s_lshl_b64 s[4:5], s[8:9], 3
	s_waitcnt lgkmcnt(0)
	s_add_u32 s2, s2, s4
	s_addc_u32 s3, s3, s5
	s_load_b64 s[10:11], s[2:3], 0x0
	s_waitcnt lgkmcnt(0)
	v_cmp_lt_i64_e64 s2, s[10:11], 0
	s_delay_alu instid0(VALU_DEP_1)
	s_and_b32 vcc_lo, exec_lo, s2
	s_cbranch_vccnz .LBB17_156
; %bb.1:
	s_clause 0x1
	s_load_b32 s12, s[0:1], 0x38
	s_load_b64 s[2:3], s[0:1], 0x10
	s_waitcnt lgkmcnt(0)
	s_ashr_i32 s13, s12, 31
	s_delay_alu instid0(SALU_CYCLE_1) | instskip(SKIP_1) | instid1(SALU_CYCLE_1)
	s_or_b64 s[4:5], s[10:11], s[12:13]
	s_mov_b32 s4, s9
	s_cmp_lg_u64 s[4:5], 0
	s_cbranch_scc0 .LBB17_157
; %bb.2:
	s_add_u32 s6, s12, s13
	s_mov_b32 s4, s13
	s_mov_b32 s5, s13
	s_addc_u32 s7, s13, s13
	s_delay_alu instid0(SALU_CYCLE_1) | instskip(NEXT) | instid1(SALU_CYCLE_1)
	s_xor_b64 s[6:7], s[6:7], s[4:5]
	v_cvt_f32_u32_e32 v1, s6
	v_cvt_f32_u32_e32 v2, s7
	s_sub_u32 s15, 0, s6
	s_subb_u32 s16, 0, s7
	s_delay_alu instid0(VALU_DEP_1) | instskip(NEXT) | instid1(VALU_DEP_1)
	v_fmamk_f32 v1, v2, 0x4f800000, v1
	v_rcp_f32_e32 v1, v1
	s_waitcnt_depctr 0xfff
	v_mul_f32_e32 v1, 0x5f7ffffc, v1
	s_delay_alu instid0(VALU_DEP_1) | instskip(NEXT) | instid1(VALU_DEP_1)
	v_mul_f32_e32 v2, 0x2f800000, v1
	v_trunc_f32_e32 v2, v2
	s_delay_alu instid0(VALU_DEP_1) | instskip(SKIP_1) | instid1(VALU_DEP_2)
	v_fmamk_f32 v1, v2, 0xcf800000, v1
	v_cvt_u32_f32_e32 v2, v2
	v_cvt_u32_f32_e32 v1, v1
	s_delay_alu instid0(VALU_DEP_2) | instskip(NEXT) | instid1(VALU_DEP_2)
	v_readfirstlane_b32 s9, v2
	v_readfirstlane_b32 s14, v1
	s_delay_alu instid0(VALU_DEP_2) | instskip(NEXT) | instid1(VALU_DEP_1)
	s_mul_i32 s17, s15, s9
	s_mul_hi_u32 s19, s15, s14
	s_mul_i32 s18, s16, s14
	s_add_i32 s17, s19, s17
	s_mul_i32 s20, s15, s14
	s_add_i32 s17, s17, s18
	s_mul_hi_u32 s19, s14, s20
	s_mul_hi_u32 s21, s9, s20
	s_mul_i32 s18, s9, s20
	s_mul_hi_u32 s20, s14, s17
	s_mul_i32 s14, s14, s17
	s_mul_hi_u32 s22, s9, s17
	s_add_u32 s14, s19, s14
	s_addc_u32 s19, 0, s20
	s_add_u32 s14, s14, s18
	s_mul_i32 s17, s9, s17
	s_addc_u32 s14, s19, s21
	s_addc_u32 s18, s22, 0
	s_add_u32 s14, s14, s17
	s_addc_u32 s17, 0, s18
	v_add_co_u32 v1, s14, v1, s14
	s_delay_alu instid0(VALU_DEP_1) | instskip(SKIP_1) | instid1(VALU_DEP_1)
	s_cmp_lg_u32 s14, 0
	s_addc_u32 s9, s9, s17
	v_readfirstlane_b32 s14, v1
	s_mul_i32 s17, s15, s9
	s_delay_alu instid0(VALU_DEP_1)
	s_mul_hi_u32 s18, s15, s14
	s_mul_i32 s16, s16, s14
	s_add_i32 s17, s18, s17
	s_mul_i32 s15, s15, s14
	s_add_i32 s17, s17, s16
	s_mul_hi_u32 s18, s9, s15
	s_mul_i32 s19, s9, s15
	s_mul_hi_u32 s15, s14, s15
	s_mul_hi_u32 s20, s14, s17
	s_mul_i32 s14, s14, s17
	s_mul_hi_u32 s16, s9, s17
	s_add_u32 s14, s15, s14
	s_addc_u32 s15, 0, s20
	s_add_u32 s14, s14, s19
	s_mul_i32 s17, s9, s17
	s_addc_u32 s14, s15, s18
	s_addc_u32 s15, s16, 0
	s_add_u32 s14, s14, s17
	s_addc_u32 s15, 0, s15
	v_add_co_u32 v1, s14, v1, s14
	s_delay_alu instid0(VALU_DEP_1) | instskip(SKIP_2) | instid1(VALU_DEP_1)
	s_cmp_lg_u32 s14, 0
	s_addc_u32 s9, s9, s15
	s_ashr_i32 s14, s11, 31
	v_readfirstlane_b32 s18, v1
	s_add_u32 s16, s10, s14
	s_mov_b32 s15, s14
	s_addc_u32 s17, s11, s14
	s_delay_alu instid0(SALU_CYCLE_1) | instskip(NEXT) | instid1(SALU_CYCLE_1)
	s_xor_b64 s[16:17], s[16:17], s[14:15]
	s_mul_i32 s20, s16, s9
	s_mul_hi_u32 s21, s16, s18
	s_mul_hi_u32 s19, s16, s9
	;; [unrolled: 1-line block ×3, first 2 shown]
	s_mul_i32 s18, s17, s18
	s_add_u32 s20, s21, s20
	s_addc_u32 s19, 0, s19
	s_mul_hi_u32 s22, s17, s9
	s_add_u32 s18, s20, s18
	s_mul_i32 s9, s17, s9
	s_addc_u32 s18, s19, s23
	s_addc_u32 s19, s22, 0
	s_add_u32 s9, s18, s9
	s_addc_u32 s18, 0, s19
	s_mul_i32 s22, s6, s9
	s_mul_hi_u32 s19, s6, s9
	s_mul_i32 s21, s6, s18
	v_sub_co_u32 v1, s16, s16, s22
	s_mul_i32 s20, s7, s9
	s_add_i32 s19, s19, s21
	s_delay_alu instid0(SALU_CYCLE_1) | instskip(NEXT) | instid1(VALU_DEP_1)
	s_add_i32 s19, s19, s20
	v_sub_co_u32 v2, s21, v1, s6
	s_sub_i32 s20, s17, s19
	s_cmp_lg_u32 s16, 0
	s_subb_u32 s20, s20, s7
	s_cmp_lg_u32 s21, 0
	v_readfirstlane_b32 s21, v2
	s_subb_u32 s20, s20, 0
	s_delay_alu instid0(SALU_CYCLE_1) | instskip(SKIP_1) | instid1(VALU_DEP_1)
	s_cmp_ge_u32 s20, s7
	s_cselect_b32 s22, -1, 0
	s_cmp_ge_u32 s21, s6
	s_cselect_b32 s21, -1, 0
	s_cmp_eq_u32 s20, s7
	s_cselect_b32 s20, s21, s22
	s_add_u32 s21, s9, 1
	s_addc_u32 s22, s18, 0
	s_add_u32 s23, s9, 2
	s_addc_u32 s24, s18, 0
	s_cmp_lg_u32 s20, 0
	s_cselect_b32 s20, s23, s21
	s_cselect_b32 s21, s24, s22
	s_cmp_lg_u32 s16, 0
	v_readfirstlane_b32 s16, v1
	s_subb_u32 s17, s17, s19
	s_delay_alu instid0(SALU_CYCLE_1) | instskip(SKIP_1) | instid1(VALU_DEP_1)
	s_cmp_ge_u32 s17, s7
	s_cselect_b32 s19, -1, 0
	s_cmp_ge_u32 s16, s6
	s_cselect_b32 s6, -1, 0
	s_cmp_eq_u32 s17, s7
	s_cselect_b32 s6, s6, s19
	s_delay_alu instid0(SALU_CYCLE_1) | instskip(SKIP_3) | instid1(SALU_CYCLE_1)
	s_cmp_lg_u32 s6, 0
	s_cselect_b32 s7, s21, s18
	s_cselect_b32 s6, s20, s9
	s_xor_b64 s[14:15], s[14:15], s[4:5]
	s_xor_b64 s[6:7], s[6:7], s[14:15]
	s_delay_alu instid0(SALU_CYCLE_1)
	s_sub_u32 s14, s6, s14
	s_subb_u32 s15, s7, s15
	s_cbranch_execnz .LBB17_4
.LBB17_3:
	v_cvt_f32_u32_e32 v1, s12
	s_sub_i32 s5, 0, s12
	s_mov_b32 s15, 0
	s_delay_alu instid0(VALU_DEP_1) | instskip(SKIP_2) | instid1(VALU_DEP_1)
	v_rcp_iflag_f32_e32 v1, v1
	s_waitcnt_depctr 0xfff
	v_mul_f32_e32 v1, 0x4f7ffffe, v1
	v_cvt_u32_f32_e32 v1, v1
	s_delay_alu instid0(VALU_DEP_1) | instskip(NEXT) | instid1(VALU_DEP_1)
	v_readfirstlane_b32 s4, v1
	s_mul_i32 s5, s5, s4
	s_delay_alu instid0(SALU_CYCLE_1) | instskip(NEXT) | instid1(SALU_CYCLE_1)
	s_mul_hi_u32 s5, s4, s5
	s_add_i32 s4, s4, s5
	s_delay_alu instid0(SALU_CYCLE_1) | instskip(NEXT) | instid1(SALU_CYCLE_1)
	s_mul_hi_u32 s4, s10, s4
	s_mul_i32 s5, s4, s12
	s_add_i32 s6, s4, 1
	s_sub_i32 s5, s10, s5
	s_delay_alu instid0(SALU_CYCLE_1)
	s_sub_i32 s7, s5, s12
	s_cmp_ge_u32 s5, s12
	s_cselect_b32 s4, s6, s4
	s_cselect_b32 s5, s7, s5
	s_add_i32 s6, s4, 1
	s_cmp_ge_u32 s5, s12
	s_cselect_b32 s14, s6, s4
.LBB17_4:
	s_clause 0x1
	s_load_b128 s[4:7], s[0:1], 0x20
	s_load_b32 s9, s[0:1], 0x30
	s_mul_i32 s13, s14, s13
	s_mul_hi_u32 s16, s14, s12
	s_mul_i32 s17, s15, s12
	s_add_i32 s13, s16, s13
	s_mul_i32 s12, s14, s12
	s_add_i32 s13, s13, s17
	s_sub_u32 s10, s10, s12
	s_subb_u32 s11, s11, s13
	s_waitcnt lgkmcnt(0)
	s_ashr_i32 s12, s4, 31
	s_ashr_i32 s16, s5, 31
	s_mul_hi_u32 s13, s14, s4
	s_mul_hi_u32 s17, s10, s5
	s_mul_i32 s11, s11, s5
	s_mul_i32 s5, s10, s5
	;; [unrolled: 1-line block ×5, first 2 shown]
	s_add_i32 s12, s13, s12
	s_add_i32 s10, s17, s10
	s_mul_i32 s4, s14, s4
	s_add_i32 s12, s12, s15
	s_add_i32 s10, s10, s11
	s_add_u32 s2, s2, s4
	s_addc_u32 s4, s3, s12
	s_add_u32 s3, s2, s5
	s_addc_u32 s4, s4, s10
	s_mov_b32 s2, exec_lo
	v_cmpx_gt_u32_e32 64, v0
	s_xor_b32 s5, exec_lo, s2
	s_cbranch_execz .LBB17_154
; %bb.5:
	s_load_b64 s[10:11], s[0:1], 0x0
	s_ashr_i32 s2, s6, 31
	s_mul_hi_u32 s13, s6, s8
	s_mul_i32 s2, s2, s8
	s_mul_i32 s12, s6, s8
	s_add_i32 s13, s13, s2
	v_lshlrev_b32_e32 v1, 4, v0
	s_lshl_b64 s[12:13], s[12:13], 1
	v_mbcnt_lo_u32_b32 v5, -1, 0
	s_mov_b32 s2, exec_lo
	s_delay_alu instid0(VALU_DEP_1) | instskip(SKIP_1) | instid1(VALU_DEP_1)
	v_xor_b32_e32 v7, 8, v5
	v_and_b32_e32 v6, 16, v5
	v_add_nc_u32_e32 v6, 16, v6
	s_waitcnt lgkmcnt(0)
	s_add_u32 s10, s10, s12
	s_addc_u32 s11, s11, s13
	global_load_b128 v[1:4], v1, s[10:11]
	v_cmp_lt_i32_e32 vcc_lo, v7, v6
	v_cndmask_b32_e32 v7, v5, v7, vcc_lo
	s_delay_alu instid0(VALU_DEP_1)
	v_lshlrev_b32_e32 v7, 2, v7
	s_waitcnt vmcnt(0)
	v_lshrrev_b32_e32 v9, 16, v1
	v_and_b32_e32 v8, 0xffff, v1
	v_lshrrev_b32_e32 v11, 16, v4
	v_and_b32_e32 v10, 0xffff, v4
	v_lshrrev_b32_e32 v14, 16, v2
	v_lshrrev_b32_e32 v13, 16, v3
	v_and_b32_e32 v12, 0xffff, v2
	v_cvt_f32_u32_e32 v8, v8
	v_cvt_f32_u32_e32 v16, v9
	v_and_b32_e32 v15, 0xffff, v3
	v_cvt_f32_u32_e32 v10, v10
	v_cvt_f32_u32_e32 v17, v11
	;; [unrolled: 1-line block ×3, first 2 shown]
	v_max_f32_e32 v8, v8, v16
	v_cvt_f32_u32_e32 v18, v14
	v_cvt_f32_u32_e32 v15, v15
	;; [unrolled: 1-line block ×3, first 2 shown]
	v_max_f32_e32 v10, v10, v17
	s_delay_alu instid0(VALU_DEP_4) | instskip(NEXT) | instid1(VALU_DEP_2)
	v_max_f32_e32 v12, v12, v18
	v_max3_f32 v10, v15, v19, v10
	s_delay_alu instid0(VALU_DEP_1)
	v_max3_f32 v8, v8, v12, v10
	v_xor_b32_e32 v10, 4, v5
	ds_bpermute_b32 v7, v7, v8
	s_waitcnt lgkmcnt(0)
	v_max_f32_e32 v7, v7, v7
	v_cmp_lt_i32_e32 vcc_lo, v10, v6
	s_delay_alu instid0(VALU_DEP_2) | instskip(NEXT) | instid1(VALU_DEP_1)
	v_dual_max_f32 v7, v8, v7 :: v_dual_cndmask_b32 v10, v5, v10
	v_lshlrev_b32_e32 v10, 2, v10
	ds_bpermute_b32 v8, v10, v7
	v_xor_b32_e32 v10, 2, v5
	s_delay_alu instid0(VALU_DEP_1) | instskip(SKIP_1) | instid1(VALU_DEP_1)
	v_cmp_lt_i32_e32 vcc_lo, v10, v6
	v_cndmask_b32_e32 v10, v5, v10, vcc_lo
	v_lshlrev_b32_e32 v10, 2, v10
	s_waitcnt lgkmcnt(0)
	v_max_f32_e32 v8, v8, v8
	s_delay_alu instid0(VALU_DEP_1) | instskip(SKIP_2) | instid1(VALU_DEP_1)
	v_max_f32_e32 v7, v7, v8
	ds_bpermute_b32 v8, v10, v7
	v_xor_b32_e32 v10, 1, v5
	v_cmp_lt_i32_e32 vcc_lo, v10, v6
	v_cndmask_b32_e32 v5, v5, v10, vcc_lo
	s_waitcnt lgkmcnt(0)
	s_delay_alu instid0(VALU_DEP_1) | instskip(NEXT) | instid1(VALU_DEP_1)
	v_dual_max_f32 v6, v8, v8 :: v_dual_lshlrev_b32 v5, 2, v5
	v_max_f32_e32 v6, v7, v6
	ds_bpermute_b32 v5, v5, v6
	s_waitcnt lgkmcnt(0)
	v_max_f32_e32 v5, v5, v5
	s_delay_alu instid0(VALU_DEP_1) | instskip(NEXT) | instid1(VALU_DEP_1)
	v_max_f32_e32 v5, v6, v5
	v_div_scale_f32 v6, null, 0x43e00000, 0x43e00000, v5
	v_div_scale_f32 v10, vcc_lo, v5, 0x43e00000, v5
	s_delay_alu instid0(VALU_DEP_2) | instskip(SKIP_2) | instid1(VALU_DEP_1)
	v_rcp_f32_e32 v7, v6
	s_waitcnt_depctr 0xfff
	v_fma_f32 v8, -v6, v7, 1.0
	v_fmac_f32_e32 v7, v8, v7
	s_delay_alu instid0(VALU_DEP_1) | instskip(NEXT) | instid1(VALU_DEP_1)
	v_mul_f32_e32 v8, v10, v7
	v_fma_f32 v12, -v6, v8, v10
	s_delay_alu instid0(VALU_DEP_1) | instskip(NEXT) | instid1(VALU_DEP_1)
	v_fmac_f32_e32 v8, v12, v7
	v_fma_f32 v6, -v6, v8, v10
	s_delay_alu instid0(VALU_DEP_1) | instskip(NEXT) | instid1(VALU_DEP_1)
	v_div_fmas_f32 v6, v6, v7, v8
	v_div_fixup_f32 v5, v6, 0x43e00000, v5
	v_and_b32_e32 v6, 15, v0
	s_delay_alu instid0(VALU_DEP_2) | instskip(NEXT) | instid1(VALU_DEP_2)
	v_max_f32_e32 v12, 0x800000, v5
	v_cmpx_eq_u32_e32 0, v6
	s_cbranch_execz .LBB17_7
; %bb.6:
	s_ashr_i32 s6, s9, 31
	v_lshrrev_b32_e32 v5, 4, v0
	s_lshr_b32 s6, s6, 30
	s_delay_alu instid0(SALU_CYCLE_1) | instskip(NEXT) | instid1(SALU_CYCLE_1)
	s_add_i32 s6, s9, s6
	s_ashr_i32 s6, s6, 2
	s_delay_alu instid0(VALU_DEP_1) | instid1(SALU_CYCLE_1)
	v_add_nc_u32_e32 v5, s6, v5
	s_delay_alu instid0(VALU_DEP_1) | instskip(NEXT) | instid1(VALU_DEP_1)
	v_ashrrev_i32_e32 v6, 31, v5
	v_lshlrev_b64 v[5:6], 2, v[5:6]
	s_delay_alu instid0(VALU_DEP_1) | instskip(NEXT) | instid1(VALU_DEP_2)
	v_add_co_u32 v5, vcc_lo, s3, v5
	v_add_co_ci_u32_e32 v6, vcc_lo, s4, v6, vcc_lo
	global_store_b32 v[5:6], v12, off
.LBB17_7:
	s_or_b32 exec_lo, exec_lo, s2
	v_cvt_f32_f16_e32 v1, v1
	s_mov_b32 s2, exec_lo
	s_delay_alu instid0(VALU_DEP_1) | instskip(NEXT) | instid1(VALU_DEP_1)
	v_div_scale_f32 v5, null, v12, v12, v1
	v_rcp_f32_e32 v6, v5
	s_waitcnt_depctr 0xfff
	v_fma_f32 v7, -v5, v6, 1.0
	s_delay_alu instid0(VALU_DEP_1) | instskip(SKIP_1) | instid1(VALU_DEP_1)
	v_fmac_f32_e32 v6, v7, v6
	v_div_scale_f32 v7, vcc_lo, v1, v12, v1
	v_mul_f32_e32 v8, v7, v6
	s_delay_alu instid0(VALU_DEP_1) | instskip(NEXT) | instid1(VALU_DEP_1)
	v_fma_f32 v10, -v5, v8, v7
	v_fmac_f32_e32 v8, v10, v6
	s_delay_alu instid0(VALU_DEP_1) | instskip(NEXT) | instid1(VALU_DEP_1)
	v_fma_f32 v5, -v5, v8, v7
	v_div_fmas_f32 v5, v5, v6, v8
	s_delay_alu instid0(VALU_DEP_1) | instskip(NEXT) | instid1(VALU_DEP_1)
	v_div_fixup_f32 v1, v5, v12, v1
	v_cvt_f16_f32_e32 v1, v1
	s_delay_alu instid0(VALU_DEP_1) | instskip(NEXT) | instid1(VALU_DEP_1)
	v_cvt_f32_f16_e32 v8, v1
	v_and_b32_e32 v15, 0x7f800000, v8
	v_lshrrev_b32_e32 v10, 24, v8
	v_dual_mov_b32 v6, 0 :: v_dual_and_b32 v5, 0x7fffff, v8
	s_delay_alu instid0(VALU_DEP_1) | instskip(NEXT) | instid1(VALU_DEP_1)
	v_dual_mov_b32 v16, v6 :: v_dual_and_b32 v1, 0x80, v10
	v_or_b32_e32 v7, 0x7e, v1
	s_delay_alu instid0(VALU_DEP_2)
	v_cmpx_ne_u64_e32 0x7f800000, v[15:16]
	s_xor_b32 s6, exec_lo, s2
	s_cbranch_execz .LBB17_25
; %bb.8:
	v_dual_mov_b32 v16, v6 :: v_dual_and_b32 v15, 0x7fffffff, v8
	s_mov_b32 s2, exec_lo
	s_delay_alu instid0(VALU_DEP_1)
	v_cmpx_gt_u64_e32 0x43e00001, v[15:16]
	s_xor_b32 s10, exec_lo, s2
	s_cbranch_execz .LBB17_22
; %bb.9:
	s_mov_b32 s11, exec_lo
	v_cmpx_ne_u32_e32 0, v8
	s_cbranch_execz .LBB17_21
; %bb.10:
	v_bfe_u32 v10, v8, 23, 8
	v_or_b32_e32 v16, 0x800000, v5
	s_delay_alu instid0(VALU_DEP_2) | instskip(SKIP_1) | instid1(VALU_DEP_2)
	v_sub_nc_u32_e32 v7, 0x79, v10
	v_cmp_gt_u32_e32 vcc_lo, 0x7a, v10
	v_cndmask_b32_e32 v7, 0, v7, vcc_lo
	v_cmp_eq_u32_e32 vcc_lo, 0, v10
	s_delay_alu instid0(VALU_DEP_2) | instskip(NEXT) | instid1(VALU_DEP_1)
	v_cndmask_b32_e64 v15, v7, 0x78, vcc_lo
	v_dual_cndmask_b32 v5, v16, v5 :: v_dual_add_nc_u32 v16, 19, v15
	v_add_nc_u32_e32 v7, 20, v15
	s_delay_alu instid0(VALU_DEP_1) | instskip(NEXT) | instid1(VALU_DEP_1)
	v_lshlrev_b64 v[7:8], v7, -1
	v_not_b32_e32 v18, v7
	s_delay_alu instid0(VALU_DEP_2) | instskip(SKIP_1) | instid1(VALU_DEP_3)
	v_not_b32_e32 v17, v8
	v_lshlrev_b64 v[7:8], v16, 1
	v_and_b32_e32 v16, v5, v18
	v_lshrrev_b64 v[5:6], v15, v[5:6]
	s_delay_alu instid0(VALU_DEP_4) | instskip(NEXT) | instid1(VALU_DEP_1)
	v_and_b32_e32 v17, 0, v17
	v_cmp_eq_u64_e64 s2, v[16:17], v[7:8]
	s_delay_alu instid0(VALU_DEP_3) | instskip(NEXT) | instid1(VALU_DEP_2)
	v_dual_mov_b32 v8, v6 :: v_dual_mov_b32 v7, v5
	s_and_saveexec_b32 s12, s2
; %bb.11:
	v_bfe_u32 v7, v5, 20, 1
	s_delay_alu instid0(VALU_DEP_1) | instskip(NEXT) | instid1(VALU_DEP_1)
	v_add_co_u32 v7, s2, v5, v7
	v_add_co_u32 v7, s2, v7, -1
; %bb.12:
	s_or_b32 exec_lo, exec_lo, s12
	v_add_nc_u32_e32 v8, 0xffffff81, v10
	v_lshrrev_b32_e32 v10, 23, v5
	s_delay_alu instid0(VALU_DEP_3) | instskip(SKIP_1) | instid1(VALU_DEP_3)
	v_and_b32_e32 v7, 0xfffff, v7
	s_mov_b32 s2, exec_lo
	v_cndmask_b32_e64 v8, v8, 0xffffff82, vcc_lo
	s_delay_alu instid0(VALU_DEP_2) | instskip(SKIP_1) | instid1(VALU_DEP_3)
	v_add_co_u32 v5, vcc_lo, v7, v5
	v_add_co_ci_u32_e32 v6, vcc_lo, 0, v6, vcc_lo
	v_add3_u32 v8, v15, v8, v10
                                        ; implicit-def: $vgpr7
	s_delay_alu instid0(VALU_DEP_1) | instskip(NEXT) | instid1(VALU_DEP_1)
	v_add_nc_u32_e32 v10, 6, v8
	v_cmpx_ne_u32_e32 0, v10
	s_xor_b32 s2, exec_lo, s2
; %bb.13:
	v_cmp_lt_u64_e32 vcc_lo, 0xffffff, v[5:6]
	v_add_nc_u32_e32 v7, 7, v8
	v_cndmask_b32_e64 v8, 0, 1, vcc_lo
	s_delay_alu instid0(VALU_DEP_2) | instskip(NEXT) | instid1(VALU_DEP_2)
	v_cndmask_b32_e32 v7, v10, v7, vcc_lo
	v_lshrrev_b64 v[5:6], v8, v[5:6]
; %bb.14:
	s_and_not1_saveexec_b32 s2, s2
; %bb.15:
	s_delay_alu instid0(VALU_DEP_1)
	v_bfe_u32 v7, v5, 23, 1
; %bb.16:
	s_or_b32 exec_lo, exec_lo, s2
	s_delay_alu instid0(VALU_DEP_2) | instskip(NEXT) | instid1(VALU_DEP_2)
	v_lshrrev_b64 v[5:6], 20, v[5:6]
	v_cmp_gt_i32_e32 vcc_lo, 16, v7
	v_cmp_ne_u32_e64 s2, 0, v7
	s_delay_alu instid0(VALU_DEP_3) | instskip(NEXT) | instid1(VALU_DEP_1)
	v_dual_cndmask_b32 v6, 0, v6 :: v_dual_cndmask_b32 v5, 7, v5
	v_cmp_ne_u64_e32 vcc_lo, 0, v[5:6]
                                        ; implicit-def: $vgpr6
	s_delay_alu instid0(VALU_DEP_3) | instskip(NEXT) | instid1(SALU_CYCLE_1)
	s_or_b32 s2, s2, vcc_lo
	s_and_saveexec_b32 s12, s2
	s_delay_alu instid0(SALU_CYCLE_1)
	s_xor_b32 s2, exec_lo, s12
; %bb.17:
	v_min_i32_e32 v6, 15, v7
	s_delay_alu instid0(VALU_DEP_1) | instskip(NEXT) | instid1(VALU_DEP_1)
	v_lshl_or_b32 v1, v6, 3, v1
	v_and_or_b32 v6, v5, 7, v1
                                        ; implicit-def: $vgpr1
; %bb.18:
	s_and_not1_saveexec_b32 s2, s2
; %bb.19:
	v_mov_b32_e32 v6, v1
; %bb.20:
	s_or_b32 exec_lo, exec_lo, s2
.LBB17_21:
	s_delay_alu instid0(SALU_CYCLE_1)
	s_or_b32 exec_lo, exec_lo, s11
                                        ; implicit-def: $vgpr7
.LBB17_22:
	s_and_not1_saveexec_b32 s2, s10
; %bb.23:
	v_mov_b32_e32 v6, v7
; %bb.24:
	s_or_b32 exec_lo, exec_lo, s2
                                        ; implicit-def: $vgpr10
                                        ; implicit-def: $vgpr7
.LBB17_25:
	s_and_not1_saveexec_b32 s2, s6
; %bb.26:
	s_delay_alu instid0(VALU_DEP_1) | instskip(SKIP_1) | instid1(VALU_DEP_1)
	v_cmp_eq_u64_e32 vcc_lo, 0, v[5:6]
	v_or_b32_e32 v1, 0x7f, v10
	v_cndmask_b32_e32 v6, v1, v7, vcc_lo
; %bb.27:
	s_or_b32 exec_lo, exec_lo, s2
	v_cvt_f32_f16_e32 v1, v9
	s_mov_b32 s2, exec_lo
	s_delay_alu instid0(VALU_DEP_1) | instskip(NEXT) | instid1(VALU_DEP_1)
	v_div_scale_f32 v5, null, v12, v12, v1
	v_rcp_f32_e32 v7, v5
	s_waitcnt_depctr 0xfff
	v_fma_f32 v8, -v5, v7, 1.0
	s_delay_alu instid0(VALU_DEP_1) | instskip(SKIP_1) | instid1(VALU_DEP_1)
	v_fmac_f32_e32 v7, v8, v7
	v_div_scale_f32 v8, vcc_lo, v1, v12, v1
	v_mul_f32_e32 v9, v8, v7
	s_delay_alu instid0(VALU_DEP_1) | instskip(NEXT) | instid1(VALU_DEP_1)
	v_fma_f32 v10, -v5, v9, v8
	v_fmac_f32_e32 v9, v10, v7
	s_delay_alu instid0(VALU_DEP_1) | instskip(SKIP_1) | instid1(VALU_DEP_1)
	v_fma_f32 v5, -v5, v9, v8
	v_mov_b32_e32 v8, 0
	v_mov_b32_e32 v16, v8
	s_delay_alu instid0(VALU_DEP_3) | instskip(NEXT) | instid1(VALU_DEP_1)
	v_div_fmas_f32 v5, v5, v7, v9
	v_div_fixup_f32 v1, v5, v12, v1
	s_delay_alu instid0(VALU_DEP_1) | instskip(NEXT) | instid1(VALU_DEP_1)
	v_cvt_f16_f32_e32 v1, v1
	v_cvt_f32_f16_e32 v9, v1
	s_delay_alu instid0(VALU_DEP_1) | instskip(SKIP_2) | instid1(VALU_DEP_3)
	v_lshrrev_b32_e32 v10, 24, v9
	v_and_b32_e32 v15, 0x7f800000, v9
	v_and_b32_e32 v7, 0x7fffff, v9
	;; [unrolled: 1-line block ×3, first 2 shown]
	s_delay_alu instid0(VALU_DEP_1) | instskip(NEXT) | instid1(VALU_DEP_4)
	v_or_b32_e32 v5, 0x7e, v1
	v_cmpx_ne_u64_e32 0x7f800000, v[15:16]
	s_xor_b32 s6, exec_lo, s2
	s_cbranch_execz .LBB17_43
; %bb.28:
	v_dual_mov_b32 v16, v8 :: v_dual_and_b32 v15, 0x7fffffff, v9
	s_mov_b32 s2, exec_lo
	s_delay_alu instid0(VALU_DEP_1)
	v_cmpx_gt_u64_e32 0x43e00001, v[15:16]
	s_xor_b32 s10, exec_lo, s2
	s_cbranch_execz .LBB17_42
; %bb.29:
	v_mov_b32_e32 v5, 0
	s_mov_b32 s11, exec_lo
	v_cmpx_ne_u32_e32 0, v9
	s_cbranch_execz .LBB17_41
; %bb.30:
	v_bfe_u32 v5, v9, 23, 8
	v_or_b32_e32 v16, 0x800000, v7
	s_delay_alu instid0(VALU_DEP_2) | instskip(SKIP_1) | instid1(VALU_DEP_2)
	v_sub_nc_u32_e32 v9, 0x79, v5
	v_cmp_gt_u32_e32 vcc_lo, 0x7a, v5
	v_cndmask_b32_e32 v9, 0, v9, vcc_lo
	v_cmp_eq_u32_e32 vcc_lo, 0, v5
	s_delay_alu instid0(VALU_DEP_2) | instskip(SKIP_1) | instid1(VALU_DEP_2)
	v_cndmask_b32_e64 v15, v9, 0x78, vcc_lo
	v_cndmask_b32_e32 v7, v16, v7, vcc_lo
	v_add_nc_u32_e32 v16, 19, v15
	v_add_nc_u32_e32 v9, 20, v15
	s_delay_alu instid0(VALU_DEP_1) | instskip(NEXT) | instid1(VALU_DEP_1)
	v_lshlrev_b64 v[9:10], v9, -1
	v_not_b32_e32 v18, v9
	s_delay_alu instid0(VALU_DEP_2) | instskip(SKIP_1) | instid1(VALU_DEP_3)
	v_not_b32_e32 v17, v10
	v_lshlrev_b64 v[9:10], v16, 1
	v_and_b32_e32 v16, v7, v18
	v_lshrrev_b64 v[7:8], v15, v[7:8]
	s_delay_alu instid0(VALU_DEP_4) | instskip(NEXT) | instid1(VALU_DEP_1)
	v_and_b32_e32 v17, 0, v17
	v_cmp_eq_u64_e64 s2, v[16:17], v[9:10]
	s_delay_alu instid0(VALU_DEP_3) | instskip(NEXT) | instid1(VALU_DEP_2)
	v_dual_mov_b32 v10, v8 :: v_dual_mov_b32 v9, v7
	s_and_saveexec_b32 s12, s2
; %bb.31:
	v_bfe_u32 v9, v7, 20, 1
	s_delay_alu instid0(VALU_DEP_1) | instskip(NEXT) | instid1(VALU_DEP_1)
	v_add_co_u32 v9, s2, v7, v9
	v_add_co_u32 v9, s2, v9, -1
; %bb.32:
	s_or_b32 exec_lo, exec_lo, s12
	v_add_nc_u32_e32 v5, 0xffffff81, v5
	v_lshrrev_b32_e32 v10, 23, v7
	s_delay_alu instid0(VALU_DEP_3) | instskip(SKIP_1) | instid1(VALU_DEP_3)
	v_and_b32_e32 v9, 0xfffff, v9
	s_mov_b32 s2, exec_lo
	v_cndmask_b32_e64 v5, v5, 0xffffff82, vcc_lo
	s_delay_alu instid0(VALU_DEP_2) | instskip(SKIP_1) | instid1(VALU_DEP_3)
	v_add_co_u32 v7, vcc_lo, v9, v7
	v_add_co_ci_u32_e32 v8, vcc_lo, 0, v8, vcc_lo
	v_add3_u32 v5, v15, v5, v10
                                        ; implicit-def: $vgpr9
	s_delay_alu instid0(VALU_DEP_1) | instskip(NEXT) | instid1(VALU_DEP_1)
	v_add_nc_u32_e32 v10, 6, v5
	v_cmpx_ne_u32_e32 0, v10
	s_xor_b32 s2, exec_lo, s2
; %bb.33:
	v_cmp_lt_u64_e32 vcc_lo, 0xffffff, v[7:8]
	v_add_nc_u32_e32 v5, 7, v5
	s_delay_alu instid0(VALU_DEP_1) | instskip(SKIP_1) | instid1(VALU_DEP_1)
	v_cndmask_b32_e32 v9, v10, v5, vcc_lo
	v_cndmask_b32_e64 v5, 0, 1, vcc_lo
	v_lshrrev_b64 v[7:8], v5, v[7:8]
; %bb.34:
	s_and_not1_saveexec_b32 s2, s2
; %bb.35:
	s_delay_alu instid0(VALU_DEP_1)
	v_bfe_u32 v9, v7, 23, 1
; %bb.36:
	s_or_b32 exec_lo, exec_lo, s2
	s_delay_alu instid0(VALU_DEP_2) | instskip(NEXT) | instid1(VALU_DEP_2)
	v_lshrrev_b64 v[7:8], 20, v[7:8]
	v_cmp_gt_i32_e32 vcc_lo, 16, v9
	v_cmp_ne_u32_e64 s2, 0, v9
                                        ; implicit-def: $vgpr5
	s_delay_alu instid0(VALU_DEP_3) | instskip(NEXT) | instid1(VALU_DEP_1)
	v_dual_cndmask_b32 v8, 0, v8 :: v_dual_cndmask_b32 v7, 7, v7
	v_cmp_ne_u64_e32 vcc_lo, 0, v[7:8]
	s_delay_alu instid0(VALU_DEP_3) | instskip(NEXT) | instid1(SALU_CYCLE_1)
	s_or_b32 s2, s2, vcc_lo
	s_and_saveexec_b32 s12, s2
	s_delay_alu instid0(SALU_CYCLE_1)
	s_xor_b32 s2, exec_lo, s12
; %bb.37:
	v_min_i32_e32 v5, 15, v9
	s_delay_alu instid0(VALU_DEP_1) | instskip(NEXT) | instid1(VALU_DEP_1)
	v_lshl_or_b32 v1, v5, 3, v1
	v_and_or_b32 v5, v7, 7, v1
                                        ; implicit-def: $vgpr1
; %bb.38:
	s_and_not1_saveexec_b32 s2, s2
; %bb.39:
	v_mov_b32_e32 v5, v1
; %bb.40:
	s_or_b32 exec_lo, exec_lo, s2
.LBB17_41:
	s_delay_alu instid0(SALU_CYCLE_1)
	s_or_b32 exec_lo, exec_lo, s11
.LBB17_42:
	s_and_not1_saveexec_b32 s2, s10
	s_delay_alu instid0(SALU_CYCLE_1)
	s_or_b32 exec_lo, exec_lo, s2
                                        ; implicit-def: $vgpr10
                                        ; implicit-def: $vgpr7_vgpr8
.LBB17_43:
	s_and_not1_saveexec_b32 s2, s6
; %bb.44:
	v_cmp_eq_u64_e32 vcc_lo, 0, v[7:8]
	v_or_b32_e32 v1, 0x7f, v10
	s_delay_alu instid0(VALU_DEP_1)
	v_cndmask_b32_e32 v5, v1, v5, vcc_lo
; %bb.45:
	s_or_b32 exec_lo, exec_lo, s2
	v_cvt_f32_f16_e32 v1, v2
	s_mov_b32 s2, exec_lo
	s_delay_alu instid0(VALU_DEP_1) | instskip(NEXT) | instid1(VALU_DEP_1)
	v_div_scale_f32 v2, null, v12, v12, v1
	v_rcp_f32_e32 v7, v2
	s_waitcnt_depctr 0xfff
	v_fma_f32 v8, -v2, v7, 1.0
	s_delay_alu instid0(VALU_DEP_1) | instskip(SKIP_1) | instid1(VALU_DEP_1)
	v_fmac_f32_e32 v7, v8, v7
	v_div_scale_f32 v8, vcc_lo, v1, v12, v1
	v_mul_f32_e32 v9, v8, v7
	s_delay_alu instid0(VALU_DEP_1) | instskip(NEXT) | instid1(VALU_DEP_1)
	v_fma_f32 v10, -v2, v9, v8
	v_fmac_f32_e32 v9, v10, v7
	s_delay_alu instid0(VALU_DEP_1) | instskip(NEXT) | instid1(VALU_DEP_1)
	v_fma_f32 v2, -v2, v9, v8
	v_div_fmas_f32 v2, v2, v7, v9
	s_delay_alu instid0(VALU_DEP_1) | instskip(SKIP_1) | instid1(VALU_DEP_2)
	v_div_fixup_f32 v1, v2, v12, v1
	v_mov_b32_e32 v2, 0
	v_cvt_f16_f32_e32 v1, v1
	s_delay_alu instid0(VALU_DEP_2) | instskip(NEXT) | instid1(VALU_DEP_2)
	v_mov_b32_e32 v16, v2
	v_cvt_f32_f16_e32 v7, v1
	s_delay_alu instid0(VALU_DEP_1) | instskip(SKIP_2) | instid1(VALU_DEP_3)
	v_lshrrev_b32_e32 v8, 24, v7
	v_and_b32_e32 v15, 0x7f800000, v7
	v_and_b32_e32 v1, 0x7fffff, v7
	;; [unrolled: 1-line block ×3, first 2 shown]
	s_delay_alu instid0(VALU_DEP_1) | instskip(NEXT) | instid1(VALU_DEP_4)
	v_or_b32_e32 v9, 0x7e, v10
	v_cmpx_ne_u64_e32 0x7f800000, v[15:16]
	s_xor_b32 s6, exec_lo, s2
	s_cbranch_execz .LBB17_61
; %bb.46:
	v_dual_mov_b32 v16, v2 :: v_dual_and_b32 v15, 0x7fffffff, v7
	s_mov_b32 s2, exec_lo
	s_delay_alu instid0(VALU_DEP_1)
	v_cmpx_gt_u64_e32 0x43e00001, v[15:16]
	s_xor_b32 s10, exec_lo, s2
	s_cbranch_execz .LBB17_60
; %bb.47:
	v_mov_b32_e32 v9, 0
	s_mov_b32 s11, exec_lo
	v_cmpx_ne_u32_e32 0, v7
	s_cbranch_execz .LBB17_59
; %bb.48:
	v_bfe_u32 v9, v7, 23, 8
	v_or_b32_e32 v16, 0x800000, v1
	s_delay_alu instid0(VALU_DEP_2) | instskip(SKIP_1) | instid1(VALU_DEP_2)
	v_sub_nc_u32_e32 v7, 0x79, v9
	v_cmp_gt_u32_e32 vcc_lo, 0x7a, v9
	v_cndmask_b32_e32 v7, 0, v7, vcc_lo
	v_cmp_eq_u32_e32 vcc_lo, 0, v9
	s_delay_alu instid0(VALU_DEP_2) | instskip(NEXT) | instid1(VALU_DEP_1)
	v_cndmask_b32_e64 v15, v7, 0x78, vcc_lo
	v_dual_cndmask_b32 v1, v16, v1 :: v_dual_add_nc_u32 v16, 19, v15
	v_add_nc_u32_e32 v7, 20, v15
	s_delay_alu instid0(VALU_DEP_1) | instskip(NEXT) | instid1(VALU_DEP_1)
	v_lshlrev_b64 v[7:8], v7, -1
	v_not_b32_e32 v18, v7
	s_delay_alu instid0(VALU_DEP_2) | instskip(SKIP_1) | instid1(VALU_DEP_3)
	v_not_b32_e32 v17, v8
	v_lshlrev_b64 v[7:8], v16, 1
	v_and_b32_e32 v16, v1, v18
	v_lshrrev_b64 v[1:2], v15, v[1:2]
	s_delay_alu instid0(VALU_DEP_4) | instskip(NEXT) | instid1(VALU_DEP_1)
	v_and_b32_e32 v17, 0, v17
	v_cmp_eq_u64_e64 s2, v[16:17], v[7:8]
	s_delay_alu instid0(VALU_DEP_3) | instskip(NEXT) | instid1(VALU_DEP_2)
	v_dual_mov_b32 v8, v2 :: v_dual_mov_b32 v7, v1
	s_and_saveexec_b32 s12, s2
; %bb.49:
	v_bfe_u32 v7, v1, 20, 1
	s_delay_alu instid0(VALU_DEP_1) | instskip(NEXT) | instid1(VALU_DEP_1)
	v_add_co_u32 v7, s2, v1, v7
	v_add_co_u32 v7, s2, v7, -1
; %bb.50:
	s_or_b32 exec_lo, exec_lo, s12
	v_add_nc_u32_e32 v8, 0xffffff81, v9
	v_lshrrev_b32_e32 v9, 23, v1
	s_delay_alu instid0(VALU_DEP_3) | instskip(SKIP_1) | instid1(VALU_DEP_3)
	v_and_b32_e32 v7, 0xfffff, v7
	s_mov_b32 s2, exec_lo
	v_cndmask_b32_e64 v8, v8, 0xffffff82, vcc_lo
	s_delay_alu instid0(VALU_DEP_2) | instskip(SKIP_1) | instid1(VALU_DEP_3)
	v_add_co_u32 v1, vcc_lo, v7, v1
	v_add_co_ci_u32_e32 v2, vcc_lo, 0, v2, vcc_lo
	v_add3_u32 v8, v15, v8, v9
                                        ; implicit-def: $vgpr7
	s_delay_alu instid0(VALU_DEP_1) | instskip(NEXT) | instid1(VALU_DEP_1)
	v_add_nc_u32_e32 v9, 6, v8
	v_cmpx_ne_u32_e32 0, v9
	s_xor_b32 s2, exec_lo, s2
; %bb.51:
	v_cmp_lt_u64_e32 vcc_lo, 0xffffff, v[1:2]
	v_add_nc_u32_e32 v7, 7, v8
	v_cndmask_b32_e64 v8, 0, 1, vcc_lo
	s_delay_alu instid0(VALU_DEP_2) | instskip(NEXT) | instid1(VALU_DEP_2)
	v_cndmask_b32_e32 v7, v9, v7, vcc_lo
	v_lshrrev_b64 v[1:2], v8, v[1:2]
; %bb.52:
	s_and_not1_saveexec_b32 s2, s2
; %bb.53:
	s_delay_alu instid0(VALU_DEP_1)
	v_bfe_u32 v7, v1, 23, 1
; %bb.54:
	s_or_b32 exec_lo, exec_lo, s2
	s_delay_alu instid0(VALU_DEP_2) | instskip(NEXT) | instid1(VALU_DEP_2)
	v_lshrrev_b64 v[1:2], 20, v[1:2]
	v_cmp_gt_i32_e32 vcc_lo, 16, v7
	v_cmp_ne_u32_e64 s2, 0, v7
                                        ; implicit-def: $vgpr9
	s_delay_alu instid0(VALU_DEP_3) | instskip(NEXT) | instid1(VALU_DEP_1)
	v_dual_cndmask_b32 v2, 0, v2 :: v_dual_cndmask_b32 v1, 7, v1
	v_cmp_ne_u64_e32 vcc_lo, 0, v[1:2]
	s_delay_alu instid0(VALU_DEP_3) | instskip(NEXT) | instid1(SALU_CYCLE_1)
	s_or_b32 s2, s2, vcc_lo
	s_and_saveexec_b32 s12, s2
	s_delay_alu instid0(SALU_CYCLE_1)
	s_xor_b32 s2, exec_lo, s12
; %bb.55:
	v_min_i32_e32 v2, 15, v7
	s_delay_alu instid0(VALU_DEP_1) | instskip(NEXT) | instid1(VALU_DEP_1)
	v_lshl_or_b32 v2, v2, 3, v10
                                        ; implicit-def: $vgpr10
	v_and_or_b32 v9, v1, 7, v2
; %bb.56:
	s_and_not1_saveexec_b32 s2, s2
; %bb.57:
	v_mov_b32_e32 v9, v10
; %bb.58:
	s_or_b32 exec_lo, exec_lo, s2
.LBB17_59:
	s_delay_alu instid0(SALU_CYCLE_1)
	s_or_b32 exec_lo, exec_lo, s11
.LBB17_60:
	s_and_not1_saveexec_b32 s2, s10
	s_delay_alu instid0(SALU_CYCLE_1)
	s_or_b32 exec_lo, exec_lo, s2
                                        ; implicit-def: $vgpr8
                                        ; implicit-def: $vgpr1_vgpr2
.LBB17_61:
	s_and_not1_saveexec_b32 s2, s6
; %bb.62:
	v_cmp_eq_u64_e32 vcc_lo, 0, v[1:2]
	v_or_b32_e32 v7, 0x7f, v8
	s_delay_alu instid0(VALU_DEP_1)
	v_cndmask_b32_e32 v9, v7, v9, vcc_lo
; %bb.63:
	s_or_b32 exec_lo, exec_lo, s2
	v_cvt_f32_f16_e32 v1, v14
	s_mov_b32 s2, exec_lo
	s_delay_alu instid0(VALU_DEP_1) | instskip(NEXT) | instid1(VALU_DEP_1)
	v_div_scale_f32 v2, null, v12, v12, v1
	v_rcp_f32_e32 v7, v2
	s_waitcnt_depctr 0xfff
	v_fma_f32 v8, -v2, v7, 1.0
	s_delay_alu instid0(VALU_DEP_1) | instskip(SKIP_1) | instid1(VALU_DEP_1)
	v_fmac_f32_e32 v7, v8, v7
	v_div_scale_f32 v8, vcc_lo, v1, v12, v1
	v_mul_f32_e32 v10, v8, v7
	s_delay_alu instid0(VALU_DEP_1) | instskip(NEXT) | instid1(VALU_DEP_1)
	v_fma_f32 v14, -v2, v10, v8
	v_fmac_f32_e32 v10, v14, v7
	s_delay_alu instid0(VALU_DEP_1) | instskip(NEXT) | instid1(VALU_DEP_1)
	v_fma_f32 v2, -v2, v10, v8
	v_div_fmas_f32 v2, v2, v7, v10
	s_delay_alu instid0(VALU_DEP_1) | instskip(SKIP_1) | instid1(VALU_DEP_2)
	v_div_fixup_f32 v1, v2, v12, v1
	v_mov_b32_e32 v2, 0
	v_cvt_f16_f32_e32 v1, v1
	s_delay_alu instid0(VALU_DEP_2) | instskip(NEXT) | instid1(VALU_DEP_2)
	v_mov_b32_e32 v16, v2
	v_cvt_f32_f16_e32 v7, v1
	s_delay_alu instid0(VALU_DEP_1) | instskip(SKIP_2) | instid1(VALU_DEP_3)
	v_lshrrev_b32_e32 v8, 24, v7
	v_and_b32_e32 v15, 0x7f800000, v7
	v_and_b32_e32 v1, 0x7fffff, v7
	;; [unrolled: 1-line block ×3, first 2 shown]
	s_delay_alu instid0(VALU_DEP_1) | instskip(NEXT) | instid1(VALU_DEP_4)
	v_or_b32_e32 v10, 0x7e, v14
	v_cmpx_ne_u64_e32 0x7f800000, v[15:16]
	s_xor_b32 s6, exec_lo, s2
	s_cbranch_execz .LBB17_79
; %bb.64:
	v_dual_mov_b32 v16, v2 :: v_dual_and_b32 v15, 0x7fffffff, v7
	s_mov_b32 s2, exec_lo
	s_delay_alu instid0(VALU_DEP_1)
	v_cmpx_gt_u64_e32 0x43e00001, v[15:16]
	s_xor_b32 s10, exec_lo, s2
	s_cbranch_execz .LBB17_78
; %bb.65:
	v_mov_b32_e32 v10, 0
	s_mov_b32 s11, exec_lo
	v_cmpx_ne_u32_e32 0, v7
	s_cbranch_execz .LBB17_77
; %bb.66:
	v_bfe_u32 v10, v7, 23, 8
	v_or_b32_e32 v16, 0x800000, v1
	s_delay_alu instid0(VALU_DEP_2) | instskip(SKIP_1) | instid1(VALU_DEP_2)
	v_sub_nc_u32_e32 v7, 0x79, v10
	v_cmp_gt_u32_e32 vcc_lo, 0x7a, v10
	v_cndmask_b32_e32 v7, 0, v7, vcc_lo
	v_cmp_eq_u32_e32 vcc_lo, 0, v10
	s_delay_alu instid0(VALU_DEP_2) | instskip(NEXT) | instid1(VALU_DEP_1)
	v_cndmask_b32_e64 v15, v7, 0x78, vcc_lo
	v_dual_cndmask_b32 v1, v16, v1 :: v_dual_add_nc_u32 v16, 19, v15
	v_add_nc_u32_e32 v7, 20, v15
	s_delay_alu instid0(VALU_DEP_1) | instskip(NEXT) | instid1(VALU_DEP_1)
	v_lshlrev_b64 v[7:8], v7, -1
	v_not_b32_e32 v18, v7
	s_delay_alu instid0(VALU_DEP_2) | instskip(SKIP_1) | instid1(VALU_DEP_3)
	v_not_b32_e32 v17, v8
	v_lshlrev_b64 v[7:8], v16, 1
	v_and_b32_e32 v16, v1, v18
	v_lshrrev_b64 v[1:2], v15, v[1:2]
	s_delay_alu instid0(VALU_DEP_4) | instskip(NEXT) | instid1(VALU_DEP_1)
	v_and_b32_e32 v17, 0, v17
	v_cmp_eq_u64_e64 s2, v[16:17], v[7:8]
	s_delay_alu instid0(VALU_DEP_3) | instskip(NEXT) | instid1(VALU_DEP_2)
	v_dual_mov_b32 v8, v2 :: v_dual_mov_b32 v7, v1
	s_and_saveexec_b32 s12, s2
; %bb.67:
	v_bfe_u32 v7, v1, 20, 1
	s_delay_alu instid0(VALU_DEP_1) | instskip(NEXT) | instid1(VALU_DEP_1)
	v_add_co_u32 v7, s2, v1, v7
	v_add_co_u32 v7, s2, v7, -1
; %bb.68:
	s_or_b32 exec_lo, exec_lo, s12
	v_add_nc_u32_e32 v8, 0xffffff81, v10
	v_lshrrev_b32_e32 v10, 23, v1
	s_delay_alu instid0(VALU_DEP_3) | instskip(SKIP_1) | instid1(VALU_DEP_3)
	v_and_b32_e32 v7, 0xfffff, v7
	s_mov_b32 s2, exec_lo
	v_cndmask_b32_e64 v8, v8, 0xffffff82, vcc_lo
	s_delay_alu instid0(VALU_DEP_2) | instskip(SKIP_1) | instid1(VALU_DEP_3)
	v_add_co_u32 v1, vcc_lo, v7, v1
	v_add_co_ci_u32_e32 v2, vcc_lo, 0, v2, vcc_lo
	v_add3_u32 v8, v15, v8, v10
                                        ; implicit-def: $vgpr7
	s_delay_alu instid0(VALU_DEP_1) | instskip(NEXT) | instid1(VALU_DEP_1)
	v_add_nc_u32_e32 v10, 6, v8
	v_cmpx_ne_u32_e32 0, v10
	s_xor_b32 s2, exec_lo, s2
; %bb.69:
	v_cmp_lt_u64_e32 vcc_lo, 0xffffff, v[1:2]
	v_add_nc_u32_e32 v7, 7, v8
	v_cndmask_b32_e64 v8, 0, 1, vcc_lo
	s_delay_alu instid0(VALU_DEP_2) | instskip(NEXT) | instid1(VALU_DEP_2)
	v_cndmask_b32_e32 v7, v10, v7, vcc_lo
	v_lshrrev_b64 v[1:2], v8, v[1:2]
; %bb.70:
	s_and_not1_saveexec_b32 s2, s2
; %bb.71:
	s_delay_alu instid0(VALU_DEP_1)
	v_bfe_u32 v7, v1, 23, 1
; %bb.72:
	s_or_b32 exec_lo, exec_lo, s2
	s_delay_alu instid0(VALU_DEP_2) | instskip(NEXT) | instid1(VALU_DEP_2)
	v_lshrrev_b64 v[1:2], 20, v[1:2]
	v_cmp_gt_i32_e32 vcc_lo, 16, v7
	v_cmp_ne_u32_e64 s2, 0, v7
                                        ; implicit-def: $vgpr10
	s_delay_alu instid0(VALU_DEP_3) | instskip(NEXT) | instid1(VALU_DEP_1)
	v_dual_cndmask_b32 v2, 0, v2 :: v_dual_cndmask_b32 v1, 7, v1
	v_cmp_ne_u64_e32 vcc_lo, 0, v[1:2]
	s_delay_alu instid0(VALU_DEP_3) | instskip(NEXT) | instid1(SALU_CYCLE_1)
	s_or_b32 s2, s2, vcc_lo
	s_and_saveexec_b32 s12, s2
	s_delay_alu instid0(SALU_CYCLE_1)
	s_xor_b32 s2, exec_lo, s12
; %bb.73:
	v_min_i32_e32 v2, 15, v7
	s_delay_alu instid0(VALU_DEP_1) | instskip(NEXT) | instid1(VALU_DEP_1)
	v_lshl_or_b32 v2, v2, 3, v14
                                        ; implicit-def: $vgpr14
	v_and_or_b32 v10, v1, 7, v2
; %bb.74:
	s_and_not1_saveexec_b32 s2, s2
; %bb.75:
	v_mov_b32_e32 v10, v14
; %bb.76:
	s_or_b32 exec_lo, exec_lo, s2
.LBB17_77:
	s_delay_alu instid0(SALU_CYCLE_1)
	s_or_b32 exec_lo, exec_lo, s11
.LBB17_78:
	s_and_not1_saveexec_b32 s2, s10
	s_delay_alu instid0(SALU_CYCLE_1)
	s_or_b32 exec_lo, exec_lo, s2
                                        ; implicit-def: $vgpr8
                                        ; implicit-def: $vgpr1_vgpr2
.LBB17_79:
	s_and_not1_saveexec_b32 s2, s6
; %bb.80:
	v_cmp_eq_u64_e32 vcc_lo, 0, v[1:2]
	v_or_b32_e32 v7, 0x7f, v8
	s_delay_alu instid0(VALU_DEP_1)
	v_cndmask_b32_e32 v10, v7, v10, vcc_lo
; %bb.81:
	s_or_b32 exec_lo, exec_lo, s2
	v_cvt_f32_f16_e32 v1, v3
	s_delay_alu instid0(VALU_DEP_1) | instskip(NEXT) | instid1(VALU_DEP_1)
	v_div_scale_f32 v2, null, v12, v12, v1
	v_rcp_f32_e32 v3, v2
	s_waitcnt_depctr 0xfff
	v_fma_f32 v7, -v2, v3, 1.0
	s_delay_alu instid0(VALU_DEP_1) | instskip(SKIP_1) | instid1(VALU_DEP_1)
	v_fmac_f32_e32 v3, v7, v3
	v_div_scale_f32 v7, vcc_lo, v1, v12, v1
	v_mul_f32_e32 v8, v7, v3
	s_delay_alu instid0(VALU_DEP_1) | instskip(NEXT) | instid1(VALU_DEP_1)
	v_fma_f32 v14, -v2, v8, v7
	v_fmac_f32_e32 v8, v14, v3
	s_delay_alu instid0(VALU_DEP_1) | instskip(NEXT) | instid1(VALU_DEP_1)
	v_fma_f32 v2, -v2, v8, v7
	v_div_fmas_f32 v2, v2, v3, v8
	s_delay_alu instid0(VALU_DEP_1) | instskip(SKIP_1) | instid1(VALU_DEP_2)
	v_div_fixup_f32 v1, v2, v12, v1
	v_mov_b32_e32 v2, 0
	v_cvt_f16_f32_e32 v1, v1
	s_delay_alu instid0(VALU_DEP_2) | instskip(NEXT) | instid1(VALU_DEP_2)
	v_mov_b32_e32 v15, v2
	v_cvt_f32_f16_e32 v7, v1
	s_delay_alu instid0(VALU_DEP_1) | instskip(SKIP_2) | instid1(VALU_DEP_3)
	v_lshrrev_b32_e32 v8, 24, v7
	v_and_b32_e32 v14, 0x7f800000, v7
	v_and_b32_e32 v1, 0x7fffff, v7
	;; [unrolled: 1-line block ×3, first 2 shown]
	s_delay_alu instid0(VALU_DEP_3) | instskip(NEXT) | instid1(VALU_DEP_2)
	v_cmp_ne_u64_e32 vcc_lo, 0x7f800000, v[14:15]
	v_or_b32_e32 v14, 0x7e, v3
	s_and_saveexec_b32 s2, vcc_lo
	s_delay_alu instid0(SALU_CYCLE_1)
	s_xor_b32 s6, exec_lo, s2
	s_cbranch_execz .LBB17_97
; %bb.82:
	v_dual_mov_b32 v16, v2 :: v_dual_and_b32 v15, 0x7fffffff, v7
	s_mov_b32 s2, exec_lo
	s_delay_alu instid0(VALU_DEP_1)
	v_cmpx_gt_u64_e32 0x43e00001, v[15:16]
	s_xor_b32 s10, exec_lo, s2
	s_cbranch_execz .LBB17_96
; %bb.83:
	v_mov_b32_e32 v14, 0
	s_mov_b32 s11, exec_lo
	v_cmpx_ne_u32_e32 0, v7
	s_cbranch_execz .LBB17_95
; %bb.84:
	v_bfe_u32 v14, v7, 23, 8
	v_or_b32_e32 v16, 0x800000, v1
	s_delay_alu instid0(VALU_DEP_2) | instskip(SKIP_1) | instid1(VALU_DEP_2)
	v_sub_nc_u32_e32 v7, 0x79, v14
	v_cmp_gt_u32_e32 vcc_lo, 0x7a, v14
	v_cndmask_b32_e32 v7, 0, v7, vcc_lo
	v_cmp_eq_u32_e32 vcc_lo, 0, v14
	s_delay_alu instid0(VALU_DEP_2) | instskip(NEXT) | instid1(VALU_DEP_1)
	v_cndmask_b32_e64 v15, v7, 0x78, vcc_lo
	v_dual_cndmask_b32 v1, v16, v1 :: v_dual_add_nc_u32 v16, 19, v15
	v_add_nc_u32_e32 v7, 20, v15
	s_delay_alu instid0(VALU_DEP_1) | instskip(NEXT) | instid1(VALU_DEP_1)
	v_lshlrev_b64 v[7:8], v7, -1
	v_not_b32_e32 v18, v7
	s_delay_alu instid0(VALU_DEP_2) | instskip(SKIP_1) | instid1(VALU_DEP_3)
	v_not_b32_e32 v17, v8
	v_lshlrev_b64 v[7:8], v16, 1
	v_and_b32_e32 v16, v1, v18
	v_lshrrev_b64 v[1:2], v15, v[1:2]
	s_delay_alu instid0(VALU_DEP_4) | instskip(NEXT) | instid1(VALU_DEP_1)
	v_and_b32_e32 v17, 0, v17
	v_cmp_eq_u64_e64 s2, v[16:17], v[7:8]
	s_delay_alu instid0(VALU_DEP_3) | instskip(NEXT) | instid1(VALU_DEP_2)
	v_dual_mov_b32 v8, v2 :: v_dual_mov_b32 v7, v1
	s_and_saveexec_b32 s12, s2
; %bb.85:
	v_bfe_u32 v7, v1, 20, 1
	s_delay_alu instid0(VALU_DEP_1) | instskip(NEXT) | instid1(VALU_DEP_1)
	v_add_co_u32 v7, s2, v1, v7
	v_add_co_u32 v7, s2, v7, -1
; %bb.86:
	s_or_b32 exec_lo, exec_lo, s12
	v_add_nc_u32_e32 v8, 0xffffff81, v14
	v_lshrrev_b32_e32 v14, 23, v1
	s_delay_alu instid0(VALU_DEP_3) | instskip(SKIP_1) | instid1(VALU_DEP_3)
	v_and_b32_e32 v7, 0xfffff, v7
	s_mov_b32 s2, exec_lo
	v_cndmask_b32_e64 v8, v8, 0xffffff82, vcc_lo
	s_delay_alu instid0(VALU_DEP_2) | instskip(SKIP_1) | instid1(VALU_DEP_3)
	v_add_co_u32 v1, vcc_lo, v7, v1
	v_add_co_ci_u32_e32 v2, vcc_lo, 0, v2, vcc_lo
	v_add3_u32 v8, v15, v8, v14
                                        ; implicit-def: $vgpr7
	s_delay_alu instid0(VALU_DEP_1) | instskip(NEXT) | instid1(VALU_DEP_1)
	v_add_nc_u32_e32 v14, 6, v8
	v_cmpx_ne_u32_e32 0, v14
	s_xor_b32 s2, exec_lo, s2
; %bb.87:
	v_cmp_lt_u64_e32 vcc_lo, 0xffffff, v[1:2]
	v_add_nc_u32_e32 v7, 7, v8
	v_cndmask_b32_e64 v8, 0, 1, vcc_lo
	s_delay_alu instid0(VALU_DEP_2) | instskip(NEXT) | instid1(VALU_DEP_2)
	v_cndmask_b32_e32 v7, v14, v7, vcc_lo
	v_lshrrev_b64 v[1:2], v8, v[1:2]
; %bb.88:
	s_and_not1_saveexec_b32 s2, s2
; %bb.89:
	s_delay_alu instid0(VALU_DEP_1)
	v_bfe_u32 v7, v1, 23, 1
; %bb.90:
	s_or_b32 exec_lo, exec_lo, s2
	s_delay_alu instid0(VALU_DEP_2) | instskip(NEXT) | instid1(VALU_DEP_2)
	v_lshrrev_b64 v[1:2], 20, v[1:2]
	v_cmp_gt_i32_e32 vcc_lo, 16, v7
	v_cmp_ne_u32_e64 s2, 0, v7
                                        ; implicit-def: $vgpr14
	s_delay_alu instid0(VALU_DEP_3) | instskip(NEXT) | instid1(VALU_DEP_1)
	v_dual_cndmask_b32 v2, 0, v2 :: v_dual_cndmask_b32 v1, 7, v1
	v_cmp_ne_u64_e32 vcc_lo, 0, v[1:2]
	s_delay_alu instid0(VALU_DEP_3) | instskip(NEXT) | instid1(SALU_CYCLE_1)
	s_or_b32 s2, s2, vcc_lo
	s_and_saveexec_b32 s12, s2
	s_delay_alu instid0(SALU_CYCLE_1)
	s_xor_b32 s2, exec_lo, s12
; %bb.91:
	v_min_i32_e32 v2, 15, v7
	s_delay_alu instid0(VALU_DEP_1) | instskip(NEXT) | instid1(VALU_DEP_1)
	v_lshl_or_b32 v2, v2, 3, v3
                                        ; implicit-def: $vgpr3
	v_and_or_b32 v14, v1, 7, v2
; %bb.92:
	s_and_not1_saveexec_b32 s2, s2
; %bb.93:
	v_mov_b32_e32 v14, v3
; %bb.94:
	s_or_b32 exec_lo, exec_lo, s2
.LBB17_95:
	s_delay_alu instid0(SALU_CYCLE_1)
	s_or_b32 exec_lo, exec_lo, s11
.LBB17_96:
	s_and_not1_saveexec_b32 s2, s10
	s_delay_alu instid0(SALU_CYCLE_1)
	s_or_b32 exec_lo, exec_lo, s2
                                        ; implicit-def: $vgpr8
                                        ; implicit-def: $vgpr1_vgpr2
.LBB17_97:
	s_and_not1_saveexec_b32 s2, s6
; %bb.98:
	v_cmp_eq_u64_e32 vcc_lo, 0, v[1:2]
	v_or_b32_e32 v3, 0x7f, v8
	s_delay_alu instid0(VALU_DEP_1)
	v_cndmask_b32_e32 v14, v3, v14, vcc_lo
; %bb.99:
	s_or_b32 exec_lo, exec_lo, s2
	v_cvt_f32_f16_e32 v1, v13
	s_mov_b32 s2, exec_lo
	s_delay_alu instid0(VALU_DEP_1) | instskip(NEXT) | instid1(VALU_DEP_1)
	v_div_scale_f32 v2, null, v12, v12, v1
	v_rcp_f32_e32 v3, v2
	s_waitcnt_depctr 0xfff
	v_fma_f32 v7, -v2, v3, 1.0
	s_delay_alu instid0(VALU_DEP_1) | instskip(SKIP_1) | instid1(VALU_DEP_1)
	v_fmac_f32_e32 v3, v7, v3
	v_div_scale_f32 v7, vcc_lo, v1, v12, v1
	v_mul_f32_e32 v8, v7, v3
	s_delay_alu instid0(VALU_DEP_1) | instskip(NEXT) | instid1(VALU_DEP_1)
	v_fma_f32 v13, -v2, v8, v7
	v_fmac_f32_e32 v8, v13, v3
	s_delay_alu instid0(VALU_DEP_1) | instskip(NEXT) | instid1(VALU_DEP_1)
	v_fma_f32 v2, -v2, v8, v7
	v_div_fmas_f32 v2, v2, v3, v8
	s_delay_alu instid0(VALU_DEP_1) | instskip(SKIP_1) | instid1(VALU_DEP_2)
	v_div_fixup_f32 v1, v2, v12, v1
	v_mov_b32_e32 v2, 0
	v_cvt_f16_f32_e32 v1, v1
	s_delay_alu instid0(VALU_DEP_2) | instskip(NEXT) | instid1(VALU_DEP_2)
	v_mov_b32_e32 v16, v2
	v_cvt_f32_f16_e32 v8, v1
	s_delay_alu instid0(VALU_DEP_1) | instskip(SKIP_2) | instid1(VALU_DEP_3)
	v_lshrrev_b32_e32 v13, 24, v8
	v_and_b32_e32 v15, 0x7f800000, v8
	v_and_b32_e32 v1, 0x7fffff, v8
	;; [unrolled: 1-line block ×3, first 2 shown]
	s_delay_alu instid0(VALU_DEP_1) | instskip(NEXT) | instid1(VALU_DEP_4)
	v_or_b32_e32 v7, 0x7e, v3
	v_cmpx_ne_u64_e32 0x7f800000, v[15:16]
	s_xor_b32 s6, exec_lo, s2
	s_cbranch_execz .LBB17_115
; %bb.100:
	v_dual_mov_b32 v16, v2 :: v_dual_and_b32 v15, 0x7fffffff, v8
	s_mov_b32 s2, exec_lo
	s_delay_alu instid0(VALU_DEP_1)
	v_cmpx_gt_u64_e32 0x43e00001, v[15:16]
	s_xor_b32 s10, exec_lo, s2
	s_cbranch_execz .LBB17_114
; %bb.101:
	v_mov_b32_e32 v7, 0
	s_mov_b32 s11, exec_lo
	v_cmpx_ne_u32_e32 0, v8
	s_cbranch_execz .LBB17_113
; %bb.102:
	v_bfe_u32 v13, v8, 23, 8
	v_or_b32_e32 v16, 0x800000, v1
	s_delay_alu instid0(VALU_DEP_2) | instskip(SKIP_1) | instid1(VALU_DEP_2)
	v_sub_nc_u32_e32 v7, 0x79, v13
	v_cmp_gt_u32_e32 vcc_lo, 0x7a, v13
	v_cndmask_b32_e32 v7, 0, v7, vcc_lo
	v_cmp_eq_u32_e32 vcc_lo, 0, v13
	s_delay_alu instid0(VALU_DEP_2) | instskip(NEXT) | instid1(VALU_DEP_1)
	v_cndmask_b32_e64 v15, v7, 0x78, vcc_lo
	v_dual_cndmask_b32 v1, v16, v1 :: v_dual_add_nc_u32 v16, 19, v15
	v_add_nc_u32_e32 v7, 20, v15
	s_delay_alu instid0(VALU_DEP_1) | instskip(NEXT) | instid1(VALU_DEP_1)
	v_lshlrev_b64 v[7:8], v7, -1
	v_not_b32_e32 v18, v7
	s_delay_alu instid0(VALU_DEP_2) | instskip(SKIP_1) | instid1(VALU_DEP_3)
	v_not_b32_e32 v17, v8
	v_lshlrev_b64 v[7:8], v16, 1
	v_and_b32_e32 v16, v1, v18
	v_lshrrev_b64 v[1:2], v15, v[1:2]
	s_delay_alu instid0(VALU_DEP_4) | instskip(NEXT) | instid1(VALU_DEP_1)
	v_and_b32_e32 v17, 0, v17
	v_cmp_eq_u64_e64 s2, v[16:17], v[7:8]
	s_delay_alu instid0(VALU_DEP_3) | instskip(NEXT) | instid1(VALU_DEP_2)
	v_dual_mov_b32 v8, v2 :: v_dual_mov_b32 v7, v1
	s_and_saveexec_b32 s12, s2
; %bb.103:
	v_bfe_u32 v7, v1, 20, 1
	s_delay_alu instid0(VALU_DEP_1) | instskip(NEXT) | instid1(VALU_DEP_1)
	v_add_co_u32 v7, s2, v1, v7
	v_add_co_u32 v7, s2, v7, -1
; %bb.104:
	s_or_b32 exec_lo, exec_lo, s12
	v_add_nc_u32_e32 v8, 0xffffff81, v13
	v_lshrrev_b32_e32 v13, 23, v1
	s_mov_b32 s2, exec_lo
	s_delay_alu instid0(VALU_DEP_2) | instskip(NEXT) | instid1(VALU_DEP_1)
	v_cndmask_b32_e64 v8, v8, 0xffffff82, vcc_lo
	v_add3_u32 v13, v15, v8, v13
	v_and_b32_e32 v8, 0xfffff, v7
	s_delay_alu instid0(VALU_DEP_2) | instskip(NEXT) | instid1(VALU_DEP_2)
	v_add_nc_u32_e32 v7, 6, v13
	v_add_co_u32 v1, vcc_lo, v8, v1
	v_add_co_ci_u32_e32 v2, vcc_lo, 0, v2, vcc_lo
                                        ; implicit-def: $vgpr8
	s_delay_alu instid0(VALU_DEP_3)
	v_cmpx_ne_u32_e32 0, v7
	s_xor_b32 s2, exec_lo, s2
; %bb.105:
	s_delay_alu instid0(VALU_DEP_2) | instskip(SKIP_1) | instid1(VALU_DEP_1)
	v_cmp_lt_u64_e32 vcc_lo, 0xffffff, v[1:2]
	v_add_nc_u32_e32 v8, 7, v13
	v_cndmask_b32_e32 v8, v7, v8, vcc_lo
	v_cndmask_b32_e64 v7, 0, 1, vcc_lo
	s_delay_alu instid0(VALU_DEP_1)
	v_lshrrev_b64 v[1:2], v7, v[1:2]
; %bb.106:
	s_and_not1_saveexec_b32 s2, s2
; %bb.107:
	s_delay_alu instid0(VALU_DEP_1)
	v_bfe_u32 v8, v1, 23, 1
; %bb.108:
	s_or_b32 exec_lo, exec_lo, s2
	s_delay_alu instid0(VALU_DEP_2) | instskip(NEXT) | instid1(VALU_DEP_2)
	v_lshrrev_b64 v[1:2], 20, v[1:2]
	v_cmp_gt_i32_e32 vcc_lo, 16, v8
	v_cmp_ne_u32_e64 s2, 0, v8
                                        ; implicit-def: $vgpr7
	s_delay_alu instid0(VALU_DEP_3) | instskip(NEXT) | instid1(VALU_DEP_1)
	v_dual_cndmask_b32 v2, 0, v2 :: v_dual_cndmask_b32 v1, 7, v1
	v_cmp_ne_u64_e32 vcc_lo, 0, v[1:2]
	s_delay_alu instid0(VALU_DEP_3) | instskip(NEXT) | instid1(SALU_CYCLE_1)
	s_or_b32 s2, s2, vcc_lo
	s_and_saveexec_b32 s12, s2
	s_delay_alu instid0(SALU_CYCLE_1)
	s_xor_b32 s2, exec_lo, s12
; %bb.109:
	v_min_i32_e32 v2, 15, v8
	s_delay_alu instid0(VALU_DEP_1) | instskip(NEXT) | instid1(VALU_DEP_1)
	v_lshl_or_b32 v2, v2, 3, v3
                                        ; implicit-def: $vgpr3
	v_and_or_b32 v7, v1, 7, v2
; %bb.110:
	s_and_not1_saveexec_b32 s2, s2
; %bb.111:
	v_mov_b32_e32 v7, v3
; %bb.112:
	s_or_b32 exec_lo, exec_lo, s2
.LBB17_113:
	s_delay_alu instid0(SALU_CYCLE_1)
	s_or_b32 exec_lo, exec_lo, s11
.LBB17_114:
	s_and_not1_saveexec_b32 s2, s10
	s_delay_alu instid0(SALU_CYCLE_1)
	s_or_b32 exec_lo, exec_lo, s2
                                        ; implicit-def: $vgpr13
                                        ; implicit-def: $vgpr1_vgpr2
.LBB17_115:
	s_and_not1_saveexec_b32 s2, s6
; %bb.116:
	v_cmp_eq_u64_e32 vcc_lo, 0, v[1:2]
	v_or_b32_e32 v3, 0x7f, v13
	s_delay_alu instid0(VALU_DEP_1)
	v_cndmask_b32_e32 v7, v3, v7, vcc_lo
; %bb.117:
	s_or_b32 exec_lo, exec_lo, s2
	v_cvt_f32_f16_e32 v1, v4
	s_mov_b32 s2, exec_lo
	s_delay_alu instid0(VALU_DEP_1) | instskip(NEXT) | instid1(VALU_DEP_1)
	v_div_scale_f32 v2, null, v12, v12, v1
	v_rcp_f32_e32 v3, v2
	s_waitcnt_depctr 0xfff
	v_fma_f32 v4, -v2, v3, 1.0
	s_delay_alu instid0(VALU_DEP_1) | instskip(SKIP_1) | instid1(VALU_DEP_1)
	v_fmac_f32_e32 v3, v4, v3
	v_div_scale_f32 v4, vcc_lo, v1, v12, v1
	v_mul_f32_e32 v8, v4, v3
	s_delay_alu instid0(VALU_DEP_1) | instskip(NEXT) | instid1(VALU_DEP_1)
	v_fma_f32 v13, -v2, v8, v4
	v_fmac_f32_e32 v8, v13, v3
	s_delay_alu instid0(VALU_DEP_1) | instskip(NEXT) | instid1(VALU_DEP_1)
	v_fma_f32 v2, -v2, v8, v4
	v_div_fmas_f32 v2, v2, v3, v8
	s_delay_alu instid0(VALU_DEP_1) | instskip(SKIP_1) | instid1(VALU_DEP_2)
	v_div_fixup_f32 v1, v2, v12, v1
	v_mov_b32_e32 v2, 0
	v_cvt_f16_f32_e32 v1, v1
	s_delay_alu instid0(VALU_DEP_2) | instskip(NEXT) | instid1(VALU_DEP_2)
	v_mov_b32_e32 v16, v2
	v_cvt_f32_f16_e32 v3, v1
	s_delay_alu instid0(VALU_DEP_1) | instskip(SKIP_2) | instid1(VALU_DEP_3)
	v_lshrrev_b32_e32 v13, 24, v3
	v_and_b32_e32 v15, 0x7f800000, v3
	v_and_b32_e32 v1, 0x7fffff, v3
	;; [unrolled: 1-line block ×3, first 2 shown]
	s_delay_alu instid0(VALU_DEP_1) | instskip(NEXT) | instid1(VALU_DEP_4)
	v_or_b32_e32 v4, 0x7e, v8
	v_cmpx_ne_u64_e32 0x7f800000, v[15:16]
	s_xor_b32 s6, exec_lo, s2
	s_cbranch_execz .LBB17_133
; %bb.118:
	v_dual_mov_b32 v16, v2 :: v_dual_and_b32 v15, 0x7fffffff, v3
	s_mov_b32 s2, exec_lo
	s_delay_alu instid0(VALU_DEP_1)
	v_cmpx_gt_u64_e32 0x43e00001, v[15:16]
	s_xor_b32 s10, exec_lo, s2
	s_cbranch_execz .LBB17_132
; %bb.119:
	v_mov_b32_e32 v4, 0
	s_mov_b32 s11, exec_lo
	v_cmpx_ne_u32_e32 0, v3
	s_cbranch_execz .LBB17_131
; %bb.120:
	v_bfe_u32 v13, v3, 23, 8
	v_or_b32_e32 v16, 0x800000, v1
	s_delay_alu instid0(VALU_DEP_2) | instskip(SKIP_1) | instid1(VALU_DEP_2)
	v_sub_nc_u32_e32 v3, 0x79, v13
	v_cmp_gt_u32_e32 vcc_lo, 0x7a, v13
	v_cndmask_b32_e32 v3, 0, v3, vcc_lo
	v_cmp_eq_u32_e32 vcc_lo, 0, v13
	s_delay_alu instid0(VALU_DEP_2) | instskip(NEXT) | instid1(VALU_DEP_1)
	v_cndmask_b32_e64 v15, v3, 0x78, vcc_lo
	v_dual_cndmask_b32 v1, v16, v1 :: v_dual_add_nc_u32 v16, 19, v15
	v_add_nc_u32_e32 v3, 20, v15
	s_delay_alu instid0(VALU_DEP_1) | instskip(NEXT) | instid1(VALU_DEP_1)
	v_lshlrev_b64 v[3:4], v3, -1
	v_not_b32_e32 v18, v3
	s_delay_alu instid0(VALU_DEP_2) | instskip(SKIP_1) | instid1(VALU_DEP_3)
	v_not_b32_e32 v17, v4
	v_lshlrev_b64 v[3:4], v16, 1
	v_and_b32_e32 v16, v1, v18
	v_lshrrev_b64 v[1:2], v15, v[1:2]
	s_delay_alu instid0(VALU_DEP_4) | instskip(NEXT) | instid1(VALU_DEP_1)
	v_and_b32_e32 v17, 0, v17
	v_cmp_eq_u64_e64 s2, v[16:17], v[3:4]
	s_delay_alu instid0(VALU_DEP_3) | instskip(NEXT) | instid1(VALU_DEP_2)
	v_dual_mov_b32 v4, v2 :: v_dual_mov_b32 v3, v1
	s_and_saveexec_b32 s12, s2
; %bb.121:
	v_bfe_u32 v3, v1, 20, 1
	s_delay_alu instid0(VALU_DEP_1) | instskip(NEXT) | instid1(VALU_DEP_1)
	v_add_co_u32 v3, s2, v1, v3
	v_add_co_u32 v3, s2, v3, -1
; %bb.122:
	s_or_b32 exec_lo, exec_lo, s12
	v_add_nc_u32_e32 v4, 0xffffff81, v13
	v_lshrrev_b32_e32 v13, 23, v1
	s_delay_alu instid0(VALU_DEP_3) | instskip(SKIP_1) | instid1(VALU_DEP_3)
	v_and_b32_e32 v3, 0xfffff, v3
	s_mov_b32 s2, exec_lo
	v_cndmask_b32_e64 v4, v4, 0xffffff82, vcc_lo
	s_delay_alu instid0(VALU_DEP_2) | instskip(SKIP_1) | instid1(VALU_DEP_3)
	v_add_co_u32 v1, vcc_lo, v3, v1
	v_add_co_ci_u32_e32 v2, vcc_lo, 0, v2, vcc_lo
	v_add3_u32 v4, v15, v4, v13
                                        ; implicit-def: $vgpr3
	s_delay_alu instid0(VALU_DEP_1) | instskip(NEXT) | instid1(VALU_DEP_1)
	v_add_nc_u32_e32 v13, 6, v4
	v_cmpx_ne_u32_e32 0, v13
	s_xor_b32 s2, exec_lo, s2
; %bb.123:
	v_cmp_lt_u64_e32 vcc_lo, 0xffffff, v[1:2]
	v_add_nc_u32_e32 v3, 7, v4
	v_cndmask_b32_e64 v4, 0, 1, vcc_lo
	s_delay_alu instid0(VALU_DEP_2) | instskip(NEXT) | instid1(VALU_DEP_2)
	v_cndmask_b32_e32 v3, v13, v3, vcc_lo
	v_lshrrev_b64 v[1:2], v4, v[1:2]
; %bb.124:
	s_and_not1_saveexec_b32 s2, s2
; %bb.125:
	s_delay_alu instid0(VALU_DEP_1)
	v_bfe_u32 v3, v1, 23, 1
; %bb.126:
	s_or_b32 exec_lo, exec_lo, s2
	s_delay_alu instid0(VALU_DEP_2) | instskip(NEXT) | instid1(VALU_DEP_2)
	v_lshrrev_b64 v[1:2], 20, v[1:2]
	v_cmp_gt_i32_e32 vcc_lo, 16, v3
	v_cmp_ne_u32_e64 s2, 0, v3
                                        ; implicit-def: $vgpr4
	s_delay_alu instid0(VALU_DEP_3) | instskip(NEXT) | instid1(VALU_DEP_1)
	v_dual_cndmask_b32 v2, 0, v2 :: v_dual_cndmask_b32 v1, 7, v1
	v_cmp_ne_u64_e32 vcc_lo, 0, v[1:2]
	s_delay_alu instid0(VALU_DEP_3) | instskip(NEXT) | instid1(SALU_CYCLE_1)
	s_or_b32 s2, s2, vcc_lo
	s_and_saveexec_b32 s12, s2
	s_delay_alu instid0(SALU_CYCLE_1)
	s_xor_b32 s2, exec_lo, s12
; %bb.127:
	v_min_i32_e32 v2, 15, v3
	s_delay_alu instid0(VALU_DEP_1) | instskip(NEXT) | instid1(VALU_DEP_1)
	v_lshl_or_b32 v2, v2, 3, v8
                                        ; implicit-def: $vgpr8
	v_and_or_b32 v4, v1, 7, v2
; %bb.128:
	s_and_not1_saveexec_b32 s2, s2
; %bb.129:
	v_mov_b32_e32 v4, v8
; %bb.130:
	s_or_b32 exec_lo, exec_lo, s2
.LBB17_131:
	s_delay_alu instid0(SALU_CYCLE_1)
	s_or_b32 exec_lo, exec_lo, s11
.LBB17_132:
	s_and_not1_saveexec_b32 s2, s10
	s_delay_alu instid0(SALU_CYCLE_1)
	s_or_b32 exec_lo, exec_lo, s2
                                        ; implicit-def: $vgpr13
                                        ; implicit-def: $vgpr1_vgpr2
.LBB17_133:
	s_and_not1_saveexec_b32 s2, s6
; %bb.134:
	v_cmp_eq_u64_e32 vcc_lo, 0, v[1:2]
	v_or_b32_e32 v3, 0x7f, v13
	s_delay_alu instid0(VALU_DEP_1)
	v_cndmask_b32_e32 v4, v3, v4, vcc_lo
; %bb.135:
	s_or_b32 exec_lo, exec_lo, s2
	v_cvt_f32_f16_e32 v1, v11
	s_mov_b32 s2, exec_lo
	s_delay_alu instid0(VALU_DEP_1) | instskip(NEXT) | instid1(VALU_DEP_1)
	v_div_scale_f32 v2, null, v12, v12, v1
	v_rcp_f32_e32 v3, v2
	s_waitcnt_depctr 0xfff
	v_fma_f32 v8, -v2, v3, 1.0
	s_delay_alu instid0(VALU_DEP_1) | instskip(SKIP_1) | instid1(VALU_DEP_1)
	v_fmac_f32_e32 v3, v8, v3
	v_div_scale_f32 v8, vcc_lo, v1, v12, v1
	v_mul_f32_e32 v11, v8, v3
	s_delay_alu instid0(VALU_DEP_1) | instskip(NEXT) | instid1(VALU_DEP_1)
	v_fma_f32 v13, -v2, v11, v8
	v_fmac_f32_e32 v11, v13, v3
	s_delay_alu instid0(VALU_DEP_1) | instskip(SKIP_1) | instid1(VALU_DEP_2)
	v_fma_f32 v2, -v2, v11, v8
	v_lshlrev_b32_e32 v8, 3, v0
	v_div_fmas_f32 v2, v2, v3, v11
	s_delay_alu instid0(VALU_DEP_1) | instskip(NEXT) | instid1(VALU_DEP_1)
	v_div_fixup_f32 v1, v2, v12, v1
	v_cvt_f16_f32_e32 v1, v1
	s_delay_alu instid0(VALU_DEP_1) | instskip(NEXT) | instid1(VALU_DEP_1)
	v_cvt_f32_f16_e32 v3, v1
	v_dual_mov_b32 v1, 0 :: v_dual_and_b32 v0, 0x7fffff, v3
	v_lshrrev_b32_e32 v12, 24, v3
	s_delay_alu instid0(VALU_DEP_2) | instskip(NEXT) | instid1(VALU_DEP_2)
	v_dual_mov_b32 v16, v1 :: v_dual_and_b32 v15, 0x7f800000, v3
	v_and_b32_e32 v11, 0x80, v12
	s_delay_alu instid0(VALU_DEP_1) | instskip(NEXT) | instid1(VALU_DEP_3)
	v_or_b32_e32 v2, 0x7e, v11
	v_cmpx_ne_u64_e32 0x7f800000, v[15:16]
	s_xor_b32 s6, exec_lo, s2
	s_cbranch_execz .LBB17_151
; %bb.136:
	v_dual_mov_b32 v13, v1 :: v_dual_and_b32 v12, 0x7fffffff, v3
	s_mov_b32 s2, exec_lo
	s_delay_alu instid0(VALU_DEP_1)
	v_cmpx_gt_u64_e32 0x43e00001, v[12:13]
	s_xor_b32 s10, exec_lo, s2
	s_cbranch_execz .LBB17_150
; %bb.137:
	v_mov_b32_e32 v2, 0
	s_mov_b32 s11, exec_lo
	v_cmpx_ne_u32_e32 0, v3
	s_cbranch_execz .LBB17_149
; %bb.138:
	v_bfe_u32 v12, v3, 23, 8
	v_or_b32_e32 v15, 0x800000, v0
	s_delay_alu instid0(VALU_DEP_2) | instskip(SKIP_1) | instid1(VALU_DEP_2)
	v_sub_nc_u32_e32 v2, 0x79, v12
	v_cmp_gt_u32_e32 vcc_lo, 0x7a, v12
	v_cndmask_b32_e32 v2, 0, v2, vcc_lo
	v_cmp_eq_u32_e32 vcc_lo, 0, v12
	s_delay_alu instid0(VALU_DEP_2) | instskip(NEXT) | instid1(VALU_DEP_1)
	v_cndmask_b32_e64 v13, v2, 0x78, vcc_lo
	v_dual_cndmask_b32 v0, v15, v0 :: v_dual_add_nc_u32 v15, 19, v13
	v_add_nc_u32_e32 v2, 20, v13
	s_delay_alu instid0(VALU_DEP_1) | instskip(NEXT) | instid1(VALU_DEP_1)
	v_lshlrev_b64 v[2:3], v2, -1
	v_not_b32_e32 v17, v2
	s_delay_alu instid0(VALU_DEP_2) | instskip(SKIP_1) | instid1(VALU_DEP_3)
	v_not_b32_e32 v16, v3
	v_lshlrev_b64 v[2:3], v15, 1
	v_and_b32_e32 v15, v0, v17
	v_lshrrev_b64 v[0:1], v13, v[0:1]
	s_delay_alu instid0(VALU_DEP_4) | instskip(NEXT) | instid1(VALU_DEP_1)
	v_and_b32_e32 v16, 0, v16
	v_cmp_eq_u64_e64 s2, v[15:16], v[2:3]
	s_delay_alu instid0(VALU_DEP_3) | instskip(NEXT) | instid1(VALU_DEP_2)
	v_dual_mov_b32 v3, v1 :: v_dual_mov_b32 v2, v0
	s_and_saveexec_b32 s12, s2
; %bb.139:
	v_bfe_u32 v2, v0, 20, 1
	s_delay_alu instid0(VALU_DEP_1) | instskip(NEXT) | instid1(VALU_DEP_1)
	v_add_co_u32 v2, s2, v0, v2
	v_add_co_u32 v2, s2, v2, -1
; %bb.140:
	s_or_b32 exec_lo, exec_lo, s12
	v_add_nc_u32_e32 v3, 0xffffff81, v12
	v_lshrrev_b32_e32 v12, 23, v0
	s_mov_b32 s2, exec_lo
	s_delay_alu instid0(VALU_DEP_2) | instskip(NEXT) | instid1(VALU_DEP_1)
	v_cndmask_b32_e64 v3, v3, 0xffffff82, vcc_lo
	v_add3_u32 v12, v13, v3, v12
	v_and_b32_e32 v3, 0xfffff, v2
	s_delay_alu instid0(VALU_DEP_2) | instskip(NEXT) | instid1(VALU_DEP_2)
	v_add_nc_u32_e32 v2, 6, v12
	v_add_co_u32 v0, vcc_lo, v3, v0
	v_add_co_ci_u32_e32 v1, vcc_lo, 0, v1, vcc_lo
                                        ; implicit-def: $vgpr3
	s_delay_alu instid0(VALU_DEP_3)
	v_cmpx_ne_u32_e32 0, v2
	s_xor_b32 s2, exec_lo, s2
; %bb.141:
	s_delay_alu instid0(VALU_DEP_2) | instskip(SKIP_1) | instid1(VALU_DEP_1)
	v_cmp_lt_u64_e32 vcc_lo, 0xffffff, v[0:1]
	v_add_nc_u32_e32 v3, 7, v12
	v_cndmask_b32_e32 v3, v2, v3, vcc_lo
	v_cndmask_b32_e64 v2, 0, 1, vcc_lo
	s_delay_alu instid0(VALU_DEP_1)
	v_lshrrev_b64 v[0:1], v2, v[0:1]
; %bb.142:
	s_and_not1_saveexec_b32 s2, s2
; %bb.143:
	s_delay_alu instid0(VALU_DEP_1)
	v_bfe_u32 v3, v0, 23, 1
; %bb.144:
	s_or_b32 exec_lo, exec_lo, s2
	s_delay_alu instid0(VALU_DEP_2) | instskip(NEXT) | instid1(VALU_DEP_2)
	v_lshrrev_b64 v[0:1], 20, v[0:1]
	v_cmp_gt_i32_e32 vcc_lo, 16, v3
	v_cmp_ne_u32_e64 s2, 0, v3
                                        ; implicit-def: $vgpr2
	s_delay_alu instid0(VALU_DEP_3) | instskip(NEXT) | instid1(VALU_DEP_1)
	v_dual_cndmask_b32 v1, 0, v1 :: v_dual_cndmask_b32 v0, 7, v0
	v_cmp_ne_u64_e32 vcc_lo, 0, v[0:1]
	s_delay_alu instid0(VALU_DEP_3) | instskip(NEXT) | instid1(SALU_CYCLE_1)
	s_or_b32 s2, s2, vcc_lo
	s_and_saveexec_b32 s12, s2
	s_delay_alu instid0(SALU_CYCLE_1)
	s_xor_b32 s2, exec_lo, s12
; %bb.145:
	v_min_i32_e32 v1, 15, v3
	s_delay_alu instid0(VALU_DEP_1) | instskip(NEXT) | instid1(VALU_DEP_1)
	v_lshl_or_b32 v1, v1, 3, v11
                                        ; implicit-def: $vgpr11
	v_and_or_b32 v2, v0, 7, v1
; %bb.146:
	s_and_not1_saveexec_b32 s2, s2
; %bb.147:
	v_mov_b32_e32 v2, v11
; %bb.148:
	s_or_b32 exec_lo, exec_lo, s2
.LBB17_149:
	s_delay_alu instid0(SALU_CYCLE_1)
	s_or_b32 exec_lo, exec_lo, s11
.LBB17_150:
	s_and_not1_saveexec_b32 s2, s10
	s_delay_alu instid0(SALU_CYCLE_1)
	s_or_b32 exec_lo, exec_lo, s2
                                        ; implicit-def: $vgpr12
                                        ; implicit-def: $vgpr0_vgpr1
.LBB17_151:
	s_and_not1_saveexec_b32 s2, s6
; %bb.152:
	v_cmp_eq_u64_e32 vcc_lo, 0, v[0:1]
	v_or_b32_e32 v3, 0x7f, v12
	s_delay_alu instid0(VALU_DEP_1)
	v_cndmask_b32_e32 v2, v3, v2, vcc_lo
; %bb.153:
	s_or_b32 exec_lo, exec_lo, s2
	v_lshlrev_b16 v0, 8, v7
	v_and_b32_e32 v1, 0xff, v14
	s_delay_alu instid0(VALU_DEP_3)
	v_lshlrev_b16 v2, 8, v2
	v_and_b32_e32 v3, 0xff, v4
	v_lshlrev_b16 v4, 8, v5
	v_and_b32_e32 v5, 0xff, v6
	;; [unrolled: 2-line block ×3, first 2 shown]
	v_or_b32_e32 v0, v1, v0
	v_or_b32_e32 v1, v3, v2
	;; [unrolled: 1-line block ×3, first 2 shown]
	s_delay_alu instid0(VALU_DEP_4) | instskip(NEXT) | instid1(VALU_DEP_4)
	v_or_b32_e32 v3, v7, v6
	v_and_b32_e32 v0, 0xffff, v0
	s_delay_alu instid0(VALU_DEP_4) | instskip(NEXT) | instid1(VALU_DEP_4)
	v_lshlrev_b32_e32 v1, 16, v1
	v_and_b32_e32 v2, 0xffff, v2
	s_delay_alu instid0(VALU_DEP_4) | instskip(NEXT) | instid1(VALU_DEP_3)
	v_lshlrev_b32_e32 v3, 16, v3
	v_or_b32_e32 v1, v0, v1
	s_delay_alu instid0(VALU_DEP_2) | instskip(SKIP_1) | instid1(VALU_DEP_1)
	v_or_b32_e32 v0, v2, v3
	v_add_co_u32 v2, s2, s3, v8
	v_add_co_ci_u32_e64 v3, null, s4, 0, s2
	global_store_b64 v[2:3], v[0:1], off
                                        ; implicit-def: $vgpr0
.LBB17_154:
	s_and_not1_saveexec_b32 s2, s5
	s_cbranch_execz .LBB17_156
; %bb.155:
	v_lshlrev_b16 v0, 1, v0
	s_load_b64 s[0:1], s[0:1], 0x8
	s_ashr_i32 s2, s7, 31
	s_mul_hi_u32 s5, s7, s8
	s_mul_i32 s2, s2, s8
	v_xor_b32_e32 v0, 0x80, v0
	s_mul_i32 s6, s7, s8
	s_add_i32 s7, s5, s2
	s_delay_alu instid0(SALU_CYCLE_1) | instskip(NEXT) | instid1(VALU_DEP_1)
	s_lshl_b64 s[6:7], s[6:7], 1
	v_bfe_i32 v0, v0, 0, 8
	s_delay_alu instid0(VALU_DEP_1) | instskip(NEXT) | instid1(VALU_DEP_1)
	v_ashrrev_i32_e32 v1, 31, v0
	v_lshlrev_b64 v[2:3], 1, v[0:1]
	s_waitcnt lgkmcnt(0)
	s_add_u32 s0, s0, s6
	s_addc_u32 s1, s1, s7
	s_delay_alu instid0(VALU_DEP_1) | instskip(NEXT) | instid1(VALU_DEP_2)
	v_add_co_u32 v2, vcc_lo, s0, v2
	v_add_co_ci_u32_e32 v3, vcc_lo, s1, v3, vcc_lo
	s_lshr_b32 s0, s9, 31
	s_delay_alu instid0(SALU_CYCLE_1) | instskip(SKIP_2) | instid1(SALU_CYCLE_1)
	s_add_i32 s9, s9, s0
	global_load_b32 v2, v[2:3], off
	s_ashr_i32 s0, s9, 1
	s_ashr_i32 s1, s0, 31
	v_add_co_u32 v0, vcc_lo, v0, s0
	v_add_co_ci_u32_e32 v1, vcc_lo, s1, v1, vcc_lo
	s_delay_alu instid0(VALU_DEP_1) | instskip(NEXT) | instid1(VALU_DEP_1)
	v_lshlrev_b64 v[0:1], 1, v[0:1]
	v_add_co_u32 v0, vcc_lo, s3, v0
	s_delay_alu instid0(VALU_DEP_2)
	v_add_co_ci_u32_e32 v1, vcc_lo, s4, v1, vcc_lo
	s_waitcnt vmcnt(0)
	global_store_b32 v[0:1], v2, off offset:16
.LBB17_156:
	s_nop 0
	s_sendmsg sendmsg(MSG_DEALLOC_VGPRS)
	s_endpgm
.LBB17_157:
                                        ; implicit-def: $sgpr14_sgpr15
	s_branch .LBB17_3
	.section	.rodata,"a",@progbits
	.p2align	6, 0x0
	.amdhsa_kernel _ZN4vllm30concat_and_cache_ds_mla_kernelIthLNS_18Fp8KVCacheDataTypeE1EEEvPKT_S4_PT0_PKliiiiiiiPKf
		.amdhsa_group_segment_fixed_size 0
		.amdhsa_private_segment_fixed_size 0
		.amdhsa_kernarg_size 72
		.amdhsa_user_sgpr_count 15
		.amdhsa_user_sgpr_dispatch_ptr 0
		.amdhsa_user_sgpr_queue_ptr 0
		.amdhsa_user_sgpr_kernarg_segment_ptr 1
		.amdhsa_user_sgpr_dispatch_id 0
		.amdhsa_user_sgpr_private_segment_size 0
		.amdhsa_wavefront_size32 1
		.amdhsa_uses_dynamic_stack 0
		.amdhsa_enable_private_segment 0
		.amdhsa_system_sgpr_workgroup_id_x 1
		.amdhsa_system_sgpr_workgroup_id_y 0
		.amdhsa_system_sgpr_workgroup_id_z 0
		.amdhsa_system_sgpr_workgroup_info 0
		.amdhsa_system_vgpr_workitem_id 0
		.amdhsa_next_free_vgpr 20
		.amdhsa_next_free_sgpr 25
		.amdhsa_reserve_vcc 1
		.amdhsa_float_round_mode_32 0
		.amdhsa_float_round_mode_16_64 0
		.amdhsa_float_denorm_mode_32 3
		.amdhsa_float_denorm_mode_16_64 3
		.amdhsa_dx10_clamp 1
		.amdhsa_ieee_mode 1
		.amdhsa_fp16_overflow 0
		.amdhsa_workgroup_processor_mode 1
		.amdhsa_memory_ordered 1
		.amdhsa_forward_progress 0
		.amdhsa_shared_vgpr_count 0
		.amdhsa_exception_fp_ieee_invalid_op 0
		.amdhsa_exception_fp_denorm_src 0
		.amdhsa_exception_fp_ieee_div_zero 0
		.amdhsa_exception_fp_ieee_overflow 0
		.amdhsa_exception_fp_ieee_underflow 0
		.amdhsa_exception_fp_ieee_inexact 0
		.amdhsa_exception_int_div_zero 0
	.end_amdhsa_kernel
	.section	.text._ZN4vllm30concat_and_cache_ds_mla_kernelIthLNS_18Fp8KVCacheDataTypeE1EEEvPKT_S4_PT0_PKliiiiiiiPKf,"axG",@progbits,_ZN4vllm30concat_and_cache_ds_mla_kernelIthLNS_18Fp8KVCacheDataTypeE1EEEvPKT_S4_PT0_PKliiiiiiiPKf,comdat
.Lfunc_end17:
	.size	_ZN4vllm30concat_and_cache_ds_mla_kernelIthLNS_18Fp8KVCacheDataTypeE1EEEvPKT_S4_PT0_PKliiiiiiiPKf, .Lfunc_end17-_ZN4vllm30concat_and_cache_ds_mla_kernelIthLNS_18Fp8KVCacheDataTypeE1EEEvPKT_S4_PT0_PKliiiiiiiPKf
                                        ; -- End function
	.section	.AMDGPU.csdata,"",@progbits
; Kernel info:
; codeLenInByte = 7504
; NumSgprs: 27
; NumVgprs: 20
; ScratchSize: 0
; MemoryBound: 0
; FloatMode: 240
; IeeeMode: 1
; LDSByteSize: 0 bytes/workgroup (compile time only)
; SGPRBlocks: 3
; VGPRBlocks: 2
; NumSGPRsForWavesPerEU: 27
; NumVGPRsForWavesPerEU: 20
; Occupancy: 16
; WaveLimiterHint : 0
; COMPUTE_PGM_RSRC2:SCRATCH_EN: 0
; COMPUTE_PGM_RSRC2:USER_SGPR: 15
; COMPUTE_PGM_RSRC2:TRAP_HANDLER: 0
; COMPUTE_PGM_RSRC2:TGID_X_EN: 1
; COMPUTE_PGM_RSRC2:TGID_Y_EN: 0
; COMPUTE_PGM_RSRC2:TGID_Z_EN: 0
; COMPUTE_PGM_RSRC2:TIDIG_COMP_CNT: 0
	.section	.text._ZN4vllm30concat_and_cache_ds_mla_kernelI14__hip_bfloat16hLNS_18Fp8KVCacheDataTypeE1EEEvPKT_S5_PT0_PKliiiiiiiPKf,"axG",@progbits,_ZN4vllm30concat_and_cache_ds_mla_kernelI14__hip_bfloat16hLNS_18Fp8KVCacheDataTypeE1EEEvPKT_S5_PT0_PKliiiiiiiPKf,comdat
	.protected	_ZN4vllm30concat_and_cache_ds_mla_kernelI14__hip_bfloat16hLNS_18Fp8KVCacheDataTypeE1EEEvPKT_S5_PT0_PKliiiiiiiPKf ; -- Begin function _ZN4vllm30concat_and_cache_ds_mla_kernelI14__hip_bfloat16hLNS_18Fp8KVCacheDataTypeE1EEEvPKT_S5_PT0_PKliiiiiiiPKf
	.globl	_ZN4vllm30concat_and_cache_ds_mla_kernelI14__hip_bfloat16hLNS_18Fp8KVCacheDataTypeE1EEEvPKT_S5_PT0_PKliiiiiiiPKf
	.p2align	8
	.type	_ZN4vllm30concat_and_cache_ds_mla_kernelI14__hip_bfloat16hLNS_18Fp8KVCacheDataTypeE1EEEvPKT_S5_PT0_PKliiiiiiiPKf,@function
_ZN4vllm30concat_and_cache_ds_mla_kernelI14__hip_bfloat16hLNS_18Fp8KVCacheDataTypeE1EEEvPKT_S5_PT0_PKliiiiiiiPKf: ; @_ZN4vllm30concat_and_cache_ds_mla_kernelI14__hip_bfloat16hLNS_18Fp8KVCacheDataTypeE1EEEvPKT_S5_PT0_PKliiiiiiiPKf
; %bb.0:
	s_load_b64 s[2:3], s[0:1], 0x18
	s_mov_b32 s8, s15
	s_mov_b32 s9, 0
	s_delay_alu instid0(SALU_CYCLE_1)
	s_lshl_b64 s[4:5], s[8:9], 3
	s_waitcnt lgkmcnt(0)
	s_add_u32 s2, s2, s4
	s_addc_u32 s3, s3, s5
	s_load_b64 s[10:11], s[2:3], 0x0
	s_waitcnt lgkmcnt(0)
	v_cmp_lt_i64_e64 s2, s[10:11], 0
	s_delay_alu instid0(VALU_DEP_1)
	s_and_b32 vcc_lo, exec_lo, s2
	s_cbranch_vccnz .LBB18_156
; %bb.1:
	s_clause 0x1
	s_load_b32 s12, s[0:1], 0x38
	s_load_b64 s[2:3], s[0:1], 0x10
	s_waitcnt lgkmcnt(0)
	s_ashr_i32 s13, s12, 31
	s_delay_alu instid0(SALU_CYCLE_1) | instskip(SKIP_1) | instid1(SALU_CYCLE_1)
	s_or_b64 s[4:5], s[10:11], s[12:13]
	s_mov_b32 s4, s9
	s_cmp_lg_u64 s[4:5], 0
	s_cbranch_scc0 .LBB18_157
; %bb.2:
	s_add_u32 s6, s12, s13
	s_mov_b32 s4, s13
	s_mov_b32 s5, s13
	s_addc_u32 s7, s13, s13
	s_delay_alu instid0(SALU_CYCLE_1) | instskip(NEXT) | instid1(SALU_CYCLE_1)
	s_xor_b64 s[6:7], s[6:7], s[4:5]
	v_cvt_f32_u32_e32 v1, s6
	v_cvt_f32_u32_e32 v2, s7
	s_sub_u32 s15, 0, s6
	s_subb_u32 s16, 0, s7
	s_delay_alu instid0(VALU_DEP_1) | instskip(NEXT) | instid1(VALU_DEP_1)
	v_fmamk_f32 v1, v2, 0x4f800000, v1
	v_rcp_f32_e32 v1, v1
	s_waitcnt_depctr 0xfff
	v_mul_f32_e32 v1, 0x5f7ffffc, v1
	s_delay_alu instid0(VALU_DEP_1) | instskip(NEXT) | instid1(VALU_DEP_1)
	v_mul_f32_e32 v2, 0x2f800000, v1
	v_trunc_f32_e32 v2, v2
	s_delay_alu instid0(VALU_DEP_1) | instskip(SKIP_1) | instid1(VALU_DEP_2)
	v_fmamk_f32 v1, v2, 0xcf800000, v1
	v_cvt_u32_f32_e32 v2, v2
	v_cvt_u32_f32_e32 v1, v1
	s_delay_alu instid0(VALU_DEP_2) | instskip(NEXT) | instid1(VALU_DEP_2)
	v_readfirstlane_b32 s9, v2
	v_readfirstlane_b32 s14, v1
	s_delay_alu instid0(VALU_DEP_2) | instskip(NEXT) | instid1(VALU_DEP_1)
	s_mul_i32 s17, s15, s9
	s_mul_hi_u32 s19, s15, s14
	s_mul_i32 s18, s16, s14
	s_add_i32 s17, s19, s17
	s_mul_i32 s20, s15, s14
	s_add_i32 s17, s17, s18
	s_mul_hi_u32 s19, s14, s20
	s_mul_hi_u32 s21, s9, s20
	s_mul_i32 s18, s9, s20
	s_mul_hi_u32 s20, s14, s17
	s_mul_i32 s14, s14, s17
	s_mul_hi_u32 s22, s9, s17
	s_add_u32 s14, s19, s14
	s_addc_u32 s19, 0, s20
	s_add_u32 s14, s14, s18
	s_mul_i32 s17, s9, s17
	s_addc_u32 s14, s19, s21
	s_addc_u32 s18, s22, 0
	s_add_u32 s14, s14, s17
	s_addc_u32 s17, 0, s18
	v_add_co_u32 v1, s14, v1, s14
	s_delay_alu instid0(VALU_DEP_1) | instskip(SKIP_1) | instid1(VALU_DEP_1)
	s_cmp_lg_u32 s14, 0
	s_addc_u32 s9, s9, s17
	v_readfirstlane_b32 s14, v1
	s_mul_i32 s17, s15, s9
	s_delay_alu instid0(VALU_DEP_1)
	s_mul_hi_u32 s18, s15, s14
	s_mul_i32 s16, s16, s14
	s_add_i32 s17, s18, s17
	s_mul_i32 s15, s15, s14
	s_add_i32 s17, s17, s16
	s_mul_hi_u32 s18, s9, s15
	s_mul_i32 s19, s9, s15
	s_mul_hi_u32 s15, s14, s15
	s_mul_hi_u32 s20, s14, s17
	s_mul_i32 s14, s14, s17
	s_mul_hi_u32 s16, s9, s17
	s_add_u32 s14, s15, s14
	s_addc_u32 s15, 0, s20
	s_add_u32 s14, s14, s19
	s_mul_i32 s17, s9, s17
	s_addc_u32 s14, s15, s18
	s_addc_u32 s15, s16, 0
	s_add_u32 s14, s14, s17
	s_addc_u32 s15, 0, s15
	v_add_co_u32 v1, s14, v1, s14
	s_delay_alu instid0(VALU_DEP_1) | instskip(SKIP_2) | instid1(VALU_DEP_1)
	s_cmp_lg_u32 s14, 0
	s_addc_u32 s9, s9, s15
	s_ashr_i32 s14, s11, 31
	v_readfirstlane_b32 s18, v1
	s_add_u32 s16, s10, s14
	s_mov_b32 s15, s14
	s_addc_u32 s17, s11, s14
	s_delay_alu instid0(SALU_CYCLE_1) | instskip(NEXT) | instid1(SALU_CYCLE_1)
	s_xor_b64 s[16:17], s[16:17], s[14:15]
	s_mul_i32 s20, s16, s9
	s_mul_hi_u32 s21, s16, s18
	s_mul_hi_u32 s19, s16, s9
	;; [unrolled: 1-line block ×3, first 2 shown]
	s_mul_i32 s18, s17, s18
	s_add_u32 s20, s21, s20
	s_addc_u32 s19, 0, s19
	s_mul_hi_u32 s22, s17, s9
	s_add_u32 s18, s20, s18
	s_mul_i32 s9, s17, s9
	s_addc_u32 s18, s19, s23
	s_addc_u32 s19, s22, 0
	s_add_u32 s9, s18, s9
	s_addc_u32 s18, 0, s19
	s_mul_i32 s22, s6, s9
	s_mul_hi_u32 s19, s6, s9
	s_mul_i32 s21, s6, s18
	v_sub_co_u32 v1, s16, s16, s22
	s_mul_i32 s20, s7, s9
	s_add_i32 s19, s19, s21
	s_delay_alu instid0(SALU_CYCLE_1) | instskip(NEXT) | instid1(VALU_DEP_1)
	s_add_i32 s19, s19, s20
	v_sub_co_u32 v2, s21, v1, s6
	s_sub_i32 s20, s17, s19
	s_cmp_lg_u32 s16, 0
	s_subb_u32 s20, s20, s7
	s_cmp_lg_u32 s21, 0
	v_readfirstlane_b32 s21, v2
	s_subb_u32 s20, s20, 0
	s_delay_alu instid0(SALU_CYCLE_1) | instskip(SKIP_1) | instid1(VALU_DEP_1)
	s_cmp_ge_u32 s20, s7
	s_cselect_b32 s22, -1, 0
	s_cmp_ge_u32 s21, s6
	s_cselect_b32 s21, -1, 0
	s_cmp_eq_u32 s20, s7
	s_cselect_b32 s20, s21, s22
	s_add_u32 s21, s9, 1
	s_addc_u32 s22, s18, 0
	s_add_u32 s23, s9, 2
	s_addc_u32 s24, s18, 0
	s_cmp_lg_u32 s20, 0
	s_cselect_b32 s20, s23, s21
	s_cselect_b32 s21, s24, s22
	s_cmp_lg_u32 s16, 0
	v_readfirstlane_b32 s16, v1
	s_subb_u32 s17, s17, s19
	s_delay_alu instid0(SALU_CYCLE_1) | instskip(SKIP_1) | instid1(VALU_DEP_1)
	s_cmp_ge_u32 s17, s7
	s_cselect_b32 s19, -1, 0
	s_cmp_ge_u32 s16, s6
	s_cselect_b32 s6, -1, 0
	s_cmp_eq_u32 s17, s7
	s_cselect_b32 s6, s6, s19
	s_delay_alu instid0(SALU_CYCLE_1) | instskip(SKIP_3) | instid1(SALU_CYCLE_1)
	s_cmp_lg_u32 s6, 0
	s_cselect_b32 s7, s21, s18
	s_cselect_b32 s6, s20, s9
	s_xor_b64 s[14:15], s[14:15], s[4:5]
	s_xor_b64 s[6:7], s[6:7], s[14:15]
	s_delay_alu instid0(SALU_CYCLE_1)
	s_sub_u32 s14, s6, s14
	s_subb_u32 s15, s7, s15
	s_cbranch_execnz .LBB18_4
.LBB18_3:
	v_cvt_f32_u32_e32 v1, s12
	s_sub_i32 s5, 0, s12
	s_mov_b32 s15, 0
	s_delay_alu instid0(VALU_DEP_1) | instskip(SKIP_2) | instid1(VALU_DEP_1)
	v_rcp_iflag_f32_e32 v1, v1
	s_waitcnt_depctr 0xfff
	v_mul_f32_e32 v1, 0x4f7ffffe, v1
	v_cvt_u32_f32_e32 v1, v1
	s_delay_alu instid0(VALU_DEP_1) | instskip(NEXT) | instid1(VALU_DEP_1)
	v_readfirstlane_b32 s4, v1
	s_mul_i32 s5, s5, s4
	s_delay_alu instid0(SALU_CYCLE_1) | instskip(NEXT) | instid1(SALU_CYCLE_1)
	s_mul_hi_u32 s5, s4, s5
	s_add_i32 s4, s4, s5
	s_delay_alu instid0(SALU_CYCLE_1) | instskip(NEXT) | instid1(SALU_CYCLE_1)
	s_mul_hi_u32 s4, s10, s4
	s_mul_i32 s5, s4, s12
	s_add_i32 s6, s4, 1
	s_sub_i32 s5, s10, s5
	s_delay_alu instid0(SALU_CYCLE_1)
	s_sub_i32 s7, s5, s12
	s_cmp_ge_u32 s5, s12
	s_cselect_b32 s4, s6, s4
	s_cselect_b32 s5, s7, s5
	s_add_i32 s6, s4, 1
	s_cmp_ge_u32 s5, s12
	s_cselect_b32 s14, s6, s4
.LBB18_4:
	s_clause 0x1
	s_load_b128 s[4:7], s[0:1], 0x20
	s_load_b32 s9, s[0:1], 0x30
	s_mul_i32 s13, s14, s13
	s_mul_hi_u32 s16, s14, s12
	s_mul_i32 s17, s15, s12
	s_add_i32 s13, s16, s13
	s_mul_i32 s12, s14, s12
	s_add_i32 s13, s13, s17
	s_sub_u32 s10, s10, s12
	s_subb_u32 s11, s11, s13
	s_waitcnt lgkmcnt(0)
	s_ashr_i32 s12, s4, 31
	s_ashr_i32 s16, s5, 31
	s_mul_hi_u32 s13, s14, s4
	s_mul_hi_u32 s17, s10, s5
	s_mul_i32 s11, s11, s5
	s_mul_i32 s5, s10, s5
	;; [unrolled: 1-line block ×5, first 2 shown]
	s_add_i32 s12, s13, s12
	s_add_i32 s10, s17, s10
	s_mul_i32 s4, s14, s4
	s_add_i32 s12, s12, s15
	s_add_i32 s10, s10, s11
	s_add_u32 s2, s2, s4
	s_addc_u32 s4, s3, s12
	s_add_u32 s3, s2, s5
	s_addc_u32 s4, s4, s10
	s_mov_b32 s2, exec_lo
	v_cmpx_gt_u32_e32 64, v0
	s_xor_b32 s5, exec_lo, s2
	s_cbranch_execz .LBB18_154
; %bb.5:
	s_load_b64 s[10:11], s[0:1], 0x0
	s_ashr_i32 s2, s6, 31
	s_mul_hi_u32 s13, s6, s8
	s_mul_i32 s2, s2, s8
	s_mul_i32 s12, s6, s8
	s_add_i32 s13, s13, s2
	v_lshlrev_b32_e32 v1, 4, v0
	s_lshl_b64 s[12:13], s[12:13], 1
	v_mbcnt_lo_u32_b32 v2, -1, 0
	s_mov_b32 s2, exec_lo
	s_delay_alu instid0(VALU_DEP_1)
	v_xor_b32_e32 v3, 8, v2
	s_waitcnt lgkmcnt(0)
	s_add_u32 s10, s10, s12
	s_addc_u32 s11, s11, s13
	global_load_b128 v[7:10], v1, s[10:11]
	s_waitcnt vmcnt(0)
	v_and_b32_e32 v5, 0xffff0000, v7
	v_lshlrev_b32_e32 v11, 16, v8
	v_and_b32_e32 v13, 0xffff0000, v8
	v_lshlrev_b32_e32 v14, 16, v9
	v_and_b32_e32 v12, 0xffff0000, v9
	v_max_f32_e64 v9, |v5|, |v5|
	v_and_b32_e32 v1, 16, v2
	v_max_f32_e64 v16, |v13|, |v13|
	v_max_f32_e64 v17, |v11|, |v11|
	s_delay_alu instid0(VALU_DEP_3) | instskip(SKIP_3) | instid1(VALU_DEP_4)
	v_add_nc_u32_e32 v4, 16, v1
	v_lshlrev_b32_e32 v1, 16, v7
	v_and_b32_e32 v7, 0xffff0000, v10
	v_lshlrev_b32_e32 v10, 16, v10
	v_cmp_lt_i32_e32 vcc_lo, v3, v4
	s_delay_alu instid0(VALU_DEP_4) | instskip(NEXT) | instid1(VALU_DEP_4)
	v_max_f32_e64 v15, |v1|, |v1|
	v_max_f32_e64 v6, |v7|, |v7|
	s_delay_alu instid0(VALU_DEP_4) | instskip(NEXT) | instid1(VALU_DEP_1)
	v_max_f32_e64 v8, |v10|, |v10|
	v_dual_cndmask_b32 v3, v2, v3 :: v_dual_max_f32 v6, v8, v6
	s_delay_alu instid0(VALU_DEP_4) | instskip(NEXT) | instid1(VALU_DEP_2)
	v_dual_max_f32 v8, v15, v9 :: v_dual_max_f32 v9, v17, v16
	v_lshlrev_b32_e32 v3, 2, v3
	s_delay_alu instid0(VALU_DEP_3) | instskip(NEXT) | instid1(VALU_DEP_1)
	v_max3_f32 v6, |v14|, |v12|, v6
	v_max3_f32 v6, v8, v9, v6
	v_xor_b32_e32 v8, 4, v2
	ds_bpermute_b32 v3, v3, v6
	v_cmp_lt_i32_e32 vcc_lo, v8, v4
	s_waitcnt lgkmcnt(0)
	v_dual_cndmask_b32 v8, v2, v8 :: v_dual_max_f32 v3, v3, v3
	s_delay_alu instid0(VALU_DEP_1) | instskip(SKIP_2) | instid1(VALU_DEP_1)
	v_dual_max_f32 v3, v6, v3 :: v_dual_lshlrev_b32 v8, 2, v8
	ds_bpermute_b32 v6, v8, v3
	v_xor_b32_e32 v8, 2, v2
	v_cmp_lt_i32_e32 vcc_lo, v8, v4
	v_cndmask_b32_e32 v8, v2, v8, vcc_lo
	s_delay_alu instid0(VALU_DEP_1) | instskip(SKIP_2) | instid1(VALU_DEP_1)
	v_lshlrev_b32_e32 v8, 2, v8
	s_waitcnt lgkmcnt(0)
	v_max_f32_e32 v6, v6, v6
	v_max_f32_e32 v3, v3, v6
	ds_bpermute_b32 v6, v8, v3
	v_xor_b32_e32 v8, 1, v2
	s_delay_alu instid0(VALU_DEP_1) | instskip(SKIP_3) | instid1(VALU_DEP_1)
	v_cmp_lt_i32_e32 vcc_lo, v8, v4
	v_cndmask_b32_e32 v2, v2, v8, vcc_lo
	s_waitcnt lgkmcnt(0)
	v_max_f32_e32 v4, v6, v6
	v_dual_max_f32 v3, v3, v4 :: v_dual_lshlrev_b32 v2, 2, v2
	ds_bpermute_b32 v2, v2, v3
	s_waitcnt lgkmcnt(0)
	v_max_f32_e32 v2, v2, v2
	s_delay_alu instid0(VALU_DEP_1) | instskip(NEXT) | instid1(VALU_DEP_1)
	v_max_f32_e32 v2, v3, v2
	v_div_scale_f32 v3, null, 0x43e00000, 0x43e00000, v2
	v_div_scale_f32 v8, vcc_lo, v2, 0x43e00000, v2
	s_delay_alu instid0(VALU_DEP_2) | instskip(SKIP_2) | instid1(VALU_DEP_1)
	v_rcp_f32_e32 v4, v3
	s_waitcnt_depctr 0xfff
	v_fma_f32 v6, -v3, v4, 1.0
	v_fmac_f32_e32 v4, v6, v4
	s_delay_alu instid0(VALU_DEP_1) | instskip(NEXT) | instid1(VALU_DEP_1)
	v_mul_f32_e32 v6, v8, v4
	v_fma_f32 v9, -v3, v6, v8
	s_delay_alu instid0(VALU_DEP_1) | instskip(NEXT) | instid1(VALU_DEP_1)
	v_fmac_f32_e32 v6, v9, v4
	v_fma_f32 v3, -v3, v6, v8
	s_delay_alu instid0(VALU_DEP_1) | instskip(NEXT) | instid1(VALU_DEP_1)
	v_div_fmas_f32 v3, v3, v4, v6
	v_div_fixup_f32 v2, v3, 0x43e00000, v2
	s_delay_alu instid0(VALU_DEP_1) | instskip(NEXT) | instid1(VALU_DEP_1)
	v_dual_max_f32 v8, 0x800000, v2 :: v_dual_and_b32 v3, 15, v0
	v_cmpx_eq_u32_e32 0, v3
	s_cbranch_execz .LBB18_7
; %bb.6:
	s_ashr_i32 s6, s9, 31
	v_lshrrev_b32_e32 v2, 4, v0
	s_lshr_b32 s6, s6, 30
	s_delay_alu instid0(SALU_CYCLE_1) | instskip(NEXT) | instid1(SALU_CYCLE_1)
	s_add_i32 s6, s9, s6
	s_ashr_i32 s6, s6, 2
	s_delay_alu instid0(VALU_DEP_1) | instid1(SALU_CYCLE_1)
	v_add_nc_u32_e32 v2, s6, v2
	s_delay_alu instid0(VALU_DEP_1) | instskip(NEXT) | instid1(VALU_DEP_1)
	v_ashrrev_i32_e32 v3, 31, v2
	v_lshlrev_b64 v[2:3], 2, v[2:3]
	s_delay_alu instid0(VALU_DEP_1) | instskip(NEXT) | instid1(VALU_DEP_2)
	v_add_co_u32 v2, vcc_lo, s3, v2
	v_add_co_ci_u32_e32 v3, vcc_lo, s4, v3, vcc_lo
	global_store_b32 v[2:3], v8, off
.LBB18_7:
	s_or_b32 exec_lo, exec_lo, s2
	s_delay_alu instid0(VALU_DEP_2) | instskip(SKIP_1) | instid1(VALU_DEP_1)
	v_div_scale_f32 v2, null, v8, v8, v1
	s_mov_b32 s2, exec_lo
	v_rcp_f32_e32 v3, v2
	s_waitcnt_depctr 0xfff
	v_fma_f32 v4, -v2, v3, 1.0
	s_delay_alu instid0(VALU_DEP_1) | instskip(SKIP_1) | instid1(VALU_DEP_1)
	v_fmac_f32_e32 v3, v4, v3
	v_div_scale_f32 v4, vcc_lo, v1, v8, v1
	v_mul_f32_e32 v6, v4, v3
	s_delay_alu instid0(VALU_DEP_1) | instskip(NEXT) | instid1(VALU_DEP_1)
	v_fma_f32 v9, -v2, v6, v4
	v_fmac_f32_e32 v6, v9, v3
	s_delay_alu instid0(VALU_DEP_1) | instskip(NEXT) | instid1(VALU_DEP_1)
	v_fma_f32 v2, -v2, v6, v4
	v_div_fmas_f32 v2, v2, v3, v6
	s_delay_alu instid0(VALU_DEP_1) | instskip(NEXT) | instid1(VALU_DEP_1)
	v_div_fixup_f32 v4, v2, v8, v1
	v_dual_mov_b32 v2, 0 :: v_dual_and_b32 v1, 0x7fffff, v4
	v_lshrrev_b32_e32 v9, 24, v4
	s_delay_alu instid0(VALU_DEP_2) | instskip(NEXT) | instid1(VALU_DEP_2)
	v_dual_mov_b32 v16, v2 :: v_dual_and_b32 v15, 0x7f800000, v4
	v_and_b32_e32 v6, 0x80, v9
	s_delay_alu instid0(VALU_DEP_1) | instskip(NEXT) | instid1(VALU_DEP_3)
	v_or_b32_e32 v3, 0x7e, v6
	v_cmpx_ne_u64_e32 0x7f800000, v[15:16]
	s_xor_b32 s6, exec_lo, s2
	s_cbranch_execz .LBB18_25
; %bb.8:
	v_dual_mov_b32 v16, v2 :: v_dual_and_b32 v15, 0x7fffffff, v4
	s_mov_b32 s2, exec_lo
	s_delay_alu instid0(VALU_DEP_1)
	v_cmpx_gt_u64_e32 0x43e00001, v[15:16]
	s_xor_b32 s10, exec_lo, s2
	s_cbranch_execz .LBB18_22
; %bb.9:
	s_mov_b32 s11, exec_lo
	v_cmpx_ne_u32_e32 0, v4
	s_cbranch_execz .LBB18_21
; %bb.10:
	v_bfe_u32 v9, v4, 23, 8
	v_or_b32_e32 v16, 0x800000, v1
	s_delay_alu instid0(VALU_DEP_2) | instskip(SKIP_1) | instid1(VALU_DEP_2)
	v_sub_nc_u32_e32 v3, 0x79, v9
	v_cmp_gt_u32_e32 vcc_lo, 0x7a, v9
	v_cndmask_b32_e32 v3, 0, v3, vcc_lo
	v_cmp_eq_u32_e32 vcc_lo, 0, v9
	s_delay_alu instid0(VALU_DEP_2) | instskip(NEXT) | instid1(VALU_DEP_1)
	v_cndmask_b32_e64 v15, v3, 0x78, vcc_lo
	v_dual_cndmask_b32 v1, v16, v1 :: v_dual_add_nc_u32 v16, 19, v15
	v_add_nc_u32_e32 v3, 20, v15
	s_delay_alu instid0(VALU_DEP_1) | instskip(NEXT) | instid1(VALU_DEP_1)
	v_lshlrev_b64 v[3:4], v3, -1
	v_not_b32_e32 v18, v3
	s_delay_alu instid0(VALU_DEP_2) | instskip(SKIP_1) | instid1(VALU_DEP_3)
	v_not_b32_e32 v17, v4
	v_lshlrev_b64 v[3:4], v16, 1
	v_and_b32_e32 v16, v1, v18
	v_lshrrev_b64 v[1:2], v15, v[1:2]
	s_delay_alu instid0(VALU_DEP_4) | instskip(NEXT) | instid1(VALU_DEP_1)
	v_and_b32_e32 v17, 0, v17
	v_cmp_eq_u64_e64 s2, v[16:17], v[3:4]
	s_delay_alu instid0(VALU_DEP_3) | instskip(NEXT) | instid1(VALU_DEP_2)
	v_dual_mov_b32 v4, v2 :: v_dual_mov_b32 v3, v1
	s_and_saveexec_b32 s12, s2
; %bb.11:
	v_bfe_u32 v3, v1, 20, 1
	s_delay_alu instid0(VALU_DEP_1) | instskip(NEXT) | instid1(VALU_DEP_1)
	v_add_co_u32 v3, s2, v1, v3
	v_add_co_u32 v3, s2, v3, -1
; %bb.12:
	s_or_b32 exec_lo, exec_lo, s12
	v_add_nc_u32_e32 v4, 0xffffff81, v9
	v_lshrrev_b32_e32 v9, 23, v1
	s_delay_alu instid0(VALU_DEP_3) | instskip(SKIP_1) | instid1(VALU_DEP_3)
	v_and_b32_e32 v3, 0xfffff, v3
	s_mov_b32 s2, exec_lo
	v_cndmask_b32_e64 v4, v4, 0xffffff82, vcc_lo
	s_delay_alu instid0(VALU_DEP_2) | instskip(SKIP_1) | instid1(VALU_DEP_3)
	v_add_co_u32 v1, vcc_lo, v3, v1
	v_add_co_ci_u32_e32 v2, vcc_lo, 0, v2, vcc_lo
	v_add3_u32 v4, v15, v4, v9
                                        ; implicit-def: $vgpr3
	s_delay_alu instid0(VALU_DEP_1) | instskip(NEXT) | instid1(VALU_DEP_1)
	v_add_nc_u32_e32 v9, 6, v4
	v_cmpx_ne_u32_e32 0, v9
	s_xor_b32 s2, exec_lo, s2
; %bb.13:
	v_cmp_lt_u64_e32 vcc_lo, 0xffffff, v[1:2]
	v_add_nc_u32_e32 v3, 7, v4
	v_cndmask_b32_e64 v4, 0, 1, vcc_lo
	s_delay_alu instid0(VALU_DEP_2) | instskip(NEXT) | instid1(VALU_DEP_2)
	v_cndmask_b32_e32 v3, v9, v3, vcc_lo
	v_lshrrev_b64 v[1:2], v4, v[1:2]
; %bb.14:
	s_and_not1_saveexec_b32 s2, s2
; %bb.15:
	s_delay_alu instid0(VALU_DEP_1)
	v_bfe_u32 v3, v1, 23, 1
; %bb.16:
	s_or_b32 exec_lo, exec_lo, s2
	s_delay_alu instid0(VALU_DEP_2) | instskip(NEXT) | instid1(VALU_DEP_2)
	v_lshrrev_b64 v[1:2], 20, v[1:2]
	v_cmp_gt_i32_e32 vcc_lo, 16, v3
	v_cmp_ne_u32_e64 s2, 0, v3
	s_delay_alu instid0(VALU_DEP_3) | instskip(NEXT) | instid1(VALU_DEP_1)
	v_dual_cndmask_b32 v2, 0, v2 :: v_dual_cndmask_b32 v1, 7, v1
	v_cmp_ne_u64_e32 vcc_lo, 0, v[1:2]
                                        ; implicit-def: $vgpr2
	s_delay_alu instid0(VALU_DEP_3) | instskip(NEXT) | instid1(SALU_CYCLE_1)
	s_or_b32 s2, s2, vcc_lo
	s_and_saveexec_b32 s12, s2
	s_delay_alu instid0(SALU_CYCLE_1)
	s_xor_b32 s2, exec_lo, s12
; %bb.17:
	v_min_i32_e32 v2, 15, v3
	s_delay_alu instid0(VALU_DEP_1) | instskip(NEXT) | instid1(VALU_DEP_1)
	v_lshl_or_b32 v2, v2, 3, v6
                                        ; implicit-def: $vgpr6
	v_and_or_b32 v2, v1, 7, v2
; %bb.18:
	s_and_not1_saveexec_b32 s2, s2
; %bb.19:
	v_mov_b32_e32 v2, v6
; %bb.20:
	s_or_b32 exec_lo, exec_lo, s2
.LBB18_21:
	s_delay_alu instid0(SALU_CYCLE_1)
	s_or_b32 exec_lo, exec_lo, s11
                                        ; implicit-def: $vgpr3
.LBB18_22:
	s_and_not1_saveexec_b32 s2, s10
; %bb.23:
	v_mov_b32_e32 v2, v3
; %bb.24:
	s_or_b32 exec_lo, exec_lo, s2
                                        ; implicit-def: $vgpr9
                                        ; implicit-def: $vgpr3
.LBB18_25:
	s_and_not1_saveexec_b32 s2, s6
; %bb.26:
	s_delay_alu instid0(VALU_DEP_1) | instskip(SKIP_1) | instid1(VALU_DEP_1)
	v_cmp_eq_u64_e32 vcc_lo, 0, v[1:2]
	v_or_b32_e32 v4, 0x7f, v9
	v_cndmask_b32_e32 v2, v4, v3, vcc_lo
; %bb.27:
	s_or_b32 exec_lo, exec_lo, s2
	v_div_scale_f32 v1, null, v8, v8, v5
	s_mov_b32 s2, exec_lo
	s_delay_alu instid0(VALU_DEP_1) | instskip(SKIP_2) | instid1(VALU_DEP_1)
	v_rcp_f32_e32 v3, v1
	s_waitcnt_depctr 0xfff
	v_fma_f32 v4, -v1, v3, 1.0
	v_fmac_f32_e32 v3, v4, v3
	v_div_scale_f32 v4, vcc_lo, v5, v8, v5
	s_delay_alu instid0(VALU_DEP_1) | instskip(NEXT) | instid1(VALU_DEP_1)
	v_mul_f32_e32 v6, v4, v3
	v_fma_f32 v9, -v1, v6, v4
	s_delay_alu instid0(VALU_DEP_1) | instskip(NEXT) | instid1(VALU_DEP_1)
	v_fmac_f32_e32 v6, v9, v3
	v_fma_f32 v1, -v1, v6, v4
	v_mov_b32_e32 v4, 0
	s_delay_alu instid0(VALU_DEP_2) | instskip(NEXT) | instid1(VALU_DEP_1)
	v_div_fmas_f32 v1, v1, v3, v6
	v_div_fixup_f32 v5, v1, v8, v5
	s_delay_alu instid0(VALU_DEP_1) | instskip(SKIP_2) | instid1(VALU_DEP_2)
	v_and_b32_e32 v3, 0x7fffff, v5
	v_lshrrev_b32_e32 v6, 24, v5
	v_dual_mov_b32 v16, v4 :: v_dual_and_b32 v15, 0x7f800000, v5
	v_and_b32_e32 v1, 0x80, v6
	s_delay_alu instid0(VALU_DEP_1) | instskip(NEXT) | instid1(VALU_DEP_3)
	v_or_b32_e32 v9, 0x7e, v1
	v_cmpx_ne_u64_e32 0x7f800000, v[15:16]
	s_xor_b32 s6, exec_lo, s2
	s_cbranch_execz .LBB18_43
; %bb.28:
	v_dual_mov_b32 v16, v4 :: v_dual_and_b32 v15, 0x7fffffff, v5
	s_mov_b32 s2, exec_lo
	s_delay_alu instid0(VALU_DEP_1)
	v_cmpx_gt_u64_e32 0x43e00001, v[15:16]
	s_xor_b32 s10, exec_lo, s2
	s_cbranch_execz .LBB18_42
; %bb.29:
	v_mov_b32_e32 v9, 0
	s_mov_b32 s11, exec_lo
	v_cmpx_ne_u32_e32 0, v5
	s_cbranch_execz .LBB18_41
; %bb.30:
	v_bfe_u32 v9, v5, 23, 8
	v_or_b32_e32 v16, 0x800000, v3
	s_delay_alu instid0(VALU_DEP_2) | instskip(SKIP_1) | instid1(VALU_DEP_2)
	v_sub_nc_u32_e32 v5, 0x79, v9
	v_cmp_gt_u32_e32 vcc_lo, 0x7a, v9
	v_cndmask_b32_e32 v5, 0, v5, vcc_lo
	v_cmp_eq_u32_e32 vcc_lo, 0, v9
	s_delay_alu instid0(VALU_DEP_2) | instskip(SKIP_1) | instid1(VALU_DEP_2)
	v_cndmask_b32_e64 v15, v5, 0x78, vcc_lo
	v_cndmask_b32_e32 v3, v16, v3, vcc_lo
	v_add_nc_u32_e32 v16, 19, v15
	v_add_nc_u32_e32 v5, 20, v15
	s_delay_alu instid0(VALU_DEP_1) | instskip(NEXT) | instid1(VALU_DEP_1)
	v_lshlrev_b64 v[5:6], v5, -1
	v_not_b32_e32 v18, v5
	s_delay_alu instid0(VALU_DEP_2) | instskip(SKIP_1) | instid1(VALU_DEP_3)
	v_not_b32_e32 v17, v6
	v_lshlrev_b64 v[5:6], v16, 1
	v_and_b32_e32 v16, v3, v18
	v_lshrrev_b64 v[3:4], v15, v[3:4]
	s_delay_alu instid0(VALU_DEP_4) | instskip(NEXT) | instid1(VALU_DEP_1)
	v_and_b32_e32 v17, 0, v17
	v_cmp_eq_u64_e64 s2, v[16:17], v[5:6]
	s_delay_alu instid0(VALU_DEP_3) | instskip(NEXT) | instid1(VALU_DEP_2)
	v_dual_mov_b32 v6, v4 :: v_dual_mov_b32 v5, v3
	s_and_saveexec_b32 s12, s2
; %bb.31:
	v_bfe_u32 v5, v3, 20, 1
	s_delay_alu instid0(VALU_DEP_1) | instskip(NEXT) | instid1(VALU_DEP_1)
	v_add_co_u32 v5, s2, v3, v5
	v_add_co_u32 v5, s2, v5, -1
; %bb.32:
	s_or_b32 exec_lo, exec_lo, s12
	v_add_nc_u32_e32 v6, 0xffffff81, v9
	v_lshrrev_b32_e32 v9, 23, v3
	s_delay_alu instid0(VALU_DEP_3) | instskip(SKIP_1) | instid1(VALU_DEP_3)
	v_and_b32_e32 v5, 0xfffff, v5
	s_mov_b32 s2, exec_lo
	v_cndmask_b32_e64 v6, v6, 0xffffff82, vcc_lo
	s_delay_alu instid0(VALU_DEP_2) | instskip(SKIP_1) | instid1(VALU_DEP_3)
	v_add_co_u32 v3, vcc_lo, v5, v3
	v_add_co_ci_u32_e32 v4, vcc_lo, 0, v4, vcc_lo
	v_add3_u32 v6, v15, v6, v9
                                        ; implicit-def: $vgpr5
	s_delay_alu instid0(VALU_DEP_1) | instskip(NEXT) | instid1(VALU_DEP_1)
	v_add_nc_u32_e32 v9, 6, v6
	v_cmpx_ne_u32_e32 0, v9
	s_xor_b32 s2, exec_lo, s2
; %bb.33:
	v_cmp_lt_u64_e32 vcc_lo, 0xffffff, v[3:4]
	v_add_nc_u32_e32 v5, 7, v6
	v_cndmask_b32_e64 v6, 0, 1, vcc_lo
	s_delay_alu instid0(VALU_DEP_2) | instskip(NEXT) | instid1(VALU_DEP_2)
	v_cndmask_b32_e32 v5, v9, v5, vcc_lo
	v_lshrrev_b64 v[3:4], v6, v[3:4]
; %bb.34:
	s_and_not1_saveexec_b32 s2, s2
; %bb.35:
	s_delay_alu instid0(VALU_DEP_1)
	v_bfe_u32 v5, v3, 23, 1
; %bb.36:
	s_or_b32 exec_lo, exec_lo, s2
	s_delay_alu instid0(VALU_DEP_2) | instskip(NEXT) | instid1(VALU_DEP_2)
	v_lshrrev_b64 v[3:4], 20, v[3:4]
	v_cmp_gt_i32_e32 vcc_lo, 16, v5
	v_cmp_ne_u32_e64 s2, 0, v5
                                        ; implicit-def: $vgpr9
	s_delay_alu instid0(VALU_DEP_3) | instskip(NEXT) | instid1(VALU_DEP_1)
	v_dual_cndmask_b32 v4, 0, v4 :: v_dual_cndmask_b32 v3, 7, v3
	v_cmp_ne_u64_e32 vcc_lo, 0, v[3:4]
	s_delay_alu instid0(VALU_DEP_3) | instskip(NEXT) | instid1(SALU_CYCLE_1)
	s_or_b32 s2, s2, vcc_lo
	s_and_saveexec_b32 s12, s2
	s_delay_alu instid0(SALU_CYCLE_1)
	s_xor_b32 s2, exec_lo, s12
; %bb.37:
	v_min_i32_e32 v4, 15, v5
	s_delay_alu instid0(VALU_DEP_1) | instskip(NEXT) | instid1(VALU_DEP_1)
	v_lshl_or_b32 v1, v4, 3, v1
	v_and_or_b32 v9, v3, 7, v1
                                        ; implicit-def: $vgpr1
; %bb.38:
	s_and_not1_saveexec_b32 s2, s2
; %bb.39:
	v_mov_b32_e32 v9, v1
; %bb.40:
	s_or_b32 exec_lo, exec_lo, s2
.LBB18_41:
	s_delay_alu instid0(SALU_CYCLE_1)
	s_or_b32 exec_lo, exec_lo, s11
.LBB18_42:
	s_and_not1_saveexec_b32 s2, s10
	s_delay_alu instid0(SALU_CYCLE_1)
	s_or_b32 exec_lo, exec_lo, s2
                                        ; implicit-def: $vgpr6
                                        ; implicit-def: $vgpr3_vgpr4
.LBB18_43:
	s_and_not1_saveexec_b32 s2, s6
; %bb.44:
	v_cmp_eq_u64_e32 vcc_lo, 0, v[3:4]
	v_or_b32_e32 v1, 0x7f, v6
	s_delay_alu instid0(VALU_DEP_1)
	v_cndmask_b32_e32 v9, v1, v9, vcc_lo
; %bb.45:
	s_or_b32 exec_lo, exec_lo, s2
	v_div_scale_f32 v1, null, v8, v8, v11
	s_mov_b32 s2, exec_lo
	s_delay_alu instid0(VALU_DEP_1) | instskip(SKIP_2) | instid1(VALU_DEP_1)
	v_rcp_f32_e32 v3, v1
	s_waitcnt_depctr 0xfff
	v_fma_f32 v4, -v1, v3, 1.0
	v_fmac_f32_e32 v3, v4, v3
	v_div_scale_f32 v4, vcc_lo, v11, v8, v11
	s_delay_alu instid0(VALU_DEP_1) | instskip(NEXT) | instid1(VALU_DEP_1)
	v_mul_f32_e32 v5, v4, v3
	v_fma_f32 v6, -v1, v5, v4
	s_delay_alu instid0(VALU_DEP_1) | instskip(NEXT) | instid1(VALU_DEP_1)
	v_fmac_f32_e32 v5, v6, v3
	v_fma_f32 v1, -v1, v5, v4
	v_mov_b32_e32 v4, 0
	s_delay_alu instid0(VALU_DEP_1) | instskip(NEXT) | instid1(VALU_DEP_3)
	v_mov_b32_e32 v16, v4
	v_div_fmas_f32 v1, v1, v3, v5
	s_delay_alu instid0(VALU_DEP_1) | instskip(NEXT) | instid1(VALU_DEP_1)
	v_div_fixup_f32 v5, v1, v8, v11
	v_lshrrev_b32_e32 v6, 24, v5
	v_and_b32_e32 v15, 0x7f800000, v5
	v_and_b32_e32 v3, 0x7fffff, v5
	s_delay_alu instid0(VALU_DEP_3) | instskip(NEXT) | instid1(VALU_DEP_1)
	v_and_b32_e32 v1, 0x80, v6
	v_or_b32_e32 v11, 0x7e, v1
	s_delay_alu instid0(VALU_DEP_4)
	v_cmpx_ne_u64_e32 0x7f800000, v[15:16]
	s_xor_b32 s6, exec_lo, s2
	s_cbranch_execz .LBB18_61
; %bb.46:
	v_dual_mov_b32 v16, v4 :: v_dual_and_b32 v15, 0x7fffffff, v5
	s_mov_b32 s2, exec_lo
	s_delay_alu instid0(VALU_DEP_1)
	v_cmpx_gt_u64_e32 0x43e00001, v[15:16]
	s_xor_b32 s10, exec_lo, s2
	s_cbranch_execz .LBB18_60
; %bb.47:
	v_mov_b32_e32 v11, 0
	s_mov_b32 s11, exec_lo
	v_cmpx_ne_u32_e32 0, v5
	s_cbranch_execz .LBB18_59
; %bb.48:
	v_bfe_u32 v11, v5, 23, 8
	v_or_b32_e32 v16, 0x800000, v3
	s_delay_alu instid0(VALU_DEP_2) | instskip(SKIP_1) | instid1(VALU_DEP_2)
	v_sub_nc_u32_e32 v5, 0x79, v11
	v_cmp_gt_u32_e32 vcc_lo, 0x7a, v11
	v_cndmask_b32_e32 v5, 0, v5, vcc_lo
	v_cmp_eq_u32_e32 vcc_lo, 0, v11
	s_delay_alu instid0(VALU_DEP_2) | instskip(SKIP_1) | instid1(VALU_DEP_2)
	v_cndmask_b32_e64 v15, v5, 0x78, vcc_lo
	v_cndmask_b32_e32 v3, v16, v3, vcc_lo
	v_add_nc_u32_e32 v16, 19, v15
	v_add_nc_u32_e32 v5, 20, v15
	s_delay_alu instid0(VALU_DEP_1) | instskip(NEXT) | instid1(VALU_DEP_1)
	v_lshlrev_b64 v[5:6], v5, -1
	v_not_b32_e32 v18, v5
	s_delay_alu instid0(VALU_DEP_2) | instskip(SKIP_1) | instid1(VALU_DEP_3)
	v_not_b32_e32 v17, v6
	v_lshlrev_b64 v[5:6], v16, 1
	v_and_b32_e32 v16, v3, v18
	v_lshrrev_b64 v[3:4], v15, v[3:4]
	s_delay_alu instid0(VALU_DEP_4) | instskip(NEXT) | instid1(VALU_DEP_1)
	v_and_b32_e32 v17, 0, v17
	v_cmp_eq_u64_e64 s2, v[16:17], v[5:6]
	s_delay_alu instid0(VALU_DEP_3) | instskip(NEXT) | instid1(VALU_DEP_2)
	v_dual_mov_b32 v6, v4 :: v_dual_mov_b32 v5, v3
	s_and_saveexec_b32 s12, s2
; %bb.49:
	v_bfe_u32 v5, v3, 20, 1
	s_delay_alu instid0(VALU_DEP_1) | instskip(NEXT) | instid1(VALU_DEP_1)
	v_add_co_u32 v5, s2, v3, v5
	v_add_co_u32 v5, s2, v5, -1
; %bb.50:
	s_or_b32 exec_lo, exec_lo, s12
	v_add_nc_u32_e32 v6, 0xffffff81, v11
	v_lshrrev_b32_e32 v11, 23, v3
	s_delay_alu instid0(VALU_DEP_3) | instskip(SKIP_1) | instid1(VALU_DEP_3)
	v_and_b32_e32 v5, 0xfffff, v5
	s_mov_b32 s2, exec_lo
	v_cndmask_b32_e64 v6, v6, 0xffffff82, vcc_lo
	s_delay_alu instid0(VALU_DEP_2) | instskip(SKIP_1) | instid1(VALU_DEP_3)
	v_add_co_u32 v3, vcc_lo, v5, v3
	v_add_co_ci_u32_e32 v4, vcc_lo, 0, v4, vcc_lo
	v_add3_u32 v6, v15, v6, v11
                                        ; implicit-def: $vgpr5
	s_delay_alu instid0(VALU_DEP_1) | instskip(NEXT) | instid1(VALU_DEP_1)
	v_add_nc_u32_e32 v11, 6, v6
	v_cmpx_ne_u32_e32 0, v11
	s_xor_b32 s2, exec_lo, s2
; %bb.51:
	v_cmp_lt_u64_e32 vcc_lo, 0xffffff, v[3:4]
	v_add_nc_u32_e32 v5, 7, v6
	v_cndmask_b32_e64 v6, 0, 1, vcc_lo
	s_delay_alu instid0(VALU_DEP_2) | instskip(NEXT) | instid1(VALU_DEP_2)
	v_cndmask_b32_e32 v5, v11, v5, vcc_lo
	v_lshrrev_b64 v[3:4], v6, v[3:4]
; %bb.52:
	s_and_not1_saveexec_b32 s2, s2
; %bb.53:
	s_delay_alu instid0(VALU_DEP_1)
	v_bfe_u32 v5, v3, 23, 1
; %bb.54:
	s_or_b32 exec_lo, exec_lo, s2
	s_delay_alu instid0(VALU_DEP_2) | instskip(NEXT) | instid1(VALU_DEP_2)
	v_lshrrev_b64 v[3:4], 20, v[3:4]
	v_cmp_gt_i32_e32 vcc_lo, 16, v5
	v_cmp_ne_u32_e64 s2, 0, v5
                                        ; implicit-def: $vgpr11
	s_delay_alu instid0(VALU_DEP_3) | instskip(NEXT) | instid1(VALU_DEP_1)
	v_dual_cndmask_b32 v4, 0, v4 :: v_dual_cndmask_b32 v3, 7, v3
	v_cmp_ne_u64_e32 vcc_lo, 0, v[3:4]
	s_delay_alu instid0(VALU_DEP_3) | instskip(NEXT) | instid1(SALU_CYCLE_1)
	s_or_b32 s2, s2, vcc_lo
	s_and_saveexec_b32 s12, s2
	s_delay_alu instid0(SALU_CYCLE_1)
	s_xor_b32 s2, exec_lo, s12
; %bb.55:
	v_min_i32_e32 v4, 15, v5
	s_delay_alu instid0(VALU_DEP_1) | instskip(NEXT) | instid1(VALU_DEP_1)
	v_lshl_or_b32 v1, v4, 3, v1
	v_and_or_b32 v11, v3, 7, v1
                                        ; implicit-def: $vgpr1
; %bb.56:
	s_and_not1_saveexec_b32 s2, s2
; %bb.57:
	v_mov_b32_e32 v11, v1
; %bb.58:
	s_or_b32 exec_lo, exec_lo, s2
.LBB18_59:
	s_delay_alu instid0(SALU_CYCLE_1)
	s_or_b32 exec_lo, exec_lo, s11
.LBB18_60:
	s_and_not1_saveexec_b32 s2, s10
	s_delay_alu instid0(SALU_CYCLE_1)
	s_or_b32 exec_lo, exec_lo, s2
                                        ; implicit-def: $vgpr6
                                        ; implicit-def: $vgpr3_vgpr4
.LBB18_61:
	s_and_not1_saveexec_b32 s2, s6
; %bb.62:
	v_cmp_eq_u64_e32 vcc_lo, 0, v[3:4]
	v_or_b32_e32 v1, 0x7f, v6
	s_delay_alu instid0(VALU_DEP_1)
	v_cndmask_b32_e32 v11, v1, v11, vcc_lo
; %bb.63:
	s_or_b32 exec_lo, exec_lo, s2
	v_div_scale_f32 v1, null, v8, v8, v13
	s_mov_b32 s2, exec_lo
	s_delay_alu instid0(VALU_DEP_1) | instskip(SKIP_2) | instid1(VALU_DEP_1)
	v_rcp_f32_e32 v3, v1
	s_waitcnt_depctr 0xfff
	v_fma_f32 v4, -v1, v3, 1.0
	v_fmac_f32_e32 v3, v4, v3
	v_div_scale_f32 v4, vcc_lo, v13, v8, v13
	s_delay_alu instid0(VALU_DEP_1) | instskip(NEXT) | instid1(VALU_DEP_1)
	v_mul_f32_e32 v5, v4, v3
	v_fma_f32 v6, -v1, v5, v4
	s_delay_alu instid0(VALU_DEP_1) | instskip(NEXT) | instid1(VALU_DEP_1)
	v_fmac_f32_e32 v5, v6, v3
	v_fma_f32 v1, -v1, v5, v4
	v_mov_b32_e32 v4, 0
	s_delay_alu instid0(VALU_DEP_1) | instskip(NEXT) | instid1(VALU_DEP_3)
	v_mov_b32_e32 v16, v4
	v_div_fmas_f32 v1, v1, v3, v5
	s_delay_alu instid0(VALU_DEP_1) | instskip(NEXT) | instid1(VALU_DEP_1)
	v_div_fixup_f32 v5, v1, v8, v13
	v_lshrrev_b32_e32 v6, 24, v5
	v_and_b32_e32 v15, 0x7f800000, v5
	v_and_b32_e32 v3, 0x7fffff, v5
	s_delay_alu instid0(VALU_DEP_3) | instskip(NEXT) | instid1(VALU_DEP_1)
	v_and_b32_e32 v1, 0x80, v6
	v_or_b32_e32 v13, 0x7e, v1
	s_delay_alu instid0(VALU_DEP_4)
	v_cmpx_ne_u64_e32 0x7f800000, v[15:16]
	s_xor_b32 s6, exec_lo, s2
	s_cbranch_execz .LBB18_79
; %bb.64:
	v_dual_mov_b32 v16, v4 :: v_dual_and_b32 v15, 0x7fffffff, v5
	s_mov_b32 s2, exec_lo
	s_delay_alu instid0(VALU_DEP_1)
	v_cmpx_gt_u64_e32 0x43e00001, v[15:16]
	s_xor_b32 s10, exec_lo, s2
	s_cbranch_execz .LBB18_78
; %bb.65:
	v_mov_b32_e32 v13, 0
	s_mov_b32 s11, exec_lo
	v_cmpx_ne_u32_e32 0, v5
	s_cbranch_execz .LBB18_77
; %bb.66:
	v_bfe_u32 v13, v5, 23, 8
	v_or_b32_e32 v16, 0x800000, v3
	s_delay_alu instid0(VALU_DEP_2) | instskip(SKIP_1) | instid1(VALU_DEP_2)
	v_sub_nc_u32_e32 v5, 0x79, v13
	v_cmp_gt_u32_e32 vcc_lo, 0x7a, v13
	v_cndmask_b32_e32 v5, 0, v5, vcc_lo
	v_cmp_eq_u32_e32 vcc_lo, 0, v13
	s_delay_alu instid0(VALU_DEP_2) | instskip(SKIP_1) | instid1(VALU_DEP_2)
	v_cndmask_b32_e64 v15, v5, 0x78, vcc_lo
	v_cndmask_b32_e32 v3, v16, v3, vcc_lo
	v_add_nc_u32_e32 v16, 19, v15
	v_add_nc_u32_e32 v5, 20, v15
	s_delay_alu instid0(VALU_DEP_1) | instskip(NEXT) | instid1(VALU_DEP_1)
	v_lshlrev_b64 v[5:6], v5, -1
	v_not_b32_e32 v18, v5
	s_delay_alu instid0(VALU_DEP_2) | instskip(SKIP_1) | instid1(VALU_DEP_3)
	v_not_b32_e32 v17, v6
	v_lshlrev_b64 v[5:6], v16, 1
	v_and_b32_e32 v16, v3, v18
	v_lshrrev_b64 v[3:4], v15, v[3:4]
	s_delay_alu instid0(VALU_DEP_4) | instskip(NEXT) | instid1(VALU_DEP_1)
	v_and_b32_e32 v17, 0, v17
	v_cmp_eq_u64_e64 s2, v[16:17], v[5:6]
	s_delay_alu instid0(VALU_DEP_3) | instskip(NEXT) | instid1(VALU_DEP_2)
	v_dual_mov_b32 v6, v4 :: v_dual_mov_b32 v5, v3
	s_and_saveexec_b32 s12, s2
; %bb.67:
	v_bfe_u32 v5, v3, 20, 1
	s_delay_alu instid0(VALU_DEP_1) | instskip(NEXT) | instid1(VALU_DEP_1)
	v_add_co_u32 v5, s2, v3, v5
	v_add_co_u32 v5, s2, v5, -1
; %bb.68:
	s_or_b32 exec_lo, exec_lo, s12
	v_add_nc_u32_e32 v6, 0xffffff81, v13
	v_lshrrev_b32_e32 v13, 23, v3
	s_delay_alu instid0(VALU_DEP_3) | instskip(SKIP_1) | instid1(VALU_DEP_3)
	v_and_b32_e32 v5, 0xfffff, v5
	s_mov_b32 s2, exec_lo
	v_cndmask_b32_e64 v6, v6, 0xffffff82, vcc_lo
	s_delay_alu instid0(VALU_DEP_2) | instskip(SKIP_1) | instid1(VALU_DEP_3)
	v_add_co_u32 v3, vcc_lo, v5, v3
	v_add_co_ci_u32_e32 v4, vcc_lo, 0, v4, vcc_lo
	v_add3_u32 v6, v15, v6, v13
                                        ; implicit-def: $vgpr5
	s_delay_alu instid0(VALU_DEP_1) | instskip(NEXT) | instid1(VALU_DEP_1)
	v_add_nc_u32_e32 v13, 6, v6
	v_cmpx_ne_u32_e32 0, v13
	s_xor_b32 s2, exec_lo, s2
; %bb.69:
	v_cmp_lt_u64_e32 vcc_lo, 0xffffff, v[3:4]
	v_add_nc_u32_e32 v5, 7, v6
	v_cndmask_b32_e64 v6, 0, 1, vcc_lo
	s_delay_alu instid0(VALU_DEP_2) | instskip(NEXT) | instid1(VALU_DEP_2)
	v_cndmask_b32_e32 v5, v13, v5, vcc_lo
	v_lshrrev_b64 v[3:4], v6, v[3:4]
; %bb.70:
	s_and_not1_saveexec_b32 s2, s2
; %bb.71:
	s_delay_alu instid0(VALU_DEP_1)
	v_bfe_u32 v5, v3, 23, 1
; %bb.72:
	s_or_b32 exec_lo, exec_lo, s2
	s_delay_alu instid0(VALU_DEP_2) | instskip(NEXT) | instid1(VALU_DEP_2)
	v_lshrrev_b64 v[3:4], 20, v[3:4]
	v_cmp_gt_i32_e32 vcc_lo, 16, v5
	v_cmp_ne_u32_e64 s2, 0, v5
                                        ; implicit-def: $vgpr13
	s_delay_alu instid0(VALU_DEP_3) | instskip(NEXT) | instid1(VALU_DEP_1)
	v_dual_cndmask_b32 v4, 0, v4 :: v_dual_cndmask_b32 v3, 7, v3
	v_cmp_ne_u64_e32 vcc_lo, 0, v[3:4]
	s_delay_alu instid0(VALU_DEP_3) | instskip(NEXT) | instid1(SALU_CYCLE_1)
	s_or_b32 s2, s2, vcc_lo
	s_and_saveexec_b32 s12, s2
	s_delay_alu instid0(SALU_CYCLE_1)
	s_xor_b32 s2, exec_lo, s12
; %bb.73:
	v_min_i32_e32 v4, 15, v5
	s_delay_alu instid0(VALU_DEP_1) | instskip(NEXT) | instid1(VALU_DEP_1)
	v_lshl_or_b32 v1, v4, 3, v1
	v_and_or_b32 v13, v3, 7, v1
                                        ; implicit-def: $vgpr1
; %bb.74:
	s_and_not1_saveexec_b32 s2, s2
; %bb.75:
	v_mov_b32_e32 v13, v1
; %bb.76:
	s_or_b32 exec_lo, exec_lo, s2
.LBB18_77:
	s_delay_alu instid0(SALU_CYCLE_1)
	s_or_b32 exec_lo, exec_lo, s11
.LBB18_78:
	s_and_not1_saveexec_b32 s2, s10
	s_delay_alu instid0(SALU_CYCLE_1)
	s_or_b32 exec_lo, exec_lo, s2
                                        ; implicit-def: $vgpr6
                                        ; implicit-def: $vgpr3_vgpr4
.LBB18_79:
	s_and_not1_saveexec_b32 s2, s6
; %bb.80:
	v_cmp_eq_u64_e32 vcc_lo, 0, v[3:4]
	v_or_b32_e32 v1, 0x7f, v6
	s_delay_alu instid0(VALU_DEP_1)
	v_cndmask_b32_e32 v13, v1, v13, vcc_lo
; %bb.81:
	s_or_b32 exec_lo, exec_lo, s2
	v_div_scale_f32 v1, null, v8, v8, v14
	s_delay_alu instid0(VALU_DEP_1) | instskip(SKIP_2) | instid1(VALU_DEP_1)
	v_rcp_f32_e32 v3, v1
	s_waitcnt_depctr 0xfff
	v_fma_f32 v4, -v1, v3, 1.0
	v_fmac_f32_e32 v3, v4, v3
	v_div_scale_f32 v4, vcc_lo, v14, v8, v14
	s_delay_alu instid0(VALU_DEP_1) | instskip(NEXT) | instid1(VALU_DEP_1)
	v_mul_f32_e32 v5, v4, v3
	v_fma_f32 v6, -v1, v5, v4
	s_delay_alu instid0(VALU_DEP_1) | instskip(NEXT) | instid1(VALU_DEP_1)
	v_fmac_f32_e32 v5, v6, v3
	v_fma_f32 v1, -v1, v5, v4
	v_mov_b32_e32 v4, 0
	s_delay_alu instid0(VALU_DEP_2) | instskip(NEXT) | instid1(VALU_DEP_2)
	v_div_fmas_f32 v1, v1, v3, v5
	v_mov_b32_e32 v15, v4
	s_delay_alu instid0(VALU_DEP_2) | instskip(NEXT) | instid1(VALU_DEP_1)
	v_div_fixup_f32 v5, v1, v8, v14
	v_lshrrev_b32_e32 v6, 24, v5
	v_and_b32_e32 v14, 0x7f800000, v5
	v_and_b32_e32 v3, 0x7fffff, v5
	s_delay_alu instid0(VALU_DEP_3) | instskip(NEXT) | instid1(VALU_DEP_3)
	v_and_b32_e32 v1, 0x80, v6
	v_cmp_ne_u64_e32 vcc_lo, 0x7f800000, v[14:15]
	s_delay_alu instid0(VALU_DEP_2) | instskip(SKIP_1) | instid1(SALU_CYCLE_1)
	v_or_b32_e32 v14, 0x7e, v1
	s_and_saveexec_b32 s2, vcc_lo
	s_xor_b32 s6, exec_lo, s2
	s_cbranch_execz .LBB18_97
; %bb.82:
	v_dual_mov_b32 v16, v4 :: v_dual_and_b32 v15, 0x7fffffff, v5
	s_mov_b32 s2, exec_lo
	s_delay_alu instid0(VALU_DEP_1)
	v_cmpx_gt_u64_e32 0x43e00001, v[15:16]
	s_xor_b32 s10, exec_lo, s2
	s_cbranch_execz .LBB18_96
; %bb.83:
	v_mov_b32_e32 v14, 0
	s_mov_b32 s11, exec_lo
	v_cmpx_ne_u32_e32 0, v5
	s_cbranch_execz .LBB18_95
; %bb.84:
	v_bfe_u32 v14, v5, 23, 8
	v_or_b32_e32 v16, 0x800000, v3
	s_delay_alu instid0(VALU_DEP_2) | instskip(SKIP_1) | instid1(VALU_DEP_2)
	v_sub_nc_u32_e32 v5, 0x79, v14
	v_cmp_gt_u32_e32 vcc_lo, 0x7a, v14
	v_cndmask_b32_e32 v5, 0, v5, vcc_lo
	v_cmp_eq_u32_e32 vcc_lo, 0, v14
	s_delay_alu instid0(VALU_DEP_2) | instskip(SKIP_1) | instid1(VALU_DEP_2)
	v_cndmask_b32_e64 v15, v5, 0x78, vcc_lo
	v_cndmask_b32_e32 v3, v16, v3, vcc_lo
	v_add_nc_u32_e32 v16, 19, v15
	v_add_nc_u32_e32 v5, 20, v15
	s_delay_alu instid0(VALU_DEP_1) | instskip(NEXT) | instid1(VALU_DEP_1)
	v_lshlrev_b64 v[5:6], v5, -1
	v_not_b32_e32 v18, v5
	s_delay_alu instid0(VALU_DEP_2) | instskip(SKIP_1) | instid1(VALU_DEP_3)
	v_not_b32_e32 v17, v6
	v_lshlrev_b64 v[5:6], v16, 1
	v_and_b32_e32 v16, v3, v18
	v_lshrrev_b64 v[3:4], v15, v[3:4]
	s_delay_alu instid0(VALU_DEP_4) | instskip(NEXT) | instid1(VALU_DEP_1)
	v_and_b32_e32 v17, 0, v17
	v_cmp_eq_u64_e64 s2, v[16:17], v[5:6]
	s_delay_alu instid0(VALU_DEP_3) | instskip(NEXT) | instid1(VALU_DEP_2)
	v_dual_mov_b32 v6, v4 :: v_dual_mov_b32 v5, v3
	s_and_saveexec_b32 s12, s2
; %bb.85:
	v_bfe_u32 v5, v3, 20, 1
	s_delay_alu instid0(VALU_DEP_1) | instskip(NEXT) | instid1(VALU_DEP_1)
	v_add_co_u32 v5, s2, v3, v5
	v_add_co_u32 v5, s2, v5, -1
; %bb.86:
	s_or_b32 exec_lo, exec_lo, s12
	v_add_nc_u32_e32 v6, 0xffffff81, v14
	v_lshrrev_b32_e32 v14, 23, v3
	s_delay_alu instid0(VALU_DEP_3) | instskip(SKIP_1) | instid1(VALU_DEP_3)
	v_and_b32_e32 v5, 0xfffff, v5
	s_mov_b32 s2, exec_lo
	v_cndmask_b32_e64 v6, v6, 0xffffff82, vcc_lo
	s_delay_alu instid0(VALU_DEP_2) | instskip(SKIP_1) | instid1(VALU_DEP_3)
	v_add_co_u32 v3, vcc_lo, v5, v3
	v_add_co_ci_u32_e32 v4, vcc_lo, 0, v4, vcc_lo
	v_add3_u32 v6, v15, v6, v14
                                        ; implicit-def: $vgpr5
	s_delay_alu instid0(VALU_DEP_1) | instskip(NEXT) | instid1(VALU_DEP_1)
	v_add_nc_u32_e32 v14, 6, v6
	v_cmpx_ne_u32_e32 0, v14
	s_xor_b32 s2, exec_lo, s2
; %bb.87:
	v_cmp_lt_u64_e32 vcc_lo, 0xffffff, v[3:4]
	v_add_nc_u32_e32 v5, 7, v6
	v_cndmask_b32_e64 v6, 0, 1, vcc_lo
	s_delay_alu instid0(VALU_DEP_2) | instskip(NEXT) | instid1(VALU_DEP_2)
	v_cndmask_b32_e32 v5, v14, v5, vcc_lo
	v_lshrrev_b64 v[3:4], v6, v[3:4]
; %bb.88:
	s_and_not1_saveexec_b32 s2, s2
; %bb.89:
	s_delay_alu instid0(VALU_DEP_1)
	v_bfe_u32 v5, v3, 23, 1
; %bb.90:
	s_or_b32 exec_lo, exec_lo, s2
	s_delay_alu instid0(VALU_DEP_2) | instskip(NEXT) | instid1(VALU_DEP_2)
	v_lshrrev_b64 v[3:4], 20, v[3:4]
	v_cmp_gt_i32_e32 vcc_lo, 16, v5
	v_cmp_ne_u32_e64 s2, 0, v5
                                        ; implicit-def: $vgpr14
	s_delay_alu instid0(VALU_DEP_3) | instskip(NEXT) | instid1(VALU_DEP_1)
	v_dual_cndmask_b32 v4, 0, v4 :: v_dual_cndmask_b32 v3, 7, v3
	v_cmp_ne_u64_e32 vcc_lo, 0, v[3:4]
	s_delay_alu instid0(VALU_DEP_3) | instskip(NEXT) | instid1(SALU_CYCLE_1)
	s_or_b32 s2, s2, vcc_lo
	s_and_saveexec_b32 s12, s2
	s_delay_alu instid0(SALU_CYCLE_1)
	s_xor_b32 s2, exec_lo, s12
; %bb.91:
	v_min_i32_e32 v4, 15, v5
	s_delay_alu instid0(VALU_DEP_1) | instskip(NEXT) | instid1(VALU_DEP_1)
	v_lshl_or_b32 v1, v4, 3, v1
	v_and_or_b32 v14, v3, 7, v1
                                        ; implicit-def: $vgpr1
; %bb.92:
	s_and_not1_saveexec_b32 s2, s2
; %bb.93:
	v_mov_b32_e32 v14, v1
; %bb.94:
	s_or_b32 exec_lo, exec_lo, s2
.LBB18_95:
	s_delay_alu instid0(SALU_CYCLE_1)
	s_or_b32 exec_lo, exec_lo, s11
.LBB18_96:
	s_and_not1_saveexec_b32 s2, s10
	s_delay_alu instid0(SALU_CYCLE_1)
	s_or_b32 exec_lo, exec_lo, s2
                                        ; implicit-def: $vgpr6
                                        ; implicit-def: $vgpr3_vgpr4
.LBB18_97:
	s_and_not1_saveexec_b32 s2, s6
; %bb.98:
	v_cmp_eq_u64_e32 vcc_lo, 0, v[3:4]
	v_or_b32_e32 v1, 0x7f, v6
	s_delay_alu instid0(VALU_DEP_1)
	v_cndmask_b32_e32 v14, v1, v14, vcc_lo
; %bb.99:
	s_or_b32 exec_lo, exec_lo, s2
	v_div_scale_f32 v1, null, v8, v8, v12
	s_mov_b32 s2, exec_lo
	s_delay_alu instid0(VALU_DEP_1) | instskip(SKIP_2) | instid1(VALU_DEP_1)
	v_rcp_f32_e32 v3, v1
	s_waitcnt_depctr 0xfff
	v_fma_f32 v4, -v1, v3, 1.0
	v_fmac_f32_e32 v3, v4, v3
	v_div_scale_f32 v4, vcc_lo, v12, v8, v12
	s_delay_alu instid0(VALU_DEP_1) | instskip(NEXT) | instid1(VALU_DEP_1)
	v_mul_f32_e32 v5, v4, v3
	v_fma_f32 v6, -v1, v5, v4
	s_delay_alu instid0(VALU_DEP_1) | instskip(NEXT) | instid1(VALU_DEP_1)
	v_fmac_f32_e32 v5, v6, v3
	v_fma_f32 v1, -v1, v5, v4
	v_mov_b32_e32 v4, 0
	s_delay_alu instid0(VALU_DEP_1) | instskip(NEXT) | instid1(VALU_DEP_3)
	v_mov_b32_e32 v16, v4
	v_div_fmas_f32 v1, v1, v3, v5
	s_delay_alu instid0(VALU_DEP_1) | instskip(NEXT) | instid1(VALU_DEP_1)
	v_div_fixup_f32 v5, v1, v8, v12
	v_lshrrev_b32_e32 v6, 24, v5
	v_and_b32_e32 v15, 0x7f800000, v5
	v_and_b32_e32 v3, 0x7fffff, v5
	s_delay_alu instid0(VALU_DEP_3) | instskip(NEXT) | instid1(VALU_DEP_1)
	v_and_b32_e32 v1, 0x80, v6
	v_or_b32_e32 v12, 0x7e, v1
	s_delay_alu instid0(VALU_DEP_4)
	v_cmpx_ne_u64_e32 0x7f800000, v[15:16]
	s_xor_b32 s6, exec_lo, s2
	s_cbranch_execz .LBB18_115
; %bb.100:
	v_dual_mov_b32 v16, v4 :: v_dual_and_b32 v15, 0x7fffffff, v5
	s_mov_b32 s2, exec_lo
	s_delay_alu instid0(VALU_DEP_1)
	v_cmpx_gt_u64_e32 0x43e00001, v[15:16]
	s_xor_b32 s10, exec_lo, s2
	s_cbranch_execz .LBB18_114
; %bb.101:
	v_mov_b32_e32 v12, 0
	s_mov_b32 s11, exec_lo
	v_cmpx_ne_u32_e32 0, v5
	s_cbranch_execz .LBB18_113
; %bb.102:
	v_bfe_u32 v12, v5, 23, 8
	v_or_b32_e32 v16, 0x800000, v3
	s_delay_alu instid0(VALU_DEP_2) | instskip(SKIP_1) | instid1(VALU_DEP_2)
	v_sub_nc_u32_e32 v5, 0x79, v12
	v_cmp_gt_u32_e32 vcc_lo, 0x7a, v12
	v_cndmask_b32_e32 v5, 0, v5, vcc_lo
	v_cmp_eq_u32_e32 vcc_lo, 0, v12
	s_delay_alu instid0(VALU_DEP_2) | instskip(SKIP_1) | instid1(VALU_DEP_2)
	v_cndmask_b32_e64 v15, v5, 0x78, vcc_lo
	v_cndmask_b32_e32 v3, v16, v3, vcc_lo
	v_add_nc_u32_e32 v16, 19, v15
	v_add_nc_u32_e32 v5, 20, v15
	s_delay_alu instid0(VALU_DEP_1) | instskip(NEXT) | instid1(VALU_DEP_1)
	v_lshlrev_b64 v[5:6], v5, -1
	v_not_b32_e32 v18, v5
	s_delay_alu instid0(VALU_DEP_2) | instskip(SKIP_1) | instid1(VALU_DEP_3)
	v_not_b32_e32 v17, v6
	v_lshlrev_b64 v[5:6], v16, 1
	v_and_b32_e32 v16, v3, v18
	v_lshrrev_b64 v[3:4], v15, v[3:4]
	s_delay_alu instid0(VALU_DEP_4) | instskip(NEXT) | instid1(VALU_DEP_1)
	v_and_b32_e32 v17, 0, v17
	v_cmp_eq_u64_e64 s2, v[16:17], v[5:6]
	s_delay_alu instid0(VALU_DEP_3) | instskip(NEXT) | instid1(VALU_DEP_2)
	v_dual_mov_b32 v6, v4 :: v_dual_mov_b32 v5, v3
	s_and_saveexec_b32 s12, s2
; %bb.103:
	v_bfe_u32 v5, v3, 20, 1
	s_delay_alu instid0(VALU_DEP_1) | instskip(NEXT) | instid1(VALU_DEP_1)
	v_add_co_u32 v5, s2, v3, v5
	v_add_co_u32 v5, s2, v5, -1
; %bb.104:
	s_or_b32 exec_lo, exec_lo, s12
	v_add_nc_u32_e32 v6, 0xffffff81, v12
	v_lshrrev_b32_e32 v12, 23, v3
	s_delay_alu instid0(VALU_DEP_3) | instskip(SKIP_1) | instid1(VALU_DEP_3)
	v_and_b32_e32 v5, 0xfffff, v5
	s_mov_b32 s2, exec_lo
	v_cndmask_b32_e64 v6, v6, 0xffffff82, vcc_lo
	s_delay_alu instid0(VALU_DEP_2) | instskip(SKIP_1) | instid1(VALU_DEP_3)
	v_add_co_u32 v3, vcc_lo, v5, v3
	v_add_co_ci_u32_e32 v4, vcc_lo, 0, v4, vcc_lo
	v_add3_u32 v6, v15, v6, v12
                                        ; implicit-def: $vgpr5
	s_delay_alu instid0(VALU_DEP_1) | instskip(NEXT) | instid1(VALU_DEP_1)
	v_add_nc_u32_e32 v12, 6, v6
	v_cmpx_ne_u32_e32 0, v12
	s_xor_b32 s2, exec_lo, s2
; %bb.105:
	v_cmp_lt_u64_e32 vcc_lo, 0xffffff, v[3:4]
	v_add_nc_u32_e32 v5, 7, v6
	v_cndmask_b32_e64 v6, 0, 1, vcc_lo
	s_delay_alu instid0(VALU_DEP_2) | instskip(NEXT) | instid1(VALU_DEP_2)
	v_cndmask_b32_e32 v5, v12, v5, vcc_lo
	v_lshrrev_b64 v[3:4], v6, v[3:4]
; %bb.106:
	s_and_not1_saveexec_b32 s2, s2
; %bb.107:
	s_delay_alu instid0(VALU_DEP_1)
	v_bfe_u32 v5, v3, 23, 1
; %bb.108:
	s_or_b32 exec_lo, exec_lo, s2
	s_delay_alu instid0(VALU_DEP_2) | instskip(NEXT) | instid1(VALU_DEP_2)
	v_lshrrev_b64 v[3:4], 20, v[3:4]
	v_cmp_gt_i32_e32 vcc_lo, 16, v5
	v_cmp_ne_u32_e64 s2, 0, v5
                                        ; implicit-def: $vgpr12
	s_delay_alu instid0(VALU_DEP_3) | instskip(NEXT) | instid1(VALU_DEP_1)
	v_dual_cndmask_b32 v4, 0, v4 :: v_dual_cndmask_b32 v3, 7, v3
	v_cmp_ne_u64_e32 vcc_lo, 0, v[3:4]
	s_delay_alu instid0(VALU_DEP_3) | instskip(NEXT) | instid1(SALU_CYCLE_1)
	s_or_b32 s2, s2, vcc_lo
	s_and_saveexec_b32 s12, s2
	s_delay_alu instid0(SALU_CYCLE_1)
	s_xor_b32 s2, exec_lo, s12
; %bb.109:
	v_min_i32_e32 v4, 15, v5
	s_delay_alu instid0(VALU_DEP_1) | instskip(NEXT) | instid1(VALU_DEP_1)
	v_lshl_or_b32 v1, v4, 3, v1
	v_and_or_b32 v12, v3, 7, v1
                                        ; implicit-def: $vgpr1
; %bb.110:
	s_and_not1_saveexec_b32 s2, s2
; %bb.111:
	v_mov_b32_e32 v12, v1
; %bb.112:
	s_or_b32 exec_lo, exec_lo, s2
.LBB18_113:
	s_delay_alu instid0(SALU_CYCLE_1)
	s_or_b32 exec_lo, exec_lo, s11
.LBB18_114:
	s_and_not1_saveexec_b32 s2, s10
	s_delay_alu instid0(SALU_CYCLE_1)
	s_or_b32 exec_lo, exec_lo, s2
                                        ; implicit-def: $vgpr6
                                        ; implicit-def: $vgpr3_vgpr4
.LBB18_115:
	s_and_not1_saveexec_b32 s2, s6
; %bb.116:
	v_cmp_eq_u64_e32 vcc_lo, 0, v[3:4]
	v_or_b32_e32 v1, 0x7f, v6
	s_delay_alu instid0(VALU_DEP_1)
	v_cndmask_b32_e32 v12, v1, v12, vcc_lo
; %bb.117:
	s_or_b32 exec_lo, exec_lo, s2
	v_div_scale_f32 v1, null, v8, v8, v10
	s_mov_b32 s2, exec_lo
	s_delay_alu instid0(VALU_DEP_1) | instskip(SKIP_2) | instid1(VALU_DEP_1)
	v_rcp_f32_e32 v3, v1
	s_waitcnt_depctr 0xfff
	v_fma_f32 v4, -v1, v3, 1.0
	v_fmac_f32_e32 v3, v4, v3
	v_div_scale_f32 v4, vcc_lo, v10, v8, v10
	s_delay_alu instid0(VALU_DEP_1) | instskip(NEXT) | instid1(VALU_DEP_1)
	v_mul_f32_e32 v5, v4, v3
	v_fma_f32 v6, -v1, v5, v4
	s_delay_alu instid0(VALU_DEP_1) | instskip(NEXT) | instid1(VALU_DEP_1)
	v_fmac_f32_e32 v5, v6, v3
	v_fma_f32 v1, -v1, v5, v4
	v_mov_b32_e32 v4, 0
	s_delay_alu instid0(VALU_DEP_1) | instskip(NEXT) | instid1(VALU_DEP_3)
	v_mov_b32_e32 v16, v4
	v_div_fmas_f32 v1, v1, v3, v5
	s_delay_alu instid0(VALU_DEP_1) | instskip(NEXT) | instid1(VALU_DEP_1)
	v_div_fixup_f32 v6, v1, v8, v10
	v_lshrrev_b32_e32 v10, 24, v6
	v_and_b32_e32 v15, 0x7f800000, v6
	v_and_b32_e32 v3, 0x7fffff, v6
	s_delay_alu instid0(VALU_DEP_3) | instskip(NEXT) | instid1(VALU_DEP_1)
	v_and_b32_e32 v1, 0x80, v10
	v_or_b32_e32 v5, 0x7e, v1
	s_delay_alu instid0(VALU_DEP_4)
	v_cmpx_ne_u64_e32 0x7f800000, v[15:16]
	s_xor_b32 s6, exec_lo, s2
	s_cbranch_execz .LBB18_133
; %bb.118:
	v_dual_mov_b32 v16, v4 :: v_dual_and_b32 v15, 0x7fffffff, v6
	s_mov_b32 s2, exec_lo
	s_delay_alu instid0(VALU_DEP_1)
	v_cmpx_gt_u64_e32 0x43e00001, v[15:16]
	s_xor_b32 s10, exec_lo, s2
	s_cbranch_execz .LBB18_132
; %bb.119:
	v_mov_b32_e32 v5, 0
	s_mov_b32 s11, exec_lo
	v_cmpx_ne_u32_e32 0, v6
	s_cbranch_execz .LBB18_131
; %bb.120:
	v_bfe_u32 v10, v6, 23, 8
	v_or_b32_e32 v16, 0x800000, v3
	s_delay_alu instid0(VALU_DEP_2) | instskip(SKIP_1) | instid1(VALU_DEP_2)
	v_sub_nc_u32_e32 v5, 0x79, v10
	v_cmp_gt_u32_e32 vcc_lo, 0x7a, v10
	v_cndmask_b32_e32 v5, 0, v5, vcc_lo
	v_cmp_eq_u32_e32 vcc_lo, 0, v10
	s_delay_alu instid0(VALU_DEP_2) | instskip(SKIP_1) | instid1(VALU_DEP_2)
	v_cndmask_b32_e64 v15, v5, 0x78, vcc_lo
	v_cndmask_b32_e32 v3, v16, v3, vcc_lo
	v_add_nc_u32_e32 v16, 19, v15
	v_add_nc_u32_e32 v5, 20, v15
	s_delay_alu instid0(VALU_DEP_1) | instskip(NEXT) | instid1(VALU_DEP_1)
	v_lshlrev_b64 v[5:6], v5, -1
	v_not_b32_e32 v18, v5
	s_delay_alu instid0(VALU_DEP_2) | instskip(SKIP_1) | instid1(VALU_DEP_3)
	v_not_b32_e32 v17, v6
	v_lshlrev_b64 v[5:6], v16, 1
	v_and_b32_e32 v16, v3, v18
	v_lshrrev_b64 v[3:4], v15, v[3:4]
	s_delay_alu instid0(VALU_DEP_4) | instskip(NEXT) | instid1(VALU_DEP_1)
	v_and_b32_e32 v17, 0, v17
	v_cmp_eq_u64_e64 s2, v[16:17], v[5:6]
	s_delay_alu instid0(VALU_DEP_3) | instskip(NEXT) | instid1(VALU_DEP_2)
	v_dual_mov_b32 v6, v4 :: v_dual_mov_b32 v5, v3
	s_and_saveexec_b32 s12, s2
; %bb.121:
	v_bfe_u32 v5, v3, 20, 1
	s_delay_alu instid0(VALU_DEP_1) | instskip(NEXT) | instid1(VALU_DEP_1)
	v_add_co_u32 v5, s2, v3, v5
	v_add_co_u32 v5, s2, v5, -1
; %bb.122:
	s_or_b32 exec_lo, exec_lo, s12
	v_add_nc_u32_e32 v6, 0xffffff81, v10
	v_lshrrev_b32_e32 v10, 23, v3
	s_mov_b32 s2, exec_lo
	s_delay_alu instid0(VALU_DEP_2) | instskip(NEXT) | instid1(VALU_DEP_1)
	v_cndmask_b32_e64 v6, v6, 0xffffff82, vcc_lo
	v_add3_u32 v10, v15, v6, v10
	v_and_b32_e32 v6, 0xfffff, v5
	s_delay_alu instid0(VALU_DEP_2) | instskip(NEXT) | instid1(VALU_DEP_2)
	v_add_nc_u32_e32 v5, 6, v10
	v_add_co_u32 v3, vcc_lo, v6, v3
	v_add_co_ci_u32_e32 v4, vcc_lo, 0, v4, vcc_lo
                                        ; implicit-def: $vgpr6
	s_delay_alu instid0(VALU_DEP_3)
	v_cmpx_ne_u32_e32 0, v5
	s_xor_b32 s2, exec_lo, s2
; %bb.123:
	s_delay_alu instid0(VALU_DEP_2) | instskip(SKIP_1) | instid1(VALU_DEP_1)
	v_cmp_lt_u64_e32 vcc_lo, 0xffffff, v[3:4]
	v_add_nc_u32_e32 v6, 7, v10
	v_cndmask_b32_e32 v6, v5, v6, vcc_lo
	v_cndmask_b32_e64 v5, 0, 1, vcc_lo
	s_delay_alu instid0(VALU_DEP_1)
	v_lshrrev_b64 v[3:4], v5, v[3:4]
; %bb.124:
	s_and_not1_saveexec_b32 s2, s2
; %bb.125:
	s_delay_alu instid0(VALU_DEP_1)
	v_bfe_u32 v6, v3, 23, 1
; %bb.126:
	s_or_b32 exec_lo, exec_lo, s2
	s_delay_alu instid0(VALU_DEP_2) | instskip(NEXT) | instid1(VALU_DEP_2)
	v_lshrrev_b64 v[3:4], 20, v[3:4]
	v_cmp_gt_i32_e32 vcc_lo, 16, v6
	v_cmp_ne_u32_e64 s2, 0, v6
                                        ; implicit-def: $vgpr5
	s_delay_alu instid0(VALU_DEP_3) | instskip(NEXT) | instid1(VALU_DEP_1)
	v_dual_cndmask_b32 v4, 0, v4 :: v_dual_cndmask_b32 v3, 7, v3
	v_cmp_ne_u64_e32 vcc_lo, 0, v[3:4]
	s_delay_alu instid0(VALU_DEP_3) | instskip(NEXT) | instid1(SALU_CYCLE_1)
	s_or_b32 s2, s2, vcc_lo
	s_and_saveexec_b32 s12, s2
	s_delay_alu instid0(SALU_CYCLE_1)
	s_xor_b32 s2, exec_lo, s12
; %bb.127:
	v_min_i32_e32 v4, 15, v6
	s_delay_alu instid0(VALU_DEP_1) | instskip(NEXT) | instid1(VALU_DEP_1)
	v_lshl_or_b32 v1, v4, 3, v1
	v_and_or_b32 v5, v3, 7, v1
                                        ; implicit-def: $vgpr1
; %bb.128:
	s_and_not1_saveexec_b32 s2, s2
; %bb.129:
	v_mov_b32_e32 v5, v1
; %bb.130:
	s_or_b32 exec_lo, exec_lo, s2
.LBB18_131:
	s_delay_alu instid0(SALU_CYCLE_1)
	s_or_b32 exec_lo, exec_lo, s11
.LBB18_132:
	s_and_not1_saveexec_b32 s2, s10
	s_delay_alu instid0(SALU_CYCLE_1)
	s_or_b32 exec_lo, exec_lo, s2
                                        ; implicit-def: $vgpr10
                                        ; implicit-def: $vgpr3_vgpr4
.LBB18_133:
	s_and_not1_saveexec_b32 s2, s6
; %bb.134:
	v_cmp_eq_u64_e32 vcc_lo, 0, v[3:4]
	v_or_b32_e32 v1, 0x7f, v10
	s_delay_alu instid0(VALU_DEP_1)
	v_cndmask_b32_e32 v5, v1, v5, vcc_lo
; %bb.135:
	s_or_b32 exec_lo, exec_lo, s2
	v_div_scale_f32 v1, null, v8, v8, v7
	s_mov_b32 s2, exec_lo
	s_delay_alu instid0(VALU_DEP_1) | instskip(SKIP_2) | instid1(VALU_DEP_1)
	v_rcp_f32_e32 v3, v1
	s_waitcnt_depctr 0xfff
	v_fma_f32 v4, -v1, v3, 1.0
	v_fmac_f32_e32 v3, v4, v3
	v_div_scale_f32 v4, vcc_lo, v7, v8, v7
	s_delay_alu instid0(VALU_DEP_1) | instskip(NEXT) | instid1(VALU_DEP_1)
	v_mul_f32_e32 v6, v4, v3
	v_fma_f32 v10, -v1, v6, v4
	s_delay_alu instid0(VALU_DEP_1) | instskip(NEXT) | instid1(VALU_DEP_1)
	v_fmac_f32_e32 v6, v10, v3
	v_fma_f32 v1, -v1, v6, v4
	s_delay_alu instid0(VALU_DEP_1) | instskip(SKIP_1) | instid1(VALU_DEP_2)
	v_div_fmas_f32 v1, v1, v3, v6
	v_lshlrev_b32_e32 v6, 3, v0
	v_div_fixup_f32 v4, v1, v8, v7
	v_mov_b32_e32 v1, 0
	s_delay_alu instid0(VALU_DEP_2) | instskip(SKIP_1) | instid1(VALU_DEP_3)
	v_and_b32_e32 v15, 0x7f800000, v4
	v_lshrrev_b32_e32 v8, 24, v4
	v_mov_b32_e32 v16, v1
	v_and_b32_e32 v0, 0x7fffff, v4
	s_delay_alu instid0(VALU_DEP_3) | instskip(NEXT) | instid1(VALU_DEP_1)
	v_and_b32_e32 v7, 0x80, v8
	v_or_b32_e32 v3, 0x7e, v7
	s_delay_alu instid0(VALU_DEP_4)
	v_cmpx_ne_u64_e32 0x7f800000, v[15:16]
	s_xor_b32 s6, exec_lo, s2
	s_cbranch_execz .LBB18_151
; %bb.136:
	v_dual_mov_b32 v16, v1 :: v_dual_and_b32 v15, 0x7fffffff, v4
	s_mov_b32 s2, exec_lo
	s_delay_alu instid0(VALU_DEP_1)
	v_cmpx_gt_u64_e32 0x43e00001, v[15:16]
	s_xor_b32 s10, exec_lo, s2
	s_cbranch_execz .LBB18_150
; %bb.137:
	v_mov_b32_e32 v3, 0
	s_mov_b32 s11, exec_lo
	v_cmpx_ne_u32_e32 0, v4
	s_cbranch_execz .LBB18_149
; %bb.138:
	v_bfe_u32 v8, v4, 23, 8
	v_or_b32_e32 v15, 0x800000, v0
	s_delay_alu instid0(VALU_DEP_2) | instskip(SKIP_1) | instid1(VALU_DEP_2)
	v_sub_nc_u32_e32 v3, 0x79, v8
	v_cmp_gt_u32_e32 vcc_lo, 0x7a, v8
	v_cndmask_b32_e32 v3, 0, v3, vcc_lo
	v_cmp_eq_u32_e32 vcc_lo, 0, v8
	v_cndmask_b32_e32 v0, v15, v0, vcc_lo
	s_delay_alu instid0(VALU_DEP_3) | instskip(NEXT) | instid1(VALU_DEP_1)
	v_cndmask_b32_e64 v10, v3, 0x78, vcc_lo
	v_add_nc_u32_e32 v3, 20, v10
	v_add_nc_u32_e32 v15, 19, v10
	s_delay_alu instid0(VALU_DEP_2) | instskip(NEXT) | instid1(VALU_DEP_1)
	v_lshlrev_b64 v[3:4], v3, -1
	v_not_b32_e32 v17, v3
	s_delay_alu instid0(VALU_DEP_2) | instskip(NEXT) | instid1(VALU_DEP_4)
	v_not_b32_e32 v16, v4
	v_lshlrev_b64 v[3:4], v15, 1
	s_delay_alu instid0(VALU_DEP_3) | instskip(SKIP_1) | instid1(VALU_DEP_4)
	v_and_b32_e32 v15, v0, v17
	v_lshrrev_b64 v[0:1], v10, v[0:1]
	v_and_b32_e32 v16, 0, v16
	s_delay_alu instid0(VALU_DEP_1) | instskip(NEXT) | instid1(VALU_DEP_3)
	v_cmp_eq_u64_e64 s2, v[15:16], v[3:4]
	v_dual_mov_b32 v4, v1 :: v_dual_mov_b32 v3, v0
	s_delay_alu instid0(VALU_DEP_2)
	s_and_saveexec_b32 s12, s2
; %bb.139:
	v_bfe_u32 v3, v0, 20, 1
	s_delay_alu instid0(VALU_DEP_1) | instskip(NEXT) | instid1(VALU_DEP_1)
	v_add_co_u32 v3, s2, v0, v3
	v_add_co_u32 v3, s2, v3, -1
; %bb.140:
	s_or_b32 exec_lo, exec_lo, s12
	v_add_nc_u32_e32 v4, 0xffffff81, v8
	v_lshrrev_b32_e32 v8, 23, v0
	s_mov_b32 s2, exec_lo
	s_delay_alu instid0(VALU_DEP_2) | instskip(NEXT) | instid1(VALU_DEP_1)
	v_cndmask_b32_e64 v4, v4, 0xffffff82, vcc_lo
	v_add3_u32 v8, v10, v4, v8
	v_and_b32_e32 v4, 0xfffff, v3
	s_delay_alu instid0(VALU_DEP_2) | instskip(NEXT) | instid1(VALU_DEP_2)
	v_add_nc_u32_e32 v3, 6, v8
	v_add_co_u32 v0, vcc_lo, v4, v0
	v_add_co_ci_u32_e32 v1, vcc_lo, 0, v1, vcc_lo
                                        ; implicit-def: $vgpr4
	s_delay_alu instid0(VALU_DEP_3)
	v_cmpx_ne_u32_e32 0, v3
	s_xor_b32 s2, exec_lo, s2
; %bb.141:
	s_delay_alu instid0(VALU_DEP_2) | instskip(SKIP_1) | instid1(VALU_DEP_1)
	v_cmp_lt_u64_e32 vcc_lo, 0xffffff, v[0:1]
	v_add_nc_u32_e32 v4, 7, v8
	v_cndmask_b32_e32 v4, v3, v4, vcc_lo
	v_cndmask_b32_e64 v3, 0, 1, vcc_lo
	s_delay_alu instid0(VALU_DEP_1)
	v_lshrrev_b64 v[0:1], v3, v[0:1]
; %bb.142:
	s_and_not1_saveexec_b32 s2, s2
; %bb.143:
	s_delay_alu instid0(VALU_DEP_1)
	v_bfe_u32 v4, v0, 23, 1
; %bb.144:
	s_or_b32 exec_lo, exec_lo, s2
	s_delay_alu instid0(VALU_DEP_2) | instskip(NEXT) | instid1(VALU_DEP_2)
	v_lshrrev_b64 v[0:1], 20, v[0:1]
	v_cmp_gt_i32_e32 vcc_lo, 16, v4
	v_cmp_ne_u32_e64 s2, 0, v4
                                        ; implicit-def: $vgpr3
	s_delay_alu instid0(VALU_DEP_3) | instskip(NEXT) | instid1(VALU_DEP_1)
	v_dual_cndmask_b32 v1, 0, v1 :: v_dual_cndmask_b32 v0, 7, v0
	v_cmp_ne_u64_e32 vcc_lo, 0, v[0:1]
	s_delay_alu instid0(VALU_DEP_3) | instskip(NEXT) | instid1(SALU_CYCLE_1)
	s_or_b32 s2, s2, vcc_lo
	s_and_saveexec_b32 s12, s2
	s_delay_alu instid0(SALU_CYCLE_1)
	s_xor_b32 s2, exec_lo, s12
; %bb.145:
	v_min_i32_e32 v1, 15, v4
	s_delay_alu instid0(VALU_DEP_1) | instskip(NEXT) | instid1(VALU_DEP_1)
	v_lshl_or_b32 v1, v1, 3, v7
                                        ; implicit-def: $vgpr7
	v_and_or_b32 v3, v0, 7, v1
; %bb.146:
	s_and_not1_saveexec_b32 s2, s2
; %bb.147:
	v_mov_b32_e32 v3, v7
; %bb.148:
	s_or_b32 exec_lo, exec_lo, s2
.LBB18_149:
	s_delay_alu instid0(SALU_CYCLE_1)
	s_or_b32 exec_lo, exec_lo, s11
.LBB18_150:
	s_and_not1_saveexec_b32 s2, s10
	s_delay_alu instid0(SALU_CYCLE_1)
	s_or_b32 exec_lo, exec_lo, s2
                                        ; implicit-def: $vgpr8
                                        ; implicit-def: $vgpr0_vgpr1
.LBB18_151:
	s_and_not1_saveexec_b32 s2, s6
; %bb.152:
	v_cmp_eq_u64_e32 vcc_lo, 0, v[0:1]
	v_or_b32_e32 v4, 0x7f, v8
	s_delay_alu instid0(VALU_DEP_1)
	v_cndmask_b32_e32 v3, v4, v3, vcc_lo
; %bb.153:
	s_or_b32 exec_lo, exec_lo, s2
	v_lshlrev_b16 v0, 8, v12
	v_and_b32_e32 v1, 0xff, v14
	s_delay_alu instid0(VALU_DEP_3)
	v_lshlrev_b16 v3, 8, v3
	v_and_b32_e32 v4, 0xff, v5
	v_lshlrev_b16 v5, 8, v9
	v_and_b32_e32 v2, 0xff, v2
	;; [unrolled: 2-line block ×3, first 2 shown]
	v_or_b32_e32 v0, v1, v0
	v_or_b32_e32 v1, v4, v3
	;; [unrolled: 1-line block ×3, first 2 shown]
	s_delay_alu instid0(VALU_DEP_4) | instskip(NEXT) | instid1(VALU_DEP_4)
	v_or_b32_e32 v3, v8, v7
	v_and_b32_e32 v0, 0xffff, v0
	s_delay_alu instid0(VALU_DEP_4) | instskip(NEXT) | instid1(VALU_DEP_4)
	v_lshlrev_b32_e32 v1, 16, v1
	v_and_b32_e32 v2, 0xffff, v2
	s_delay_alu instid0(VALU_DEP_4) | instskip(NEXT) | instid1(VALU_DEP_3)
	v_lshlrev_b32_e32 v3, 16, v3
	v_or_b32_e32 v1, v0, v1
	s_delay_alu instid0(VALU_DEP_2) | instskip(SKIP_1) | instid1(VALU_DEP_1)
	v_or_b32_e32 v0, v2, v3
	v_add_co_u32 v2, s2, s3, v6
	v_add_co_ci_u32_e64 v3, null, s4, 0, s2
	global_store_b64 v[2:3], v[0:1], off
                                        ; implicit-def: $vgpr0
.LBB18_154:
	s_and_not1_saveexec_b32 s2, s5
	s_cbranch_execz .LBB18_156
; %bb.155:
	v_lshlrev_b16 v0, 1, v0
	s_load_b64 s[0:1], s[0:1], 0x8
	s_ashr_i32 s2, s7, 31
	s_mul_hi_u32 s5, s7, s8
	s_mul_i32 s2, s2, s8
	v_xor_b32_e32 v0, 0x80, v0
	s_mul_i32 s6, s7, s8
	s_add_i32 s7, s5, s2
	s_delay_alu instid0(SALU_CYCLE_1) | instskip(NEXT) | instid1(VALU_DEP_1)
	s_lshl_b64 s[6:7], s[6:7], 1
	v_bfe_i32 v0, v0, 0, 8
	s_delay_alu instid0(VALU_DEP_1) | instskip(NEXT) | instid1(VALU_DEP_1)
	v_ashrrev_i32_e32 v1, 31, v0
	v_lshlrev_b64 v[2:3], 1, v[0:1]
	s_waitcnt lgkmcnt(0)
	s_add_u32 s0, s0, s6
	s_addc_u32 s1, s1, s7
	s_delay_alu instid0(VALU_DEP_1) | instskip(NEXT) | instid1(VALU_DEP_2)
	v_add_co_u32 v2, vcc_lo, s0, v2
	v_add_co_ci_u32_e32 v3, vcc_lo, s1, v3, vcc_lo
	s_lshr_b32 s0, s9, 31
	s_delay_alu instid0(SALU_CYCLE_1) | instskip(SKIP_2) | instid1(SALU_CYCLE_1)
	s_add_i32 s9, s9, s0
	global_load_b32 v2, v[2:3], off
	s_ashr_i32 s0, s9, 1
	s_ashr_i32 s1, s0, 31
	v_add_co_u32 v0, vcc_lo, v0, s0
	v_add_co_ci_u32_e32 v1, vcc_lo, s1, v1, vcc_lo
	s_delay_alu instid0(VALU_DEP_1) | instskip(NEXT) | instid1(VALU_DEP_1)
	v_lshlrev_b64 v[0:1], 1, v[0:1]
	v_add_co_u32 v0, vcc_lo, s3, v0
	s_delay_alu instid0(VALU_DEP_2)
	v_add_co_ci_u32_e32 v1, vcc_lo, s4, v1, vcc_lo
	s_waitcnt vmcnt(0)
	global_store_b32 v[0:1], v2, off offset:16
.LBB18_156:
	s_nop 0
	s_sendmsg sendmsg(MSG_DEALLOC_VGPRS)
	s_endpgm
.LBB18_157:
                                        ; implicit-def: $sgpr14_sgpr15
	s_branch .LBB18_3
	.section	.rodata,"a",@progbits
	.p2align	6, 0x0
	.amdhsa_kernel _ZN4vllm30concat_and_cache_ds_mla_kernelI14__hip_bfloat16hLNS_18Fp8KVCacheDataTypeE1EEEvPKT_S5_PT0_PKliiiiiiiPKf
		.amdhsa_group_segment_fixed_size 0
		.amdhsa_private_segment_fixed_size 0
		.amdhsa_kernarg_size 72
		.amdhsa_user_sgpr_count 15
		.amdhsa_user_sgpr_dispatch_ptr 0
		.amdhsa_user_sgpr_queue_ptr 0
		.amdhsa_user_sgpr_kernarg_segment_ptr 1
		.amdhsa_user_sgpr_dispatch_id 0
		.amdhsa_user_sgpr_private_segment_size 0
		.amdhsa_wavefront_size32 1
		.amdhsa_uses_dynamic_stack 0
		.amdhsa_enable_private_segment 0
		.amdhsa_system_sgpr_workgroup_id_x 1
		.amdhsa_system_sgpr_workgroup_id_y 0
		.amdhsa_system_sgpr_workgroup_id_z 0
		.amdhsa_system_sgpr_workgroup_info 0
		.amdhsa_system_vgpr_workitem_id 0
		.amdhsa_next_free_vgpr 19
		.amdhsa_next_free_sgpr 25
		.amdhsa_reserve_vcc 1
		.amdhsa_float_round_mode_32 0
		.amdhsa_float_round_mode_16_64 0
		.amdhsa_float_denorm_mode_32 3
		.amdhsa_float_denorm_mode_16_64 3
		.amdhsa_dx10_clamp 1
		.amdhsa_ieee_mode 1
		.amdhsa_fp16_overflow 0
		.amdhsa_workgroup_processor_mode 1
		.amdhsa_memory_ordered 1
		.amdhsa_forward_progress 0
		.amdhsa_shared_vgpr_count 0
		.amdhsa_exception_fp_ieee_invalid_op 0
		.amdhsa_exception_fp_denorm_src 0
		.amdhsa_exception_fp_ieee_div_zero 0
		.amdhsa_exception_fp_ieee_overflow 0
		.amdhsa_exception_fp_ieee_underflow 0
		.amdhsa_exception_fp_ieee_inexact 0
		.amdhsa_exception_int_div_zero 0
	.end_amdhsa_kernel
	.section	.text._ZN4vllm30concat_and_cache_ds_mla_kernelI14__hip_bfloat16hLNS_18Fp8KVCacheDataTypeE1EEEvPKT_S5_PT0_PKliiiiiiiPKf,"axG",@progbits,_ZN4vllm30concat_and_cache_ds_mla_kernelI14__hip_bfloat16hLNS_18Fp8KVCacheDataTypeE1EEEvPKT_S5_PT0_PKliiiiiiiPKf,comdat
.Lfunc_end18:
	.size	_ZN4vllm30concat_and_cache_ds_mla_kernelI14__hip_bfloat16hLNS_18Fp8KVCacheDataTypeE1EEEvPKT_S5_PT0_PKliiiiiiiPKf, .Lfunc_end18-_ZN4vllm30concat_and_cache_ds_mla_kernelI14__hip_bfloat16hLNS_18Fp8KVCacheDataTypeE1EEEvPKT_S5_PT0_PKliiiiiiiPKf
                                        ; -- End function
	.section	.AMDGPU.csdata,"",@progbits
; Kernel info:
; codeLenInByte = 7392
; NumSgprs: 27
; NumVgprs: 19
; ScratchSize: 0
; MemoryBound: 0
; FloatMode: 240
; IeeeMode: 1
; LDSByteSize: 0 bytes/workgroup (compile time only)
; SGPRBlocks: 3
; VGPRBlocks: 2
; NumSGPRsForWavesPerEU: 27
; NumVGPRsForWavesPerEU: 19
; Occupancy: 16
; WaveLimiterHint : 0
; COMPUTE_PGM_RSRC2:SCRATCH_EN: 0
; COMPUTE_PGM_RSRC2:USER_SGPR: 15
; COMPUTE_PGM_RSRC2:TRAP_HANDLER: 0
; COMPUTE_PGM_RSRC2:TGID_X_EN: 1
; COMPUTE_PGM_RSRC2:TGID_Y_EN: 0
; COMPUTE_PGM_RSRC2:TGID_Z_EN: 0
; COMPUTE_PGM_RSRC2:TIDIG_COMP_CNT: 0
	.section	.text._ZN4vllm27concat_and_cache_mla_kernelIffLNS_18Fp8KVCacheDataTypeE0EEEvPKT_S4_PT0_PKliiiiiiiPKf,"axG",@progbits,_ZN4vllm27concat_and_cache_mla_kernelIffLNS_18Fp8KVCacheDataTypeE0EEEvPKT_S4_PT0_PKliiiiiiiPKf,comdat
	.protected	_ZN4vllm27concat_and_cache_mla_kernelIffLNS_18Fp8KVCacheDataTypeE0EEEvPKT_S4_PT0_PKliiiiiiiPKf ; -- Begin function _ZN4vllm27concat_and_cache_mla_kernelIffLNS_18Fp8KVCacheDataTypeE0EEEvPKT_S4_PT0_PKliiiiiiiPKf
	.globl	_ZN4vllm27concat_and_cache_mla_kernelIffLNS_18Fp8KVCacheDataTypeE0EEEvPKT_S4_PT0_PKliiiiiiiPKf
	.p2align	8
	.type	_ZN4vllm27concat_and_cache_mla_kernelIffLNS_18Fp8KVCacheDataTypeE0EEEvPKT_S4_PT0_PKliiiiiiiPKf,@function
_ZN4vllm27concat_and_cache_mla_kernelIffLNS_18Fp8KVCacheDataTypeE0EEEvPKT_S4_PT0_PKliiiiiiiPKf: ; @_ZN4vllm27concat_and_cache_mla_kernelIffLNS_18Fp8KVCacheDataTypeE0EEEvPKT_S4_PT0_PKliiiiiiiPKf
; %bb.0:
	s_load_b64 s[2:3], s[0:1], 0x18
	s_mov_b32 s12, s15
	s_mov_b32 s13, 0
	s_delay_alu instid0(SALU_CYCLE_1)
	s_lshl_b64 s[4:5], s[12:13], 3
	s_waitcnt lgkmcnt(0)
	s_add_u32 s2, s2, s4
	s_addc_u32 s3, s3, s5
	s_load_b64 s[2:3], s[2:3], 0x0
	s_waitcnt lgkmcnt(0)
	v_cmp_lt_i64_e64 s4, s[2:3], 0
	s_delay_alu instid0(VALU_DEP_1)
	s_and_b32 vcc_lo, exec_lo, s4
	s_cbranch_vccnz .LBB19_10
; %bb.1:
	s_load_b256 s[4:11], s[0:1], 0x20
	s_waitcnt lgkmcnt(0)
	s_ashr_i32 s11, s10, 31
	s_delay_alu instid0(SALU_CYCLE_1) | instskip(SKIP_1) | instid1(SALU_CYCLE_1)
	s_or_b64 s[14:15], s[2:3], s[10:11]
	s_mov_b32 s14, s13
	s_cmp_lg_u64 s[14:15], 0
	s_cbranch_scc0 .LBB19_11
; %bb.2:
	s_add_u32 s16, s10, s11
	s_mov_b32 s14, s11
	s_mov_b32 s15, s11
	s_addc_u32 s17, s11, s11
	s_delay_alu instid0(SALU_CYCLE_1) | instskip(NEXT) | instid1(SALU_CYCLE_1)
	s_xor_b64 s[16:17], s[16:17], s[14:15]
	v_cvt_f32_u32_e32 v1, s16
	v_cvt_f32_u32_e32 v2, s17
	s_sub_u32 s19, 0, s16
	s_subb_u32 s20, 0, s17
	s_delay_alu instid0(VALU_DEP_1) | instskip(NEXT) | instid1(VALU_DEP_1)
	v_fmamk_f32 v1, v2, 0x4f800000, v1
	v_rcp_f32_e32 v1, v1
	s_waitcnt_depctr 0xfff
	v_mul_f32_e32 v1, 0x5f7ffffc, v1
	s_delay_alu instid0(VALU_DEP_1) | instskip(NEXT) | instid1(VALU_DEP_1)
	v_mul_f32_e32 v2, 0x2f800000, v1
	v_trunc_f32_e32 v2, v2
	s_delay_alu instid0(VALU_DEP_1) | instskip(SKIP_1) | instid1(VALU_DEP_2)
	v_fmamk_f32 v1, v2, 0xcf800000, v1
	v_cvt_u32_f32_e32 v2, v2
	v_cvt_u32_f32_e32 v1, v1
	s_delay_alu instid0(VALU_DEP_2) | instskip(NEXT) | instid1(VALU_DEP_2)
	v_readfirstlane_b32 s13, v2
	v_readfirstlane_b32 s18, v1
	s_delay_alu instid0(VALU_DEP_2) | instskip(NEXT) | instid1(VALU_DEP_1)
	s_mul_i32 s21, s19, s13
	s_mul_hi_u32 s23, s19, s18
	s_mul_i32 s22, s20, s18
	s_add_i32 s21, s23, s21
	s_mul_i32 s24, s19, s18
	s_add_i32 s21, s21, s22
	s_mul_hi_u32 s23, s18, s24
	s_mul_hi_u32 s25, s13, s24
	s_mul_i32 s22, s13, s24
	s_mul_hi_u32 s24, s18, s21
	s_mul_i32 s18, s18, s21
	s_mul_hi_u32 s26, s13, s21
	s_add_u32 s18, s23, s18
	s_addc_u32 s23, 0, s24
	s_add_u32 s18, s18, s22
	s_mul_i32 s21, s13, s21
	s_addc_u32 s18, s23, s25
	s_addc_u32 s22, s26, 0
	s_add_u32 s18, s18, s21
	s_addc_u32 s21, 0, s22
	v_add_co_u32 v1, s18, v1, s18
	s_delay_alu instid0(VALU_DEP_1) | instskip(SKIP_1) | instid1(VALU_DEP_1)
	s_cmp_lg_u32 s18, 0
	s_addc_u32 s13, s13, s21
	v_readfirstlane_b32 s18, v1
	s_mul_i32 s21, s19, s13
	s_delay_alu instid0(VALU_DEP_1)
	s_mul_hi_u32 s22, s19, s18
	s_mul_i32 s20, s20, s18
	s_add_i32 s21, s22, s21
	s_mul_i32 s19, s19, s18
	s_add_i32 s21, s21, s20
	s_mul_hi_u32 s22, s13, s19
	s_mul_i32 s23, s13, s19
	s_mul_hi_u32 s19, s18, s19
	s_mul_hi_u32 s24, s18, s21
	s_mul_i32 s18, s18, s21
	s_mul_hi_u32 s20, s13, s21
	s_add_u32 s18, s19, s18
	s_addc_u32 s19, 0, s24
	s_add_u32 s18, s18, s23
	s_mul_i32 s21, s13, s21
	s_addc_u32 s18, s19, s22
	s_addc_u32 s19, s20, 0
	s_add_u32 s18, s18, s21
	s_addc_u32 s19, 0, s19
	v_add_co_u32 v1, s18, v1, s18
	s_delay_alu instid0(VALU_DEP_1) | instskip(SKIP_2) | instid1(VALU_DEP_1)
	s_cmp_lg_u32 s18, 0
	s_addc_u32 s13, s13, s19
	s_ashr_i32 s18, s3, 31
	v_readfirstlane_b32 s22, v1
	s_add_u32 s20, s2, s18
	s_mov_b32 s19, s18
	s_addc_u32 s21, s3, s18
	s_delay_alu instid0(SALU_CYCLE_1) | instskip(NEXT) | instid1(SALU_CYCLE_1)
	s_xor_b64 s[20:21], s[20:21], s[18:19]
	s_mul_i32 s24, s20, s13
	s_mul_hi_u32 s25, s20, s22
	s_mul_hi_u32 s23, s20, s13
	;; [unrolled: 1-line block ×3, first 2 shown]
	s_mul_i32 s22, s21, s22
	s_add_u32 s24, s25, s24
	s_addc_u32 s23, 0, s23
	s_mul_hi_u32 s26, s21, s13
	s_add_u32 s22, s24, s22
	s_mul_i32 s13, s21, s13
	s_addc_u32 s22, s23, s27
	s_addc_u32 s23, s26, 0
	s_add_u32 s13, s22, s13
	s_addc_u32 s22, 0, s23
	s_mul_i32 s26, s16, s13
	s_mul_hi_u32 s23, s16, s13
	s_mul_i32 s25, s16, s22
	v_sub_co_u32 v1, s20, s20, s26
	s_mul_i32 s24, s17, s13
	s_add_i32 s23, s23, s25
	s_delay_alu instid0(SALU_CYCLE_1) | instskip(NEXT) | instid1(VALU_DEP_1)
	s_add_i32 s23, s23, s24
	v_sub_co_u32 v2, s25, v1, s16
	s_sub_i32 s24, s21, s23
	s_cmp_lg_u32 s20, 0
	s_subb_u32 s24, s24, s17
	s_cmp_lg_u32 s25, 0
	v_readfirstlane_b32 s25, v2
	s_subb_u32 s24, s24, 0
	s_delay_alu instid0(SALU_CYCLE_1) | instskip(SKIP_1) | instid1(VALU_DEP_1)
	s_cmp_ge_u32 s24, s17
	s_cselect_b32 s26, -1, 0
	s_cmp_ge_u32 s25, s16
	s_cselect_b32 s25, -1, 0
	s_cmp_eq_u32 s24, s17
	s_cselect_b32 s24, s25, s26
	s_add_u32 s25, s13, 1
	s_addc_u32 s26, s22, 0
	s_add_u32 s27, s13, 2
	s_addc_u32 s28, s22, 0
	s_cmp_lg_u32 s24, 0
	s_cselect_b32 s24, s27, s25
	s_cselect_b32 s25, s28, s26
	s_cmp_lg_u32 s20, 0
	v_readfirstlane_b32 s20, v1
	s_subb_u32 s21, s21, s23
	s_delay_alu instid0(SALU_CYCLE_1) | instskip(SKIP_1) | instid1(VALU_DEP_1)
	s_cmp_ge_u32 s21, s17
	s_cselect_b32 s23, -1, 0
	s_cmp_ge_u32 s20, s16
	s_cselect_b32 s16, -1, 0
	s_cmp_eq_u32 s21, s17
	s_cselect_b32 s16, s16, s23
	s_delay_alu instid0(SALU_CYCLE_1) | instskip(SKIP_3) | instid1(SALU_CYCLE_1)
	s_cmp_lg_u32 s16, 0
	s_cselect_b32 s17, s25, s22
	s_cselect_b32 s16, s24, s13
	s_xor_b64 s[14:15], s[18:19], s[14:15]
	s_xor_b64 s[16:17], s[16:17], s[14:15]
	s_delay_alu instid0(SALU_CYCLE_1)
	s_sub_u32 s18, s16, s14
	s_subb_u32 s19, s17, s15
	s_load_b64 s[14:15], s[0:1], 0x10
	s_cbranch_execnz .LBB19_4
.LBB19_3:
	v_cvt_f32_u32_e32 v1, s10
	s_sub_i32 s16, 0, s10
	s_mov_b32 s19, 0
	s_delay_alu instid0(VALU_DEP_1) | instskip(SKIP_2) | instid1(VALU_DEP_1)
	v_rcp_iflag_f32_e32 v1, v1
	s_waitcnt_depctr 0xfff
	v_mul_f32_e32 v1, 0x4f7ffffe, v1
	v_cvt_u32_f32_e32 v1, v1
	s_delay_alu instid0(VALU_DEP_1) | instskip(NEXT) | instid1(VALU_DEP_1)
	v_readfirstlane_b32 s13, v1
	s_mul_i32 s16, s16, s13
	s_delay_alu instid0(SALU_CYCLE_1) | instskip(NEXT) | instid1(SALU_CYCLE_1)
	s_mul_hi_u32 s16, s13, s16
	s_add_i32 s13, s13, s16
	s_delay_alu instid0(SALU_CYCLE_1) | instskip(NEXT) | instid1(SALU_CYCLE_1)
	s_mul_hi_u32 s13, s2, s13
	s_mul_i32 s16, s13, s10
	s_add_i32 s17, s13, 1
	s_sub_i32 s16, s2, s16
	s_delay_alu instid0(SALU_CYCLE_1)
	s_sub_i32 s18, s16, s10
	s_cmp_ge_u32 s16, s10
	s_cselect_b32 s13, s17, s13
	s_cselect_b32 s16, s18, s16
	s_add_i32 s17, s13, 1
	s_cmp_ge_u32 s16, s10
	s_cselect_b32 s18, s17, s13
.LBB19_4:
	s_load_b64 s[16:17], s[0:1], 0x8
	s_mul_i32 s11, s18, s11
	s_mul_hi_u32 s13, s18, s10
	s_mul_hi_u32 s23, s18, s4
	s_add_i32 s11, s13, s11
	s_mul_i32 s13, s19, s10
	s_mul_i32 s10, s18, s10
	s_add_i32 s11, s11, s13
	s_sub_u32 s22, s2, s10
	s_subb_u32 s13, s3, s11
	s_mul_i32 s3, s19, s4
	s_mul_i32 s10, s18, s4
	s_mul_hi_u32 s19, s22, s5
	s_mul_i32 s13, s13, s5
	s_mul_i32 s20, s22, s5
	s_mov_b32 s24, exec_lo
	v_cmpx_gt_i32_e64 s8, v0
	s_cbranch_execz .LBB19_7
; %bb.5:
	s_clause 0x1
	s_load_b64 s[26:27], s[0:1], 0x0
	s_load_b32 s30, s[0:1], 0x54
	s_ashr_i32 s2, s6, 31
	s_mul_hi_u32 s11, s6, s12
	s_mul_i32 s28, s6, s12
	s_ashr_i32 s6, s4, 31
	s_ashr_i32 s21, s5, 31
	s_mul_i32 s2, s2, s12
	s_mul_i32 s6, s18, s6
	;; [unrolled: 1-line block ×3, first 2 shown]
	s_add_i32 s29, s11, s2
	s_add_i32 s2, s23, s6
	;; [unrolled: 1-line block ×3, first 2 shown]
	s_lshl_b64 s[28:29], s[28:29], 2
	s_add_i32 s11, s2, s3
	s_add_i32 s21, s6, s13
	v_mov_b32_e32 v1, v0
	s_waitcnt lgkmcnt(0)
	s_add_u32 s6, s26, s28
	s_addc_u32 s25, s27, s29
	s_lshl_b64 s[26:27], s[10:11], 2
	s_delay_alu instid0(SALU_CYCLE_1) | instskip(SKIP_2) | instid1(SALU_CYCLE_1)
	s_add_u32 s2, s14, s26
	s_addc_u32 s28, s15, s27
	s_lshl_b64 s[26:27], s[20:21], 2
	s_add_u32 s11, s2, s26
	s_addc_u32 s21, s28, s27
	s_and_b32 s26, s30, 0xffff
	s_mov_b32 s27, 0
	.p2align	6
.LBB19_6:                               ; =>This Inner Loop Header: Depth=1
	v_ashrrev_i32_e32 v2, 31, v1
	s_delay_alu instid0(VALU_DEP_1) | instskip(SKIP_1) | instid1(VALU_DEP_2)
	v_lshlrev_b64 v[2:3], 2, v[1:2]
	v_add_nc_u32_e32 v1, s26, v1
	v_add_co_u32 v4, vcc_lo, s6, v2
	s_delay_alu instid0(VALU_DEP_3) | instskip(NEXT) | instid1(VALU_DEP_3)
	v_add_co_ci_u32_e32 v5, vcc_lo, s25, v3, vcc_lo
	v_cmp_le_i32_e32 vcc_lo, s8, v1
	v_add_co_u32 v2, s2, s11, v2
	global_load_b32 v4, v[4:5], off
	v_add_co_ci_u32_e64 v3, s2, s21, v3, s2
	s_or_b32 s27, vcc_lo, s27
	s_waitcnt vmcnt(0)
	global_store_b32 v[2:3], v4, off
	s_and_not1_b32 exec_lo, exec_lo, s27
	s_cbranch_execnz .LBB19_6
.LBB19_7:
	s_or_b32 exec_lo, exec_lo, s24
	s_delay_alu instid0(SALU_CYCLE_1)
	s_mov_b32 s2, exec_lo
	v_cmpx_gt_i32_e64 s9, v0
	s_cbranch_execz .LBB19_10
; %bb.8:
	s_ashr_i32 s2, s7, 31
	s_load_b32 s0, s[0:1], 0x54
	s_mul_hi_u32 s6, s7, s12
	s_mul_i32 s2, s2, s12
	s_ashr_i32 s4, s4, 31
	s_add_i32 s25, s6, s2
	s_mul_i32 s2, s18, s4
	s_ashr_i32 s4, s5, 31
	s_mul_i32 s24, s7, s12
	s_mul_i32 s22, s22, s4
	s_add_i32 s2, s23, s2
	s_add_i32 s1, s19, s22
	s_add_i32 s11, s2, s3
	s_lshl_b64 s[2:3], s[24:25], 2
	s_add_i32 s21, s1, s13
	s_ashr_i32 s5, s8, 31
	s_waitcnt lgkmcnt(0)
	s_add_u32 s1, s16, s2
	s_addc_u32 s2, s17, s3
	s_lshl_b64 s[6:7], s[10:11], 2
	s_mov_b32 s4, s8
	s_add_u32 s3, s14, s6
	s_addc_u32 s10, s15, s7
	s_lshl_b64 s[6:7], s[20:21], 2
	s_delay_alu instid0(SALU_CYCLE_1) | instskip(SKIP_2) | instid1(SALU_CYCLE_1)
	s_add_u32 s3, s3, s6
	s_addc_u32 s6, s10, s7
	s_lshl_b64 s[4:5], s[4:5], 2
	s_add_u32 s3, s3, s4
	s_addc_u32 s4, s6, s5
	s_and_b32 s5, s0, 0xffff
	s_mov_b32 s6, 0
	.p2align	6
.LBB19_9:                               ; =>This Inner Loop Header: Depth=1
	v_ashrrev_i32_e32 v1, 31, v0
	s_delay_alu instid0(VALU_DEP_1) | instskip(SKIP_1) | instid1(VALU_DEP_2)
	v_lshlrev_b64 v[1:2], 2, v[0:1]
	v_add_nc_u32_e32 v0, s5, v0
	v_add_co_u32 v3, vcc_lo, s1, v1
	s_delay_alu instid0(VALU_DEP_3) | instskip(NEXT) | instid1(VALU_DEP_3)
	v_add_co_ci_u32_e32 v4, vcc_lo, s2, v2, vcc_lo
	v_cmp_le_i32_e32 vcc_lo, s9, v0
	v_add_co_u32 v1, s0, s3, v1
	global_load_b32 v3, v[3:4], off
	v_add_co_ci_u32_e64 v2, s0, s4, v2, s0
	s_or_b32 s6, vcc_lo, s6
	s_waitcnt vmcnt(0)
	global_store_b32 v[1:2], v3, off
	s_and_not1_b32 exec_lo, exec_lo, s6
	s_cbranch_execnz .LBB19_9
.LBB19_10:
	s_nop 0
	s_sendmsg sendmsg(MSG_DEALLOC_VGPRS)
	s_endpgm
.LBB19_11:
                                        ; implicit-def: $sgpr18_sgpr19
	s_load_b64 s[14:15], s[0:1], 0x10
	s_branch .LBB19_3
	.section	.rodata,"a",@progbits
	.p2align	6, 0x0
	.amdhsa_kernel _ZN4vllm27concat_and_cache_mla_kernelIffLNS_18Fp8KVCacheDataTypeE0EEEvPKT_S4_PT0_PKliiiiiiiPKf
		.amdhsa_group_segment_fixed_size 0
		.amdhsa_private_segment_fixed_size 0
		.amdhsa_kernarg_size 328
		.amdhsa_user_sgpr_count 15
		.amdhsa_user_sgpr_dispatch_ptr 0
		.amdhsa_user_sgpr_queue_ptr 0
		.amdhsa_user_sgpr_kernarg_segment_ptr 1
		.amdhsa_user_sgpr_dispatch_id 0
		.amdhsa_user_sgpr_private_segment_size 0
		.amdhsa_wavefront_size32 1
		.amdhsa_uses_dynamic_stack 0
		.amdhsa_enable_private_segment 0
		.amdhsa_system_sgpr_workgroup_id_x 1
		.amdhsa_system_sgpr_workgroup_id_y 0
		.amdhsa_system_sgpr_workgroup_id_z 0
		.amdhsa_system_sgpr_workgroup_info 0
		.amdhsa_system_vgpr_workitem_id 0
		.amdhsa_next_free_vgpr 6
		.amdhsa_next_free_sgpr 31
		.amdhsa_reserve_vcc 1
		.amdhsa_float_round_mode_32 0
		.amdhsa_float_round_mode_16_64 0
		.amdhsa_float_denorm_mode_32 3
		.amdhsa_float_denorm_mode_16_64 3
		.amdhsa_dx10_clamp 1
		.amdhsa_ieee_mode 1
		.amdhsa_fp16_overflow 0
		.amdhsa_workgroup_processor_mode 1
		.amdhsa_memory_ordered 1
		.amdhsa_forward_progress 0
		.amdhsa_shared_vgpr_count 0
		.amdhsa_exception_fp_ieee_invalid_op 0
		.amdhsa_exception_fp_denorm_src 0
		.amdhsa_exception_fp_ieee_div_zero 0
		.amdhsa_exception_fp_ieee_overflow 0
		.amdhsa_exception_fp_ieee_underflow 0
		.amdhsa_exception_fp_ieee_inexact 0
		.amdhsa_exception_int_div_zero 0
	.end_amdhsa_kernel
	.section	.text._ZN4vllm27concat_and_cache_mla_kernelIffLNS_18Fp8KVCacheDataTypeE0EEEvPKT_S4_PT0_PKliiiiiiiPKf,"axG",@progbits,_ZN4vllm27concat_and_cache_mla_kernelIffLNS_18Fp8KVCacheDataTypeE0EEEvPKT_S4_PT0_PKliiiiiiiPKf,comdat
.Lfunc_end19:
	.size	_ZN4vllm27concat_and_cache_mla_kernelIffLNS_18Fp8KVCacheDataTypeE0EEEvPKT_S4_PT0_PKliiiiiiiPKf, .Lfunc_end19-_ZN4vllm27concat_and_cache_mla_kernelIffLNS_18Fp8KVCacheDataTypeE0EEEvPKT_S4_PT0_PKliiiiiiiPKf
                                        ; -- End function
	.section	.AMDGPU.csdata,"",@progbits
; Kernel info:
; codeLenInByte = 1412
; NumSgprs: 33
; NumVgprs: 6
; ScratchSize: 0
; MemoryBound: 0
; FloatMode: 240
; IeeeMode: 1
; LDSByteSize: 0 bytes/workgroup (compile time only)
; SGPRBlocks: 4
; VGPRBlocks: 0
; NumSGPRsForWavesPerEU: 33
; NumVGPRsForWavesPerEU: 6
; Occupancy: 16
; WaveLimiterHint : 0
; COMPUTE_PGM_RSRC2:SCRATCH_EN: 0
; COMPUTE_PGM_RSRC2:USER_SGPR: 15
; COMPUTE_PGM_RSRC2:TRAP_HANDLER: 0
; COMPUTE_PGM_RSRC2:TGID_X_EN: 1
; COMPUTE_PGM_RSRC2:TGID_Y_EN: 0
; COMPUTE_PGM_RSRC2:TGID_Z_EN: 0
; COMPUTE_PGM_RSRC2:TIDIG_COMP_CNT: 0
	.section	.text._ZN4vllm27concat_and_cache_mla_kernelIttLNS_18Fp8KVCacheDataTypeE0EEEvPKT_S4_PT0_PKliiiiiiiPKf,"axG",@progbits,_ZN4vllm27concat_and_cache_mla_kernelIttLNS_18Fp8KVCacheDataTypeE0EEEvPKT_S4_PT0_PKliiiiiiiPKf,comdat
	.protected	_ZN4vllm27concat_and_cache_mla_kernelIttLNS_18Fp8KVCacheDataTypeE0EEEvPKT_S4_PT0_PKliiiiiiiPKf ; -- Begin function _ZN4vllm27concat_and_cache_mla_kernelIttLNS_18Fp8KVCacheDataTypeE0EEEvPKT_S4_PT0_PKliiiiiiiPKf
	.globl	_ZN4vllm27concat_and_cache_mla_kernelIttLNS_18Fp8KVCacheDataTypeE0EEEvPKT_S4_PT0_PKliiiiiiiPKf
	.p2align	8
	.type	_ZN4vllm27concat_and_cache_mla_kernelIttLNS_18Fp8KVCacheDataTypeE0EEEvPKT_S4_PT0_PKliiiiiiiPKf,@function
_ZN4vllm27concat_and_cache_mla_kernelIttLNS_18Fp8KVCacheDataTypeE0EEEvPKT_S4_PT0_PKliiiiiiiPKf: ; @_ZN4vllm27concat_and_cache_mla_kernelIttLNS_18Fp8KVCacheDataTypeE0EEEvPKT_S4_PT0_PKliiiiiiiPKf
; %bb.0:
	s_load_b64 s[2:3], s[0:1], 0x18
	s_mov_b32 s12, s15
	s_mov_b32 s13, 0
	s_delay_alu instid0(SALU_CYCLE_1)
	s_lshl_b64 s[4:5], s[12:13], 3
	s_waitcnt lgkmcnt(0)
	s_add_u32 s2, s2, s4
	s_addc_u32 s3, s3, s5
	s_load_b64 s[2:3], s[2:3], 0x0
	s_waitcnt lgkmcnt(0)
	v_cmp_lt_i64_e64 s4, s[2:3], 0
	s_delay_alu instid0(VALU_DEP_1)
	s_and_b32 vcc_lo, exec_lo, s4
	s_cbranch_vccnz .LBB20_10
; %bb.1:
	s_load_b256 s[4:11], s[0:1], 0x20
	s_waitcnt lgkmcnt(0)
	s_ashr_i32 s11, s10, 31
	s_delay_alu instid0(SALU_CYCLE_1) | instskip(SKIP_1) | instid1(SALU_CYCLE_1)
	s_or_b64 s[14:15], s[2:3], s[10:11]
	s_mov_b32 s14, s13
	s_cmp_lg_u64 s[14:15], 0
	s_cbranch_scc0 .LBB20_11
; %bb.2:
	s_add_u32 s16, s10, s11
	s_mov_b32 s14, s11
	s_mov_b32 s15, s11
	s_addc_u32 s17, s11, s11
	s_delay_alu instid0(SALU_CYCLE_1) | instskip(NEXT) | instid1(SALU_CYCLE_1)
	s_xor_b64 s[16:17], s[16:17], s[14:15]
	v_cvt_f32_u32_e32 v1, s16
	v_cvt_f32_u32_e32 v2, s17
	s_sub_u32 s19, 0, s16
	s_subb_u32 s20, 0, s17
	s_delay_alu instid0(VALU_DEP_1) | instskip(NEXT) | instid1(VALU_DEP_1)
	v_fmamk_f32 v1, v2, 0x4f800000, v1
	v_rcp_f32_e32 v1, v1
	s_waitcnt_depctr 0xfff
	v_mul_f32_e32 v1, 0x5f7ffffc, v1
	s_delay_alu instid0(VALU_DEP_1) | instskip(NEXT) | instid1(VALU_DEP_1)
	v_mul_f32_e32 v2, 0x2f800000, v1
	v_trunc_f32_e32 v2, v2
	s_delay_alu instid0(VALU_DEP_1) | instskip(SKIP_1) | instid1(VALU_DEP_2)
	v_fmamk_f32 v1, v2, 0xcf800000, v1
	v_cvt_u32_f32_e32 v2, v2
	v_cvt_u32_f32_e32 v1, v1
	s_delay_alu instid0(VALU_DEP_2) | instskip(NEXT) | instid1(VALU_DEP_2)
	v_readfirstlane_b32 s13, v2
	v_readfirstlane_b32 s18, v1
	s_delay_alu instid0(VALU_DEP_2) | instskip(NEXT) | instid1(VALU_DEP_1)
	s_mul_i32 s21, s19, s13
	s_mul_hi_u32 s23, s19, s18
	s_mul_i32 s22, s20, s18
	s_add_i32 s21, s23, s21
	s_mul_i32 s24, s19, s18
	s_add_i32 s21, s21, s22
	s_mul_hi_u32 s23, s18, s24
	s_mul_hi_u32 s25, s13, s24
	s_mul_i32 s22, s13, s24
	s_mul_hi_u32 s24, s18, s21
	s_mul_i32 s18, s18, s21
	s_mul_hi_u32 s26, s13, s21
	s_add_u32 s18, s23, s18
	s_addc_u32 s23, 0, s24
	s_add_u32 s18, s18, s22
	s_mul_i32 s21, s13, s21
	s_addc_u32 s18, s23, s25
	s_addc_u32 s22, s26, 0
	s_add_u32 s18, s18, s21
	s_addc_u32 s21, 0, s22
	v_add_co_u32 v1, s18, v1, s18
	s_delay_alu instid0(VALU_DEP_1) | instskip(SKIP_1) | instid1(VALU_DEP_1)
	s_cmp_lg_u32 s18, 0
	s_addc_u32 s13, s13, s21
	v_readfirstlane_b32 s18, v1
	s_mul_i32 s21, s19, s13
	s_delay_alu instid0(VALU_DEP_1)
	s_mul_hi_u32 s22, s19, s18
	s_mul_i32 s20, s20, s18
	s_add_i32 s21, s22, s21
	s_mul_i32 s19, s19, s18
	s_add_i32 s21, s21, s20
	s_mul_hi_u32 s22, s13, s19
	s_mul_i32 s23, s13, s19
	s_mul_hi_u32 s19, s18, s19
	s_mul_hi_u32 s24, s18, s21
	s_mul_i32 s18, s18, s21
	s_mul_hi_u32 s20, s13, s21
	s_add_u32 s18, s19, s18
	s_addc_u32 s19, 0, s24
	s_add_u32 s18, s18, s23
	s_mul_i32 s21, s13, s21
	s_addc_u32 s18, s19, s22
	s_addc_u32 s19, s20, 0
	s_add_u32 s18, s18, s21
	s_addc_u32 s19, 0, s19
	v_add_co_u32 v1, s18, v1, s18
	s_delay_alu instid0(VALU_DEP_1) | instskip(SKIP_2) | instid1(VALU_DEP_1)
	s_cmp_lg_u32 s18, 0
	s_addc_u32 s13, s13, s19
	s_ashr_i32 s18, s3, 31
	v_readfirstlane_b32 s22, v1
	s_add_u32 s20, s2, s18
	s_mov_b32 s19, s18
	s_addc_u32 s21, s3, s18
	s_delay_alu instid0(SALU_CYCLE_1) | instskip(NEXT) | instid1(SALU_CYCLE_1)
	s_xor_b64 s[20:21], s[20:21], s[18:19]
	s_mul_i32 s24, s20, s13
	s_mul_hi_u32 s25, s20, s22
	s_mul_hi_u32 s23, s20, s13
	;; [unrolled: 1-line block ×3, first 2 shown]
	s_mul_i32 s22, s21, s22
	s_add_u32 s24, s25, s24
	s_addc_u32 s23, 0, s23
	s_mul_hi_u32 s26, s21, s13
	s_add_u32 s22, s24, s22
	s_mul_i32 s13, s21, s13
	s_addc_u32 s22, s23, s27
	s_addc_u32 s23, s26, 0
	s_add_u32 s13, s22, s13
	s_addc_u32 s22, 0, s23
	s_mul_i32 s26, s16, s13
	s_mul_hi_u32 s23, s16, s13
	s_mul_i32 s25, s16, s22
	v_sub_co_u32 v1, s20, s20, s26
	s_mul_i32 s24, s17, s13
	s_add_i32 s23, s23, s25
	s_delay_alu instid0(SALU_CYCLE_1) | instskip(NEXT) | instid1(VALU_DEP_1)
	s_add_i32 s23, s23, s24
	v_sub_co_u32 v2, s25, v1, s16
	s_sub_i32 s24, s21, s23
	s_cmp_lg_u32 s20, 0
	s_subb_u32 s24, s24, s17
	s_cmp_lg_u32 s25, 0
	v_readfirstlane_b32 s25, v2
	s_subb_u32 s24, s24, 0
	s_delay_alu instid0(SALU_CYCLE_1) | instskip(SKIP_1) | instid1(VALU_DEP_1)
	s_cmp_ge_u32 s24, s17
	s_cselect_b32 s26, -1, 0
	s_cmp_ge_u32 s25, s16
	s_cselect_b32 s25, -1, 0
	s_cmp_eq_u32 s24, s17
	s_cselect_b32 s24, s25, s26
	s_add_u32 s25, s13, 1
	s_addc_u32 s26, s22, 0
	s_add_u32 s27, s13, 2
	s_addc_u32 s28, s22, 0
	s_cmp_lg_u32 s24, 0
	s_cselect_b32 s24, s27, s25
	s_cselect_b32 s25, s28, s26
	s_cmp_lg_u32 s20, 0
	v_readfirstlane_b32 s20, v1
	s_subb_u32 s21, s21, s23
	s_delay_alu instid0(SALU_CYCLE_1) | instskip(SKIP_1) | instid1(VALU_DEP_1)
	s_cmp_ge_u32 s21, s17
	s_cselect_b32 s23, -1, 0
	s_cmp_ge_u32 s20, s16
	s_cselect_b32 s16, -1, 0
	s_cmp_eq_u32 s21, s17
	s_cselect_b32 s16, s16, s23
	s_delay_alu instid0(SALU_CYCLE_1) | instskip(SKIP_3) | instid1(SALU_CYCLE_1)
	s_cmp_lg_u32 s16, 0
	s_cselect_b32 s17, s25, s22
	s_cselect_b32 s16, s24, s13
	s_xor_b64 s[14:15], s[18:19], s[14:15]
	s_xor_b64 s[16:17], s[16:17], s[14:15]
	s_delay_alu instid0(SALU_CYCLE_1)
	s_sub_u32 s18, s16, s14
	s_subb_u32 s19, s17, s15
	s_load_b64 s[14:15], s[0:1], 0x10
	s_cbranch_execnz .LBB20_4
.LBB20_3:
	v_cvt_f32_u32_e32 v1, s10
	s_sub_i32 s16, 0, s10
	s_mov_b32 s19, 0
	s_delay_alu instid0(VALU_DEP_1) | instskip(SKIP_2) | instid1(VALU_DEP_1)
	v_rcp_iflag_f32_e32 v1, v1
	s_waitcnt_depctr 0xfff
	v_mul_f32_e32 v1, 0x4f7ffffe, v1
	v_cvt_u32_f32_e32 v1, v1
	s_delay_alu instid0(VALU_DEP_1) | instskip(NEXT) | instid1(VALU_DEP_1)
	v_readfirstlane_b32 s13, v1
	s_mul_i32 s16, s16, s13
	s_delay_alu instid0(SALU_CYCLE_1) | instskip(NEXT) | instid1(SALU_CYCLE_1)
	s_mul_hi_u32 s16, s13, s16
	s_add_i32 s13, s13, s16
	s_delay_alu instid0(SALU_CYCLE_1) | instskip(NEXT) | instid1(SALU_CYCLE_1)
	s_mul_hi_u32 s13, s2, s13
	s_mul_i32 s16, s13, s10
	s_add_i32 s17, s13, 1
	s_sub_i32 s16, s2, s16
	s_delay_alu instid0(SALU_CYCLE_1)
	s_sub_i32 s18, s16, s10
	s_cmp_ge_u32 s16, s10
	s_cselect_b32 s13, s17, s13
	s_cselect_b32 s16, s18, s16
	s_add_i32 s17, s13, 1
	s_cmp_ge_u32 s16, s10
	s_cselect_b32 s18, s17, s13
.LBB20_4:
	s_load_b64 s[16:17], s[0:1], 0x8
	s_mul_i32 s11, s18, s11
	s_mul_hi_u32 s13, s18, s10
	s_mul_hi_u32 s23, s18, s4
	s_add_i32 s11, s13, s11
	s_mul_i32 s13, s19, s10
	s_mul_i32 s10, s18, s10
	s_add_i32 s11, s11, s13
	s_sub_u32 s22, s2, s10
	s_subb_u32 s13, s3, s11
	s_mul_i32 s3, s19, s4
	s_mul_i32 s10, s18, s4
	s_mul_hi_u32 s19, s22, s5
	s_mul_i32 s13, s13, s5
	s_mul_i32 s20, s22, s5
	s_mov_b32 s24, exec_lo
	v_cmpx_gt_i32_e64 s8, v0
	s_cbranch_execz .LBB20_7
; %bb.5:
	s_clause 0x1
	s_load_b64 s[26:27], s[0:1], 0x0
	s_load_b32 s30, s[0:1], 0x54
	s_ashr_i32 s2, s6, 31
	s_mul_hi_u32 s11, s6, s12
	s_mul_i32 s28, s6, s12
	s_ashr_i32 s6, s4, 31
	s_ashr_i32 s21, s5, 31
	s_mul_i32 s2, s2, s12
	s_mul_i32 s6, s18, s6
	s_mul_i32 s21, s22, s21
	s_add_i32 s29, s11, s2
	s_add_i32 s2, s23, s6
	;; [unrolled: 1-line block ×3, first 2 shown]
	s_lshl_b64 s[28:29], s[28:29], 1
	s_add_i32 s11, s2, s3
	s_add_i32 s21, s6, s13
	v_mov_b32_e32 v1, v0
	s_waitcnt lgkmcnt(0)
	s_add_u32 s6, s26, s28
	s_addc_u32 s25, s27, s29
	s_lshl_b64 s[26:27], s[10:11], 1
	s_delay_alu instid0(SALU_CYCLE_1) | instskip(SKIP_2) | instid1(SALU_CYCLE_1)
	s_add_u32 s2, s14, s26
	s_addc_u32 s28, s15, s27
	s_lshl_b64 s[26:27], s[20:21], 1
	s_add_u32 s11, s2, s26
	s_addc_u32 s21, s28, s27
	s_and_b32 s26, s30, 0xffff
	s_mov_b32 s27, 0
	.p2align	6
.LBB20_6:                               ; =>This Inner Loop Header: Depth=1
	v_ashrrev_i32_e32 v2, 31, v1
	s_delay_alu instid0(VALU_DEP_1) | instskip(SKIP_1) | instid1(VALU_DEP_2)
	v_lshlrev_b64 v[2:3], 1, v[1:2]
	v_add_nc_u32_e32 v1, s26, v1
	v_add_co_u32 v4, vcc_lo, s6, v2
	s_delay_alu instid0(VALU_DEP_3) | instskip(NEXT) | instid1(VALU_DEP_3)
	v_add_co_ci_u32_e32 v5, vcc_lo, s25, v3, vcc_lo
	v_cmp_le_i32_e32 vcc_lo, s8, v1
	v_add_co_u32 v2, s2, s11, v2
	global_load_u16 v4, v[4:5], off
	v_add_co_ci_u32_e64 v3, s2, s21, v3, s2
	s_or_b32 s27, vcc_lo, s27
	s_waitcnt vmcnt(0)
	global_store_b16 v[2:3], v4, off
	s_and_not1_b32 exec_lo, exec_lo, s27
	s_cbranch_execnz .LBB20_6
.LBB20_7:
	s_or_b32 exec_lo, exec_lo, s24
	s_delay_alu instid0(SALU_CYCLE_1)
	s_mov_b32 s2, exec_lo
	v_cmpx_gt_i32_e64 s9, v0
	s_cbranch_execz .LBB20_10
; %bb.8:
	s_ashr_i32 s2, s7, 31
	s_load_b32 s0, s[0:1], 0x54
	s_mul_hi_u32 s6, s7, s12
	s_mul_i32 s2, s2, s12
	s_ashr_i32 s4, s4, 31
	s_add_i32 s25, s6, s2
	s_mul_i32 s2, s18, s4
	s_ashr_i32 s4, s5, 31
	s_mul_i32 s24, s7, s12
	s_mul_i32 s22, s22, s4
	s_add_i32 s2, s23, s2
	s_add_i32 s1, s19, s22
	;; [unrolled: 1-line block ×3, first 2 shown]
	s_lshl_b64 s[2:3], s[24:25], 1
	s_add_i32 s21, s1, s13
	s_ashr_i32 s5, s8, 31
	s_waitcnt lgkmcnt(0)
	s_add_u32 s1, s16, s2
	s_addc_u32 s2, s17, s3
	s_lshl_b64 s[6:7], s[10:11], 1
	s_mov_b32 s4, s8
	s_add_u32 s3, s14, s6
	s_addc_u32 s10, s15, s7
	s_lshl_b64 s[6:7], s[20:21], 1
	s_delay_alu instid0(SALU_CYCLE_1) | instskip(SKIP_2) | instid1(SALU_CYCLE_1)
	s_add_u32 s3, s3, s6
	s_addc_u32 s6, s10, s7
	s_lshl_b64 s[4:5], s[4:5], 1
	s_add_u32 s3, s3, s4
	s_addc_u32 s4, s6, s5
	s_and_b32 s5, s0, 0xffff
	s_mov_b32 s6, 0
	.p2align	6
.LBB20_9:                               ; =>This Inner Loop Header: Depth=1
	v_ashrrev_i32_e32 v1, 31, v0
	s_delay_alu instid0(VALU_DEP_1) | instskip(SKIP_1) | instid1(VALU_DEP_2)
	v_lshlrev_b64 v[1:2], 1, v[0:1]
	v_add_nc_u32_e32 v0, s5, v0
	v_add_co_u32 v3, vcc_lo, s1, v1
	s_delay_alu instid0(VALU_DEP_3) | instskip(NEXT) | instid1(VALU_DEP_3)
	v_add_co_ci_u32_e32 v4, vcc_lo, s2, v2, vcc_lo
	v_cmp_le_i32_e32 vcc_lo, s9, v0
	v_add_co_u32 v1, s0, s3, v1
	global_load_u16 v3, v[3:4], off
	v_add_co_ci_u32_e64 v2, s0, s4, v2, s0
	s_or_b32 s6, vcc_lo, s6
	s_waitcnt vmcnt(0)
	global_store_b16 v[1:2], v3, off
	s_and_not1_b32 exec_lo, exec_lo, s6
	s_cbranch_execnz .LBB20_9
.LBB20_10:
	s_nop 0
	s_sendmsg sendmsg(MSG_DEALLOC_VGPRS)
	s_endpgm
.LBB20_11:
                                        ; implicit-def: $sgpr18_sgpr19
	s_load_b64 s[14:15], s[0:1], 0x10
	s_branch .LBB20_3
	.section	.rodata,"a",@progbits
	.p2align	6, 0x0
	.amdhsa_kernel _ZN4vllm27concat_and_cache_mla_kernelIttLNS_18Fp8KVCacheDataTypeE0EEEvPKT_S4_PT0_PKliiiiiiiPKf
		.amdhsa_group_segment_fixed_size 0
		.amdhsa_private_segment_fixed_size 0
		.amdhsa_kernarg_size 328
		.amdhsa_user_sgpr_count 15
		.amdhsa_user_sgpr_dispatch_ptr 0
		.amdhsa_user_sgpr_queue_ptr 0
		.amdhsa_user_sgpr_kernarg_segment_ptr 1
		.amdhsa_user_sgpr_dispatch_id 0
		.amdhsa_user_sgpr_private_segment_size 0
		.amdhsa_wavefront_size32 1
		.amdhsa_uses_dynamic_stack 0
		.amdhsa_enable_private_segment 0
		.amdhsa_system_sgpr_workgroup_id_x 1
		.amdhsa_system_sgpr_workgroup_id_y 0
		.amdhsa_system_sgpr_workgroup_id_z 0
		.amdhsa_system_sgpr_workgroup_info 0
		.amdhsa_system_vgpr_workitem_id 0
		.amdhsa_next_free_vgpr 6
		.amdhsa_next_free_sgpr 31
		.amdhsa_reserve_vcc 1
		.amdhsa_float_round_mode_32 0
		.amdhsa_float_round_mode_16_64 0
		.amdhsa_float_denorm_mode_32 3
		.amdhsa_float_denorm_mode_16_64 3
		.amdhsa_dx10_clamp 1
		.amdhsa_ieee_mode 1
		.amdhsa_fp16_overflow 0
		.amdhsa_workgroup_processor_mode 1
		.amdhsa_memory_ordered 1
		.amdhsa_forward_progress 0
		.amdhsa_shared_vgpr_count 0
		.amdhsa_exception_fp_ieee_invalid_op 0
		.amdhsa_exception_fp_denorm_src 0
		.amdhsa_exception_fp_ieee_div_zero 0
		.amdhsa_exception_fp_ieee_overflow 0
		.amdhsa_exception_fp_ieee_underflow 0
		.amdhsa_exception_fp_ieee_inexact 0
		.amdhsa_exception_int_div_zero 0
	.end_amdhsa_kernel
	.section	.text._ZN4vllm27concat_and_cache_mla_kernelIttLNS_18Fp8KVCacheDataTypeE0EEEvPKT_S4_PT0_PKliiiiiiiPKf,"axG",@progbits,_ZN4vllm27concat_and_cache_mla_kernelIttLNS_18Fp8KVCacheDataTypeE0EEEvPKT_S4_PT0_PKliiiiiiiPKf,comdat
.Lfunc_end20:
	.size	_ZN4vllm27concat_and_cache_mla_kernelIttLNS_18Fp8KVCacheDataTypeE0EEEvPKT_S4_PT0_PKliiiiiiiPKf, .Lfunc_end20-_ZN4vllm27concat_and_cache_mla_kernelIttLNS_18Fp8KVCacheDataTypeE0EEEvPKT_S4_PT0_PKliiiiiiiPKf
                                        ; -- End function
	.section	.AMDGPU.csdata,"",@progbits
; Kernel info:
; codeLenInByte = 1412
; NumSgprs: 33
; NumVgprs: 6
; ScratchSize: 0
; MemoryBound: 0
; FloatMode: 240
; IeeeMode: 1
; LDSByteSize: 0 bytes/workgroup (compile time only)
; SGPRBlocks: 4
; VGPRBlocks: 0
; NumSGPRsForWavesPerEU: 33
; NumVGPRsForWavesPerEU: 6
; Occupancy: 16
; WaveLimiterHint : 0
; COMPUTE_PGM_RSRC2:SCRATCH_EN: 0
; COMPUTE_PGM_RSRC2:USER_SGPR: 15
; COMPUTE_PGM_RSRC2:TRAP_HANDLER: 0
; COMPUTE_PGM_RSRC2:TGID_X_EN: 1
; COMPUTE_PGM_RSRC2:TGID_Y_EN: 0
; COMPUTE_PGM_RSRC2:TGID_Z_EN: 0
; COMPUTE_PGM_RSRC2:TIDIG_COMP_CNT: 0
	.section	.text._ZN4vllm27concat_and_cache_mla_kernelI14__hip_bfloat16S1_LNS_18Fp8KVCacheDataTypeE0EEEvPKT_S5_PT0_PKliiiiiiiPKf,"axG",@progbits,_ZN4vllm27concat_and_cache_mla_kernelI14__hip_bfloat16S1_LNS_18Fp8KVCacheDataTypeE0EEEvPKT_S5_PT0_PKliiiiiiiPKf,comdat
	.protected	_ZN4vllm27concat_and_cache_mla_kernelI14__hip_bfloat16S1_LNS_18Fp8KVCacheDataTypeE0EEEvPKT_S5_PT0_PKliiiiiiiPKf ; -- Begin function _ZN4vllm27concat_and_cache_mla_kernelI14__hip_bfloat16S1_LNS_18Fp8KVCacheDataTypeE0EEEvPKT_S5_PT0_PKliiiiiiiPKf
	.globl	_ZN4vllm27concat_and_cache_mla_kernelI14__hip_bfloat16S1_LNS_18Fp8KVCacheDataTypeE0EEEvPKT_S5_PT0_PKliiiiiiiPKf
	.p2align	8
	.type	_ZN4vllm27concat_and_cache_mla_kernelI14__hip_bfloat16S1_LNS_18Fp8KVCacheDataTypeE0EEEvPKT_S5_PT0_PKliiiiiiiPKf,@function
_ZN4vllm27concat_and_cache_mla_kernelI14__hip_bfloat16S1_LNS_18Fp8KVCacheDataTypeE0EEEvPKT_S5_PT0_PKliiiiiiiPKf: ; @_ZN4vllm27concat_and_cache_mla_kernelI14__hip_bfloat16S1_LNS_18Fp8KVCacheDataTypeE0EEEvPKT_S5_PT0_PKliiiiiiiPKf
; %bb.0:
	s_load_b64 s[2:3], s[0:1], 0x18
	s_mov_b32 s12, s15
	s_mov_b32 s13, 0
	s_delay_alu instid0(SALU_CYCLE_1)
	s_lshl_b64 s[4:5], s[12:13], 3
	s_waitcnt lgkmcnt(0)
	s_add_u32 s2, s2, s4
	s_addc_u32 s3, s3, s5
	s_load_b64 s[2:3], s[2:3], 0x0
	s_waitcnt lgkmcnt(0)
	v_cmp_lt_i64_e64 s4, s[2:3], 0
	s_delay_alu instid0(VALU_DEP_1)
	s_and_b32 vcc_lo, exec_lo, s4
	s_cbranch_vccnz .LBB21_10
; %bb.1:
	s_load_b256 s[4:11], s[0:1], 0x20
	s_waitcnt lgkmcnt(0)
	s_ashr_i32 s11, s10, 31
	s_delay_alu instid0(SALU_CYCLE_1) | instskip(SKIP_1) | instid1(SALU_CYCLE_1)
	s_or_b64 s[14:15], s[2:3], s[10:11]
	s_mov_b32 s14, s13
	s_cmp_lg_u64 s[14:15], 0
	s_cbranch_scc0 .LBB21_11
; %bb.2:
	s_add_u32 s16, s10, s11
	s_mov_b32 s14, s11
	s_mov_b32 s15, s11
	s_addc_u32 s17, s11, s11
	s_delay_alu instid0(SALU_CYCLE_1) | instskip(NEXT) | instid1(SALU_CYCLE_1)
	s_xor_b64 s[16:17], s[16:17], s[14:15]
	v_cvt_f32_u32_e32 v1, s16
	v_cvt_f32_u32_e32 v2, s17
	s_sub_u32 s19, 0, s16
	s_subb_u32 s20, 0, s17
	s_delay_alu instid0(VALU_DEP_1) | instskip(NEXT) | instid1(VALU_DEP_1)
	v_fmamk_f32 v1, v2, 0x4f800000, v1
	v_rcp_f32_e32 v1, v1
	s_waitcnt_depctr 0xfff
	v_mul_f32_e32 v1, 0x5f7ffffc, v1
	s_delay_alu instid0(VALU_DEP_1) | instskip(NEXT) | instid1(VALU_DEP_1)
	v_mul_f32_e32 v2, 0x2f800000, v1
	v_trunc_f32_e32 v2, v2
	s_delay_alu instid0(VALU_DEP_1) | instskip(SKIP_1) | instid1(VALU_DEP_2)
	v_fmamk_f32 v1, v2, 0xcf800000, v1
	v_cvt_u32_f32_e32 v2, v2
	v_cvt_u32_f32_e32 v1, v1
	s_delay_alu instid0(VALU_DEP_2) | instskip(NEXT) | instid1(VALU_DEP_2)
	v_readfirstlane_b32 s13, v2
	v_readfirstlane_b32 s18, v1
	s_delay_alu instid0(VALU_DEP_2) | instskip(NEXT) | instid1(VALU_DEP_1)
	s_mul_i32 s21, s19, s13
	s_mul_hi_u32 s23, s19, s18
	s_mul_i32 s22, s20, s18
	s_add_i32 s21, s23, s21
	s_mul_i32 s24, s19, s18
	s_add_i32 s21, s21, s22
	s_mul_hi_u32 s23, s18, s24
	s_mul_hi_u32 s25, s13, s24
	s_mul_i32 s22, s13, s24
	s_mul_hi_u32 s24, s18, s21
	s_mul_i32 s18, s18, s21
	s_mul_hi_u32 s26, s13, s21
	s_add_u32 s18, s23, s18
	s_addc_u32 s23, 0, s24
	s_add_u32 s18, s18, s22
	s_mul_i32 s21, s13, s21
	s_addc_u32 s18, s23, s25
	s_addc_u32 s22, s26, 0
	s_add_u32 s18, s18, s21
	s_addc_u32 s21, 0, s22
	v_add_co_u32 v1, s18, v1, s18
	s_delay_alu instid0(VALU_DEP_1) | instskip(SKIP_1) | instid1(VALU_DEP_1)
	s_cmp_lg_u32 s18, 0
	s_addc_u32 s13, s13, s21
	v_readfirstlane_b32 s18, v1
	s_mul_i32 s21, s19, s13
	s_delay_alu instid0(VALU_DEP_1)
	s_mul_hi_u32 s22, s19, s18
	s_mul_i32 s20, s20, s18
	s_add_i32 s21, s22, s21
	s_mul_i32 s19, s19, s18
	s_add_i32 s21, s21, s20
	s_mul_hi_u32 s22, s13, s19
	s_mul_i32 s23, s13, s19
	s_mul_hi_u32 s19, s18, s19
	s_mul_hi_u32 s24, s18, s21
	s_mul_i32 s18, s18, s21
	s_mul_hi_u32 s20, s13, s21
	s_add_u32 s18, s19, s18
	s_addc_u32 s19, 0, s24
	s_add_u32 s18, s18, s23
	s_mul_i32 s21, s13, s21
	s_addc_u32 s18, s19, s22
	s_addc_u32 s19, s20, 0
	s_add_u32 s18, s18, s21
	s_addc_u32 s19, 0, s19
	v_add_co_u32 v1, s18, v1, s18
	s_delay_alu instid0(VALU_DEP_1) | instskip(SKIP_2) | instid1(VALU_DEP_1)
	s_cmp_lg_u32 s18, 0
	s_addc_u32 s13, s13, s19
	s_ashr_i32 s18, s3, 31
	v_readfirstlane_b32 s22, v1
	s_add_u32 s20, s2, s18
	s_mov_b32 s19, s18
	s_addc_u32 s21, s3, s18
	s_delay_alu instid0(SALU_CYCLE_1) | instskip(NEXT) | instid1(SALU_CYCLE_1)
	s_xor_b64 s[20:21], s[20:21], s[18:19]
	s_mul_i32 s24, s20, s13
	s_mul_hi_u32 s25, s20, s22
	s_mul_hi_u32 s23, s20, s13
	;; [unrolled: 1-line block ×3, first 2 shown]
	s_mul_i32 s22, s21, s22
	s_add_u32 s24, s25, s24
	s_addc_u32 s23, 0, s23
	s_mul_hi_u32 s26, s21, s13
	s_add_u32 s22, s24, s22
	s_mul_i32 s13, s21, s13
	s_addc_u32 s22, s23, s27
	s_addc_u32 s23, s26, 0
	s_add_u32 s13, s22, s13
	s_addc_u32 s22, 0, s23
	s_mul_i32 s26, s16, s13
	s_mul_hi_u32 s23, s16, s13
	s_mul_i32 s25, s16, s22
	v_sub_co_u32 v1, s20, s20, s26
	s_mul_i32 s24, s17, s13
	s_add_i32 s23, s23, s25
	s_delay_alu instid0(SALU_CYCLE_1) | instskip(NEXT) | instid1(VALU_DEP_1)
	s_add_i32 s23, s23, s24
	v_sub_co_u32 v2, s25, v1, s16
	s_sub_i32 s24, s21, s23
	s_cmp_lg_u32 s20, 0
	s_subb_u32 s24, s24, s17
	s_cmp_lg_u32 s25, 0
	v_readfirstlane_b32 s25, v2
	s_subb_u32 s24, s24, 0
	s_delay_alu instid0(SALU_CYCLE_1) | instskip(SKIP_1) | instid1(VALU_DEP_1)
	s_cmp_ge_u32 s24, s17
	s_cselect_b32 s26, -1, 0
	s_cmp_ge_u32 s25, s16
	s_cselect_b32 s25, -1, 0
	s_cmp_eq_u32 s24, s17
	s_cselect_b32 s24, s25, s26
	s_add_u32 s25, s13, 1
	s_addc_u32 s26, s22, 0
	s_add_u32 s27, s13, 2
	s_addc_u32 s28, s22, 0
	s_cmp_lg_u32 s24, 0
	s_cselect_b32 s24, s27, s25
	s_cselect_b32 s25, s28, s26
	s_cmp_lg_u32 s20, 0
	v_readfirstlane_b32 s20, v1
	s_subb_u32 s21, s21, s23
	s_delay_alu instid0(SALU_CYCLE_1) | instskip(SKIP_1) | instid1(VALU_DEP_1)
	s_cmp_ge_u32 s21, s17
	s_cselect_b32 s23, -1, 0
	s_cmp_ge_u32 s20, s16
	s_cselect_b32 s16, -1, 0
	s_cmp_eq_u32 s21, s17
	s_cselect_b32 s16, s16, s23
	s_delay_alu instid0(SALU_CYCLE_1) | instskip(SKIP_3) | instid1(SALU_CYCLE_1)
	s_cmp_lg_u32 s16, 0
	s_cselect_b32 s17, s25, s22
	s_cselect_b32 s16, s24, s13
	s_xor_b64 s[14:15], s[18:19], s[14:15]
	s_xor_b64 s[16:17], s[16:17], s[14:15]
	s_delay_alu instid0(SALU_CYCLE_1)
	s_sub_u32 s18, s16, s14
	s_subb_u32 s19, s17, s15
	s_load_b64 s[14:15], s[0:1], 0x10
	s_cbranch_execnz .LBB21_4
.LBB21_3:
	v_cvt_f32_u32_e32 v1, s10
	s_sub_i32 s16, 0, s10
	s_mov_b32 s19, 0
	s_delay_alu instid0(VALU_DEP_1) | instskip(SKIP_2) | instid1(VALU_DEP_1)
	v_rcp_iflag_f32_e32 v1, v1
	s_waitcnt_depctr 0xfff
	v_mul_f32_e32 v1, 0x4f7ffffe, v1
	v_cvt_u32_f32_e32 v1, v1
	s_delay_alu instid0(VALU_DEP_1) | instskip(NEXT) | instid1(VALU_DEP_1)
	v_readfirstlane_b32 s13, v1
	s_mul_i32 s16, s16, s13
	s_delay_alu instid0(SALU_CYCLE_1) | instskip(NEXT) | instid1(SALU_CYCLE_1)
	s_mul_hi_u32 s16, s13, s16
	s_add_i32 s13, s13, s16
	s_delay_alu instid0(SALU_CYCLE_1) | instskip(NEXT) | instid1(SALU_CYCLE_1)
	s_mul_hi_u32 s13, s2, s13
	s_mul_i32 s16, s13, s10
	s_add_i32 s17, s13, 1
	s_sub_i32 s16, s2, s16
	s_delay_alu instid0(SALU_CYCLE_1)
	s_sub_i32 s18, s16, s10
	s_cmp_ge_u32 s16, s10
	s_cselect_b32 s13, s17, s13
	s_cselect_b32 s16, s18, s16
	s_add_i32 s17, s13, 1
	s_cmp_ge_u32 s16, s10
	s_cselect_b32 s18, s17, s13
.LBB21_4:
	s_load_b64 s[16:17], s[0:1], 0x8
	s_mul_i32 s11, s18, s11
	s_mul_hi_u32 s13, s18, s10
	s_mul_hi_u32 s23, s18, s4
	s_add_i32 s11, s13, s11
	s_mul_i32 s13, s19, s10
	s_mul_i32 s10, s18, s10
	s_add_i32 s11, s11, s13
	s_sub_u32 s22, s2, s10
	s_subb_u32 s13, s3, s11
	s_mul_i32 s3, s19, s4
	s_mul_i32 s10, s18, s4
	s_mul_hi_u32 s19, s22, s5
	s_mul_i32 s13, s13, s5
	s_mul_i32 s20, s22, s5
	s_mov_b32 s24, exec_lo
	v_cmpx_gt_i32_e64 s8, v0
	s_cbranch_execz .LBB21_7
; %bb.5:
	s_clause 0x1
	s_load_b64 s[26:27], s[0:1], 0x0
	s_load_b32 s30, s[0:1], 0x54
	s_ashr_i32 s2, s6, 31
	s_mul_hi_u32 s11, s6, s12
	s_mul_i32 s28, s6, s12
	s_ashr_i32 s6, s4, 31
	s_ashr_i32 s21, s5, 31
	s_mul_i32 s2, s2, s12
	s_mul_i32 s6, s18, s6
	;; [unrolled: 1-line block ×3, first 2 shown]
	s_add_i32 s29, s11, s2
	s_add_i32 s2, s23, s6
	;; [unrolled: 1-line block ×3, first 2 shown]
	s_lshl_b64 s[28:29], s[28:29], 1
	s_add_i32 s11, s2, s3
	s_add_i32 s21, s6, s13
	v_mov_b32_e32 v1, v0
	s_waitcnt lgkmcnt(0)
	s_add_u32 s6, s26, s28
	s_addc_u32 s25, s27, s29
	s_lshl_b64 s[26:27], s[10:11], 1
	s_delay_alu instid0(SALU_CYCLE_1) | instskip(SKIP_2) | instid1(SALU_CYCLE_1)
	s_add_u32 s2, s14, s26
	s_addc_u32 s28, s15, s27
	s_lshl_b64 s[26:27], s[20:21], 1
	s_add_u32 s11, s2, s26
	s_addc_u32 s21, s28, s27
	s_and_b32 s26, s30, 0xffff
	s_mov_b32 s27, 0
	.p2align	6
.LBB21_6:                               ; =>This Inner Loop Header: Depth=1
	v_ashrrev_i32_e32 v2, 31, v1
	s_delay_alu instid0(VALU_DEP_1) | instskip(SKIP_1) | instid1(VALU_DEP_2)
	v_lshlrev_b64 v[2:3], 1, v[1:2]
	v_add_nc_u32_e32 v1, s26, v1
	v_add_co_u32 v4, vcc_lo, s6, v2
	s_delay_alu instid0(VALU_DEP_3) | instskip(NEXT) | instid1(VALU_DEP_3)
	v_add_co_ci_u32_e32 v5, vcc_lo, s25, v3, vcc_lo
	v_cmp_le_i32_e32 vcc_lo, s8, v1
	v_add_co_u32 v2, s2, s11, v2
	global_load_u16 v4, v[4:5], off
	v_add_co_ci_u32_e64 v3, s2, s21, v3, s2
	s_or_b32 s27, vcc_lo, s27
	s_waitcnt vmcnt(0)
	global_store_b16 v[2:3], v4, off
	s_and_not1_b32 exec_lo, exec_lo, s27
	s_cbranch_execnz .LBB21_6
.LBB21_7:
	s_or_b32 exec_lo, exec_lo, s24
	s_delay_alu instid0(SALU_CYCLE_1)
	s_mov_b32 s2, exec_lo
	v_cmpx_gt_i32_e64 s9, v0
	s_cbranch_execz .LBB21_10
; %bb.8:
	s_ashr_i32 s2, s7, 31
	s_load_b32 s0, s[0:1], 0x54
	s_mul_hi_u32 s6, s7, s12
	s_mul_i32 s2, s2, s12
	s_ashr_i32 s4, s4, 31
	s_add_i32 s25, s6, s2
	s_mul_i32 s2, s18, s4
	s_ashr_i32 s4, s5, 31
	s_mul_i32 s24, s7, s12
	s_mul_i32 s22, s22, s4
	s_add_i32 s2, s23, s2
	s_add_i32 s1, s19, s22
	;; [unrolled: 1-line block ×3, first 2 shown]
	s_lshl_b64 s[2:3], s[24:25], 1
	s_add_i32 s21, s1, s13
	s_ashr_i32 s5, s8, 31
	s_waitcnt lgkmcnt(0)
	s_add_u32 s1, s16, s2
	s_addc_u32 s2, s17, s3
	s_lshl_b64 s[6:7], s[10:11], 1
	s_mov_b32 s4, s8
	s_add_u32 s3, s14, s6
	s_addc_u32 s10, s15, s7
	s_lshl_b64 s[6:7], s[20:21], 1
	s_delay_alu instid0(SALU_CYCLE_1) | instskip(SKIP_2) | instid1(SALU_CYCLE_1)
	s_add_u32 s3, s3, s6
	s_addc_u32 s6, s10, s7
	s_lshl_b64 s[4:5], s[4:5], 1
	s_add_u32 s3, s3, s4
	s_addc_u32 s4, s6, s5
	s_and_b32 s5, s0, 0xffff
	s_mov_b32 s6, 0
	.p2align	6
.LBB21_9:                               ; =>This Inner Loop Header: Depth=1
	v_ashrrev_i32_e32 v1, 31, v0
	s_delay_alu instid0(VALU_DEP_1) | instskip(SKIP_1) | instid1(VALU_DEP_2)
	v_lshlrev_b64 v[1:2], 1, v[0:1]
	v_add_nc_u32_e32 v0, s5, v0
	v_add_co_u32 v3, vcc_lo, s1, v1
	s_delay_alu instid0(VALU_DEP_3) | instskip(NEXT) | instid1(VALU_DEP_3)
	v_add_co_ci_u32_e32 v4, vcc_lo, s2, v2, vcc_lo
	v_cmp_le_i32_e32 vcc_lo, s9, v0
	v_add_co_u32 v1, s0, s3, v1
	global_load_u16 v3, v[3:4], off
	v_add_co_ci_u32_e64 v2, s0, s4, v2, s0
	s_or_b32 s6, vcc_lo, s6
	s_waitcnt vmcnt(0)
	global_store_b16 v[1:2], v3, off
	s_and_not1_b32 exec_lo, exec_lo, s6
	s_cbranch_execnz .LBB21_9
.LBB21_10:
	s_nop 0
	s_sendmsg sendmsg(MSG_DEALLOC_VGPRS)
	s_endpgm
.LBB21_11:
                                        ; implicit-def: $sgpr18_sgpr19
	s_load_b64 s[14:15], s[0:1], 0x10
	s_branch .LBB21_3
	.section	.rodata,"a",@progbits
	.p2align	6, 0x0
	.amdhsa_kernel _ZN4vllm27concat_and_cache_mla_kernelI14__hip_bfloat16S1_LNS_18Fp8KVCacheDataTypeE0EEEvPKT_S5_PT0_PKliiiiiiiPKf
		.amdhsa_group_segment_fixed_size 0
		.amdhsa_private_segment_fixed_size 0
		.amdhsa_kernarg_size 328
		.amdhsa_user_sgpr_count 15
		.amdhsa_user_sgpr_dispatch_ptr 0
		.amdhsa_user_sgpr_queue_ptr 0
		.amdhsa_user_sgpr_kernarg_segment_ptr 1
		.amdhsa_user_sgpr_dispatch_id 0
		.amdhsa_user_sgpr_private_segment_size 0
		.amdhsa_wavefront_size32 1
		.amdhsa_uses_dynamic_stack 0
		.amdhsa_enable_private_segment 0
		.amdhsa_system_sgpr_workgroup_id_x 1
		.amdhsa_system_sgpr_workgroup_id_y 0
		.amdhsa_system_sgpr_workgroup_id_z 0
		.amdhsa_system_sgpr_workgroup_info 0
		.amdhsa_system_vgpr_workitem_id 0
		.amdhsa_next_free_vgpr 6
		.amdhsa_next_free_sgpr 31
		.amdhsa_reserve_vcc 1
		.amdhsa_float_round_mode_32 0
		.amdhsa_float_round_mode_16_64 0
		.amdhsa_float_denorm_mode_32 3
		.amdhsa_float_denorm_mode_16_64 3
		.amdhsa_dx10_clamp 1
		.amdhsa_ieee_mode 1
		.amdhsa_fp16_overflow 0
		.amdhsa_workgroup_processor_mode 1
		.amdhsa_memory_ordered 1
		.amdhsa_forward_progress 0
		.amdhsa_shared_vgpr_count 0
		.amdhsa_exception_fp_ieee_invalid_op 0
		.amdhsa_exception_fp_denorm_src 0
		.amdhsa_exception_fp_ieee_div_zero 0
		.amdhsa_exception_fp_ieee_overflow 0
		.amdhsa_exception_fp_ieee_underflow 0
		.amdhsa_exception_fp_ieee_inexact 0
		.amdhsa_exception_int_div_zero 0
	.end_amdhsa_kernel
	.section	.text._ZN4vllm27concat_and_cache_mla_kernelI14__hip_bfloat16S1_LNS_18Fp8KVCacheDataTypeE0EEEvPKT_S5_PT0_PKliiiiiiiPKf,"axG",@progbits,_ZN4vllm27concat_and_cache_mla_kernelI14__hip_bfloat16S1_LNS_18Fp8KVCacheDataTypeE0EEEvPKT_S5_PT0_PKliiiiiiiPKf,comdat
.Lfunc_end21:
	.size	_ZN4vllm27concat_and_cache_mla_kernelI14__hip_bfloat16S1_LNS_18Fp8KVCacheDataTypeE0EEEvPKT_S5_PT0_PKliiiiiiiPKf, .Lfunc_end21-_ZN4vllm27concat_and_cache_mla_kernelI14__hip_bfloat16S1_LNS_18Fp8KVCacheDataTypeE0EEEvPKT_S5_PT0_PKliiiiiiiPKf
                                        ; -- End function
	.section	.AMDGPU.csdata,"",@progbits
; Kernel info:
; codeLenInByte = 1412
; NumSgprs: 33
; NumVgprs: 6
; ScratchSize: 0
; MemoryBound: 0
; FloatMode: 240
; IeeeMode: 1
; LDSByteSize: 0 bytes/workgroup (compile time only)
; SGPRBlocks: 4
; VGPRBlocks: 0
; NumSGPRsForWavesPerEU: 33
; NumVGPRsForWavesPerEU: 6
; Occupancy: 16
; WaveLimiterHint : 0
; COMPUTE_PGM_RSRC2:SCRATCH_EN: 0
; COMPUTE_PGM_RSRC2:USER_SGPR: 15
; COMPUTE_PGM_RSRC2:TRAP_HANDLER: 0
; COMPUTE_PGM_RSRC2:TGID_X_EN: 1
; COMPUTE_PGM_RSRC2:TGID_Y_EN: 0
; COMPUTE_PGM_RSRC2:TGID_Z_EN: 0
; COMPUTE_PGM_RSRC2:TIDIG_COMP_CNT: 0
	.section	.text._ZN4vllm27concat_and_cache_mla_kernelIfhLNS_18Fp8KVCacheDataTypeE1EEEvPKT_S4_PT0_PKliiiiiiiPKf,"axG",@progbits,_ZN4vllm27concat_and_cache_mla_kernelIfhLNS_18Fp8KVCacheDataTypeE1EEEvPKT_S4_PT0_PKliiiiiiiPKf,comdat
	.protected	_ZN4vllm27concat_and_cache_mla_kernelIfhLNS_18Fp8KVCacheDataTypeE1EEEvPKT_S4_PT0_PKliiiiiiiPKf ; -- Begin function _ZN4vllm27concat_and_cache_mla_kernelIfhLNS_18Fp8KVCacheDataTypeE1EEEvPKT_S4_PT0_PKliiiiiiiPKf
	.globl	_ZN4vllm27concat_and_cache_mla_kernelIfhLNS_18Fp8KVCacheDataTypeE1EEEvPKT_S4_PT0_PKliiiiiiiPKf
	.p2align	8
	.type	_ZN4vllm27concat_and_cache_mla_kernelIfhLNS_18Fp8KVCacheDataTypeE1EEEvPKT_S4_PT0_PKliiiiiiiPKf,@function
_ZN4vllm27concat_and_cache_mla_kernelIfhLNS_18Fp8KVCacheDataTypeE1EEEvPKT_S4_PT0_PKliiiiiiiPKf: ; @_ZN4vllm27concat_and_cache_mla_kernelIfhLNS_18Fp8KVCacheDataTypeE1EEEvPKT_S4_PT0_PKliiiiiiiPKf
; %bb.0:
	s_load_b64 s[2:3], s[0:1], 0x18
	s_mov_b32 s12, s15
	s_mov_b32 s13, 0
	s_delay_alu instid0(SALU_CYCLE_1)
	s_lshl_b64 s[4:5], s[12:13], 3
	s_waitcnt lgkmcnt(0)
	s_add_u32 s2, s2, s4
	s_addc_u32 s3, s3, s5
	s_load_b64 s[2:3], s[2:3], 0x0
	s_waitcnt lgkmcnt(0)
	v_cmp_lt_i64_e64 s4, s[2:3], 0
	s_delay_alu instid0(VALU_DEP_1)
	s_and_b32 vcc_lo, exec_lo, s4
	s_cbranch_vccnz .LBB22_46
; %bb.1:
	s_load_b256 s[4:11], s[0:1], 0x20
	s_waitcnt lgkmcnt(0)
	s_ashr_i32 s11, s10, 31
	s_delay_alu instid0(SALU_CYCLE_1) | instskip(SKIP_1) | instid1(SALU_CYCLE_1)
	s_or_b64 s[14:15], s[2:3], s[10:11]
	s_mov_b32 s14, s13
	s_cmp_lg_u64 s[14:15], 0
	s_cbranch_scc0 .LBB22_47
; %bb.2:
	s_add_u32 s16, s10, s11
	s_mov_b32 s14, s11
	s_mov_b32 s15, s11
	s_addc_u32 s17, s11, s11
	s_delay_alu instid0(SALU_CYCLE_1) | instskip(NEXT) | instid1(SALU_CYCLE_1)
	s_xor_b64 s[16:17], s[16:17], s[14:15]
	v_cvt_f32_u32_e32 v1, s16
	v_cvt_f32_u32_e32 v2, s17
	s_sub_u32 s19, 0, s16
	s_subb_u32 s20, 0, s17
	s_delay_alu instid0(VALU_DEP_1) | instskip(NEXT) | instid1(VALU_DEP_1)
	v_fmamk_f32 v1, v2, 0x4f800000, v1
	v_rcp_f32_e32 v1, v1
	s_waitcnt_depctr 0xfff
	v_mul_f32_e32 v1, 0x5f7ffffc, v1
	s_delay_alu instid0(VALU_DEP_1) | instskip(NEXT) | instid1(VALU_DEP_1)
	v_mul_f32_e32 v2, 0x2f800000, v1
	v_trunc_f32_e32 v2, v2
	s_delay_alu instid0(VALU_DEP_1) | instskip(SKIP_1) | instid1(VALU_DEP_2)
	v_fmamk_f32 v1, v2, 0xcf800000, v1
	v_cvt_u32_f32_e32 v2, v2
	v_cvt_u32_f32_e32 v1, v1
	s_delay_alu instid0(VALU_DEP_2) | instskip(NEXT) | instid1(VALU_DEP_2)
	v_readfirstlane_b32 s13, v2
	v_readfirstlane_b32 s18, v1
	s_delay_alu instid0(VALU_DEP_2) | instskip(NEXT) | instid1(VALU_DEP_1)
	s_mul_i32 s21, s19, s13
	s_mul_hi_u32 s23, s19, s18
	s_mul_i32 s22, s20, s18
	s_add_i32 s21, s23, s21
	s_mul_i32 s24, s19, s18
	s_add_i32 s21, s21, s22
	s_mul_hi_u32 s23, s18, s24
	s_mul_hi_u32 s25, s13, s24
	s_mul_i32 s22, s13, s24
	s_mul_hi_u32 s24, s18, s21
	s_mul_i32 s18, s18, s21
	s_mul_hi_u32 s26, s13, s21
	s_add_u32 s18, s23, s18
	s_addc_u32 s23, 0, s24
	s_add_u32 s18, s18, s22
	s_mul_i32 s21, s13, s21
	s_addc_u32 s18, s23, s25
	s_addc_u32 s22, s26, 0
	s_add_u32 s18, s18, s21
	s_addc_u32 s21, 0, s22
	v_add_co_u32 v1, s18, v1, s18
	s_delay_alu instid0(VALU_DEP_1) | instskip(SKIP_1) | instid1(VALU_DEP_1)
	s_cmp_lg_u32 s18, 0
	s_addc_u32 s13, s13, s21
	v_readfirstlane_b32 s18, v1
	s_mul_i32 s21, s19, s13
	s_delay_alu instid0(VALU_DEP_1)
	s_mul_hi_u32 s22, s19, s18
	s_mul_i32 s20, s20, s18
	s_add_i32 s21, s22, s21
	s_mul_i32 s19, s19, s18
	s_add_i32 s21, s21, s20
	s_mul_hi_u32 s22, s13, s19
	s_mul_i32 s23, s13, s19
	s_mul_hi_u32 s19, s18, s19
	s_mul_hi_u32 s24, s18, s21
	s_mul_i32 s18, s18, s21
	s_mul_hi_u32 s20, s13, s21
	s_add_u32 s18, s19, s18
	s_addc_u32 s19, 0, s24
	s_add_u32 s18, s18, s23
	s_mul_i32 s21, s13, s21
	s_addc_u32 s18, s19, s22
	s_addc_u32 s19, s20, 0
	s_add_u32 s18, s18, s21
	s_addc_u32 s19, 0, s19
	v_add_co_u32 v1, s18, v1, s18
	s_delay_alu instid0(VALU_DEP_1) | instskip(SKIP_2) | instid1(VALU_DEP_1)
	s_cmp_lg_u32 s18, 0
	s_addc_u32 s13, s13, s19
	s_ashr_i32 s18, s3, 31
	v_readfirstlane_b32 s22, v1
	s_add_u32 s20, s2, s18
	s_mov_b32 s19, s18
	s_addc_u32 s21, s3, s18
	s_delay_alu instid0(SALU_CYCLE_1) | instskip(NEXT) | instid1(SALU_CYCLE_1)
	s_xor_b64 s[20:21], s[20:21], s[18:19]
	s_mul_i32 s24, s20, s13
	s_mul_hi_u32 s25, s20, s22
	s_mul_hi_u32 s23, s20, s13
	;; [unrolled: 1-line block ×3, first 2 shown]
	s_mul_i32 s22, s21, s22
	s_add_u32 s24, s25, s24
	s_addc_u32 s23, 0, s23
	s_mul_hi_u32 s26, s21, s13
	s_add_u32 s22, s24, s22
	s_mul_i32 s13, s21, s13
	s_addc_u32 s22, s23, s27
	s_addc_u32 s23, s26, 0
	s_add_u32 s13, s22, s13
	s_addc_u32 s22, 0, s23
	s_mul_i32 s26, s16, s13
	s_mul_hi_u32 s23, s16, s13
	s_mul_i32 s25, s16, s22
	v_sub_co_u32 v1, s20, s20, s26
	s_mul_i32 s24, s17, s13
	s_add_i32 s23, s23, s25
	s_delay_alu instid0(SALU_CYCLE_1) | instskip(NEXT) | instid1(VALU_DEP_1)
	s_add_i32 s23, s23, s24
	v_sub_co_u32 v2, s25, v1, s16
	s_sub_i32 s24, s21, s23
	s_cmp_lg_u32 s20, 0
	s_subb_u32 s24, s24, s17
	s_cmp_lg_u32 s25, 0
	v_readfirstlane_b32 s25, v2
	s_subb_u32 s24, s24, 0
	s_delay_alu instid0(SALU_CYCLE_1) | instskip(SKIP_1) | instid1(VALU_DEP_1)
	s_cmp_ge_u32 s24, s17
	s_cselect_b32 s26, -1, 0
	s_cmp_ge_u32 s25, s16
	s_cselect_b32 s25, -1, 0
	s_cmp_eq_u32 s24, s17
	s_cselect_b32 s24, s25, s26
	s_add_u32 s25, s13, 1
	s_addc_u32 s26, s22, 0
	s_add_u32 s27, s13, 2
	s_addc_u32 s28, s22, 0
	s_cmp_lg_u32 s24, 0
	s_cselect_b32 s24, s27, s25
	s_cselect_b32 s25, s28, s26
	s_cmp_lg_u32 s20, 0
	v_readfirstlane_b32 s20, v1
	s_subb_u32 s21, s21, s23
	s_delay_alu instid0(SALU_CYCLE_1) | instskip(SKIP_1) | instid1(VALU_DEP_1)
	s_cmp_ge_u32 s21, s17
	s_cselect_b32 s23, -1, 0
	s_cmp_ge_u32 s20, s16
	s_cselect_b32 s16, -1, 0
	s_cmp_eq_u32 s21, s17
	s_cselect_b32 s16, s16, s23
	s_delay_alu instid0(SALU_CYCLE_1) | instskip(SKIP_3) | instid1(SALU_CYCLE_1)
	s_cmp_lg_u32 s16, 0
	s_cselect_b32 s17, s25, s22
	s_cselect_b32 s16, s24, s13
	s_xor_b64 s[14:15], s[18:19], s[14:15]
	s_xor_b64 s[16:17], s[16:17], s[14:15]
	s_delay_alu instid0(SALU_CYCLE_1)
	s_sub_u32 s16, s16, s14
	s_subb_u32 s17, s17, s15
	s_load_b64 s[14:15], s[0:1], 0x10
	s_cbranch_execnz .LBB22_4
.LBB22_3:
	v_cvt_f32_u32_e32 v1, s10
	s_sub_i32 s16, 0, s10
	s_delay_alu instid0(VALU_DEP_1) | instskip(SKIP_2) | instid1(VALU_DEP_1)
	v_rcp_iflag_f32_e32 v1, v1
	s_waitcnt_depctr 0xfff
	v_mul_f32_e32 v1, 0x4f7ffffe, v1
	v_cvt_u32_f32_e32 v1, v1
	s_delay_alu instid0(VALU_DEP_1) | instskip(NEXT) | instid1(VALU_DEP_1)
	v_readfirstlane_b32 s13, v1
	s_mul_i32 s16, s16, s13
	s_delay_alu instid0(SALU_CYCLE_1) | instskip(NEXT) | instid1(SALU_CYCLE_1)
	s_mul_hi_u32 s16, s13, s16
	s_add_i32 s13, s13, s16
	s_delay_alu instid0(SALU_CYCLE_1) | instskip(NEXT) | instid1(SALU_CYCLE_1)
	s_mul_hi_u32 s13, s2, s13
	s_mul_i32 s16, s13, s10
	s_add_i32 s17, s13, 1
	s_sub_i32 s16, s2, s16
	s_delay_alu instid0(SALU_CYCLE_1)
	s_sub_i32 s18, s16, s10
	s_cmp_ge_u32 s16, s10
	s_cselect_b32 s13, s17, s13
	s_cselect_b32 s16, s18, s16
	s_add_i32 s18, s13, 1
	s_cmp_ge_u32 s16, s10
	s_mov_b32 s17, 0
	s_cselect_b32 s16, s18, s13
.LBB22_4:
	s_clause 0x1
	s_load_b64 s[18:19], s[0:1], 0x8
	s_load_b64 s[20:21], s[0:1], 0x40
	s_mul_i32 s11, s16, s11
	s_mul_hi_u32 s13, s16, s10
	s_mul_hi_u32 s22, s16, s4
	s_add_i32 s11, s13, s11
	s_mul_i32 s13, s17, s10
	s_mul_i32 s10, s16, s10
	s_add_i32 s13, s11, s13
	s_sub_u32 s11, s2, s10
	s_subb_u32 s2, s3, s13
	s_mul_i32 s13, s17, s4
	s_mul_i32 s3, s16, s4
	s_mul_hi_u32 s23, s11, s5
	s_mul_i32 s17, s2, s5
	s_mul_i32 s10, s11, s5
	s_mov_b32 s24, exec_lo
	v_cmpx_gt_i32_e64 s8, v0
	s_cbranch_execz .LBB22_25
; %bb.5:
	s_clause 0x1
	s_load_b64 s[26:27], s[0:1], 0x0
	s_load_b32 s30, s[0:1], 0x54
	s_ashr_i32 s2, s6, 31
	s_mul_hi_u32 s25, s6, s12
	s_mul_i32 s28, s6, s12
	s_waitcnt lgkmcnt(0)
	s_load_b32 s6, s[20:21], 0x0
	s_ashr_i32 s29, s4, 31
	s_ashr_i32 s31, s5, 31
	s_mul_i32 s2, s2, s12
	s_mul_i32 s33, s16, s29
	;; [unrolled: 1-line block ×3, first 2 shown]
	s_add_i32 s29, s25, s2
	s_add_i32 s2, s22, s33
	;; [unrolled: 1-line block ×3, first 2 shown]
	s_lshl_b64 s[28:29], s[28:29], 2
	s_add_i32 s2, s2, s13
	s_add_i32 s31, s25, s17
	v_dual_mov_b32 v2, 0 :: v_dual_mov_b32 v3, v0
	s_add_u32 s25, s26, s28
	s_addc_u32 s26, s27, s29
	s_add_u32 s27, s14, s3
	s_addc_u32 s2, s15, s2
	;; [unrolled: 2-line block ×3, first 2 shown]
	s_and_b32 s29, s30, 0xffff
	s_mov_b32 s30, 0
	s_branch .LBB22_7
.LBB22_6:                               ;   in Loop: Header=BB22_7 Depth=1
	s_or_b32 exec_lo, exec_lo, s2
	v_add_co_u32 v7, vcc_lo, s27, v3
	v_add_nc_u32_e32 v3, s29, v3
	v_add_co_ci_u32_e32 v8, vcc_lo, s28, v4, vcc_lo
	s_delay_alu instid0(VALU_DEP_2) | instskip(SKIP_2) | instid1(SALU_CYCLE_1)
	v_cmp_le_i32_e32 vcc_lo, s8, v3
	global_store_b8 v[7:8], v6, off
	s_or_b32 s30, vcc_lo, s30
	s_and_not1_b32 exec_lo, exec_lo, s30
	s_cbranch_execz .LBB22_25
.LBB22_7:                               ; =>This Inner Loop Header: Depth=1
	v_ashrrev_i32_e32 v4, 31, v3
	s_mov_b32 s2, exec_lo
	v_mov_b32_e32 v11, v2
	s_delay_alu instid0(VALU_DEP_2) | instskip(NEXT) | instid1(VALU_DEP_1)
	v_lshlrev_b64 v[5:6], 2, v[3:4]
	v_add_co_u32 v5, vcc_lo, s25, v5
	s_delay_alu instid0(VALU_DEP_2) | instskip(SKIP_3) | instid1(VALU_DEP_1)
	v_add_co_ci_u32_e32 v6, vcc_lo, s26, v6, vcc_lo
	global_load_b32 v1, v[5:6], off
	s_waitcnt vmcnt(0) lgkmcnt(0)
	v_div_scale_f32 v5, null, s6, s6, v1
	v_rcp_f32_e32 v6, v5
	s_waitcnt_depctr 0xfff
	v_fma_f32 v7, -v5, v6, 1.0
	s_delay_alu instid0(VALU_DEP_1) | instskip(SKIP_1) | instid1(VALU_DEP_1)
	v_fmac_f32_e32 v6, v7, v6
	v_div_scale_f32 v7, vcc_lo, v1, s6, v1
	v_mul_f32_e32 v8, v7, v6
	s_delay_alu instid0(VALU_DEP_1) | instskip(NEXT) | instid1(VALU_DEP_1)
	v_fma_f32 v9, -v5, v8, v7
	v_fmac_f32_e32 v8, v9, v6
	s_delay_alu instid0(VALU_DEP_1) | instskip(NEXT) | instid1(VALU_DEP_1)
	v_fma_f32 v5, -v5, v8, v7
	v_div_fmas_f32 v5, v5, v6, v8
	s_delay_alu instid0(VALU_DEP_1) | instskip(NEXT) | instid1(VALU_DEP_1)
	v_div_fixup_f32 v5, v5, s6, v1
	v_and_b32_e32 v1, 0x7fffff, v5
	v_lshrrev_b32_e32 v7, 24, v5
	v_and_b32_e32 v10, 0x7f800000, v5
	s_delay_alu instid0(VALU_DEP_2) | instskip(NEXT) | instid1(VALU_DEP_1)
	v_and_b32_e32 v9, 0x80, v7
	v_or_b32_e32 v6, 0x7e, v9
	s_delay_alu instid0(VALU_DEP_3)
	v_cmpx_ne_u64_e32 0x7f800000, v[10:11]
	s_xor_b32 s31, exec_lo, s2
	s_cbranch_execz .LBB22_23
; %bb.8:                                ;   in Loop: Header=BB22_7 Depth=1
	v_dual_mov_b32 v8, v2 :: v_dual_and_b32 v7, 0x7fffffff, v5
	s_mov_b32 s2, exec_lo
	s_delay_alu instid0(VALU_DEP_1)
	v_cmpx_gt_u64_e32 0x43e00001, v[7:8]
	s_xor_b32 s33, exec_lo, s2
	s_cbranch_execz .LBB22_22
; %bb.9:                                ;   in Loop: Header=BB22_7 Depth=1
	v_mov_b32_e32 v6, 0
	s_mov_b32 s34, exec_lo
	v_cmpx_ne_u32_e32 0, v5
	s_cbranch_execz .LBB22_21
; %bb.10:                               ;   in Loop: Header=BB22_7 Depth=1
	v_bfe_u32 v10, v5, 23, 8
	v_or_b32_e32 v7, 0x800000, v1
	s_delay_alu instid0(VALU_DEP_2) | instskip(SKIP_1) | instid1(VALU_DEP_2)
	v_sub_nc_u32_e32 v5, 0x79, v10
	v_cmp_gt_u32_e32 vcc_lo, 0x7a, v10
	v_cndmask_b32_e32 v5, 0, v5, vcc_lo
	v_cmp_eq_u32_e32 vcc_lo, 0, v10
	s_delay_alu instid0(VALU_DEP_2) | instskip(SKIP_1) | instid1(VALU_DEP_2)
	v_cndmask_b32_e64 v11, v5, 0x78, vcc_lo
	v_cndmask_b32_e32 v1, v7, v1, vcc_lo
	v_add_nc_u32_e32 v5, 20, v11
	v_add_nc_u32_e32 v7, 19, v11
	s_delay_alu instid0(VALU_DEP_2) | instskip(NEXT) | instid1(VALU_DEP_2)
	v_lshlrev_b64 v[5:6], v5, -1
	v_lshlrev_b64 v[7:8], v7, 1
	s_delay_alu instid0(VALU_DEP_2) | instskip(NEXT) | instid1(VALU_DEP_3)
	v_not_b32_e32 v6, v6
	v_not_b32_e32 v5, v5
	s_delay_alu instid0(VALU_DEP_2) | instskip(NEXT) | instid1(VALU_DEP_2)
	v_and_b32_e32 v13, 0, v6
	v_and_b32_e32 v12, v1, v5
	v_lshrrev_b64 v[5:6], v11, v[1:2]
	s_delay_alu instid0(VALU_DEP_2) | instskip(NEXT) | instid1(VALU_DEP_2)
	v_cmp_eq_u64_e64 s2, v[12:13], v[7:8]
	v_dual_mov_b32 v8, v6 :: v_dual_mov_b32 v7, v5
	s_delay_alu instid0(VALU_DEP_2)
	s_and_saveexec_b32 s35, s2
; %bb.11:                               ;   in Loop: Header=BB22_7 Depth=1
	v_bfe_u32 v1, v5, 20, 1
	s_delay_alu instid0(VALU_DEP_1) | instskip(NEXT) | instid1(VALU_DEP_1)
	v_add_co_u32 v1, s2, v5, v1
	v_add_co_u32 v7, s2, v1, -1
; %bb.12:                               ;   in Loop: Header=BB22_7 Depth=1
	s_or_b32 exec_lo, exec_lo, s35
	v_add_nc_u32_e32 v1, 0xffffff81, v10
	v_lshrrev_b32_e32 v8, 23, v5
	s_mov_b32 s2, exec_lo
	s_delay_alu instid0(VALU_DEP_2) | instskip(NEXT) | instid1(VALU_DEP_1)
	v_cndmask_b32_e64 v1, v1, 0xffffff82, vcc_lo
	v_add3_u32 v8, v11, v1, v8
	v_and_b32_e32 v1, 0xfffff, v7
	s_delay_alu instid0(VALU_DEP_2) | instskip(NEXT) | instid1(VALU_DEP_2)
	v_add_nc_u32_e32 v7, 6, v8
	v_add_co_u32 v5, vcc_lo, v1, v5
	v_add_co_ci_u32_e32 v6, vcc_lo, 0, v6, vcc_lo
                                        ; implicit-def: $vgpr1
	s_delay_alu instid0(VALU_DEP_3)
	v_cmpx_ne_u32_e32 0, v7
	s_xor_b32 s2, exec_lo, s2
; %bb.13:                               ;   in Loop: Header=BB22_7 Depth=1
	s_delay_alu instid0(VALU_DEP_2) | instskip(SKIP_1) | instid1(VALU_DEP_1)
	v_cmp_lt_u64_e32 vcc_lo, 0xffffff, v[5:6]
	v_add_nc_u32_e32 v1, 7, v8
	v_cndmask_b32_e32 v1, v7, v1, vcc_lo
	v_cndmask_b32_e64 v7, 0, 1, vcc_lo
	s_delay_alu instid0(VALU_DEP_1)
	v_lshrrev_b64 v[5:6], v7, v[5:6]
; %bb.14:                               ;   in Loop: Header=BB22_7 Depth=1
	s_and_not1_saveexec_b32 s2, s2
; %bb.15:                               ;   in Loop: Header=BB22_7 Depth=1
	s_delay_alu instid0(VALU_DEP_1)
	v_bfe_u32 v1, v5, 23, 1
; %bb.16:                               ;   in Loop: Header=BB22_7 Depth=1
	s_or_b32 exec_lo, exec_lo, s2
	s_delay_alu instid0(VALU_DEP_2) | instskip(NEXT) | instid1(VALU_DEP_2)
	v_lshrrev_b64 v[5:6], 20, v[5:6]
	v_cmp_gt_i32_e32 vcc_lo, 16, v1
	v_cmp_ne_u32_e64 s2, 0, v1
	s_delay_alu instid0(VALU_DEP_3) | instskip(NEXT) | instid1(VALU_DEP_1)
	v_dual_cndmask_b32 v6, 0, v6 :: v_dual_cndmask_b32 v5, 7, v5
	v_cmp_ne_u64_e32 vcc_lo, 0, v[5:6]
                                        ; implicit-def: $vgpr6
	s_delay_alu instid0(VALU_DEP_3) | instskip(NEXT) | instid1(SALU_CYCLE_1)
	s_or_b32 s2, s2, vcc_lo
	s_and_saveexec_b32 s35, s2
	s_delay_alu instid0(SALU_CYCLE_1)
	s_xor_b32 s2, exec_lo, s35
; %bb.17:                               ;   in Loop: Header=BB22_7 Depth=1
	v_min_i32_e32 v1, 15, v1
	s_delay_alu instid0(VALU_DEP_1) | instskip(NEXT) | instid1(VALU_DEP_1)
	v_lshl_or_b32 v1, v1, 3, v9
                                        ; implicit-def: $vgpr9
	v_and_or_b32 v6, v5, 7, v1
; %bb.18:                               ;   in Loop: Header=BB22_7 Depth=1
	s_and_not1_saveexec_b32 s2, s2
; %bb.19:                               ;   in Loop: Header=BB22_7 Depth=1
	v_mov_b32_e32 v6, v9
; %bb.20:                               ;   in Loop: Header=BB22_7 Depth=1
	s_or_b32 exec_lo, exec_lo, s2
.LBB22_21:                              ;   in Loop: Header=BB22_7 Depth=1
	s_delay_alu instid0(SALU_CYCLE_1)
	s_or_b32 exec_lo, exec_lo, s34
.LBB22_22:                              ;   in Loop: Header=BB22_7 Depth=1
	s_and_not1_saveexec_b32 s2, s33
	s_delay_alu instid0(SALU_CYCLE_1)
	s_or_b32 exec_lo, exec_lo, s2
                                        ; implicit-def: $vgpr7
.LBB22_23:                              ;   in Loop: Header=BB22_7 Depth=1
	s_and_not1_saveexec_b32 s2, s31
	s_cbranch_execz .LBB22_6
; %bb.24:                               ;   in Loop: Header=BB22_7 Depth=1
	v_cmp_eq_u64_e32 vcc_lo, 0, v[1:2]
	v_or_b32_e32 v5, 0x7f, v7
	s_delay_alu instid0(VALU_DEP_1)
	v_cndmask_b32_e32 v6, v5, v6, vcc_lo
	s_branch .LBB22_6
.LBB22_25:
	s_or_b32 exec_lo, exec_lo, s24
	s_delay_alu instid0(SALU_CYCLE_1)
	s_mov_b32 s2, exec_lo
	v_cmpx_gt_i32_e64 s9, v0
	s_cbranch_execz .LBB22_46
; %bb.26:
	s_load_b32 s0, s[0:1], 0x54
	s_ashr_i32 s2, s7, 31
	s_waitcnt lgkmcnt(0)
	s_load_b32 s1, s[20:21], 0x0
	s_mul_hi_u32 s24, s7, s12
	s_mul_i32 s2, s2, s12
	s_mul_i32 s6, s7, s12
	s_add_i32 s7, s24, s2
	s_ashr_i32 s2, s4, 31
	s_ashr_i32 s4, s5, 31
	s_mul_i32 s2, s16, s2
	s_mul_i32 s11, s11, s4
	s_add_i32 s2, s22, s2
	s_add_i32 s4, s23, s11
	;; [unrolled: 1-line block ×4, first 2 shown]
	s_lshl_b64 s[4:5], s[6:7], 2
	s_ashr_i32 s6, s8, 31
	s_add_u32 s2, s18, s4
	s_addc_u32 s4, s19, s5
	s_add_u32 s3, s14, s3
	s_addc_u32 s5, s15, s11
	s_add_u32 s3, s3, s10
	v_mov_b32_e32 v3, 0
	s_addc_u32 s5, s5, s12
	s_add_u32 s3, s3, s8
	s_addc_u32 s5, s5, s6
	s_and_b32 s6, s0, 0xffff
	s_mov_b32 s7, 0
	s_branch .LBB22_28
.LBB22_27:                              ;   in Loop: Header=BB22_28 Depth=1
	s_or_b32 exec_lo, exec_lo, s0
	v_add_co_u32 v6, vcc_lo, s3, v0
	v_add_nc_u32_e32 v0, s6, v0
	v_add_co_ci_u32_e32 v7, vcc_lo, s5, v1, vcc_lo
	s_delay_alu instid0(VALU_DEP_2) | instskip(SKIP_2) | instid1(SALU_CYCLE_1)
	v_cmp_le_i32_e32 vcc_lo, s9, v0
	global_store_b8 v[6:7], v5, off
	s_or_b32 s7, vcc_lo, s7
	s_and_not1_b32 exec_lo, exec_lo, s7
	s_cbranch_execz .LBB22_46
.LBB22_28:                              ; =>This Inner Loop Header: Depth=1
	v_ashrrev_i32_e32 v1, 31, v0
	s_mov_b32 s0, exec_lo
	v_mov_b32_e32 v10, v3
	s_delay_alu instid0(VALU_DEP_2) | instskip(NEXT) | instid1(VALU_DEP_1)
	v_lshlrev_b64 v[4:5], 2, v[0:1]
	v_add_co_u32 v4, vcc_lo, s2, v4
	s_delay_alu instid0(VALU_DEP_2) | instskip(SKIP_3) | instid1(VALU_DEP_1)
	v_add_co_ci_u32_e32 v5, vcc_lo, s4, v5, vcc_lo
	global_load_b32 v2, v[4:5], off
	s_waitcnt vmcnt(0) lgkmcnt(0)
	v_div_scale_f32 v4, null, s1, s1, v2
	v_rcp_f32_e32 v5, v4
	s_waitcnt_depctr 0xfff
	v_fma_f32 v6, -v4, v5, 1.0
	s_delay_alu instid0(VALU_DEP_1) | instskip(SKIP_1) | instid1(VALU_DEP_1)
	v_fmac_f32_e32 v5, v6, v5
	v_div_scale_f32 v6, vcc_lo, v2, s1, v2
	v_mul_f32_e32 v7, v6, v5
	s_delay_alu instid0(VALU_DEP_1) | instskip(NEXT) | instid1(VALU_DEP_1)
	v_fma_f32 v8, -v4, v7, v6
	v_fmac_f32_e32 v7, v8, v5
	s_delay_alu instid0(VALU_DEP_1) | instskip(NEXT) | instid1(VALU_DEP_1)
	v_fma_f32 v4, -v4, v7, v6
	v_div_fmas_f32 v4, v4, v5, v7
	s_delay_alu instid0(VALU_DEP_1) | instskip(NEXT) | instid1(VALU_DEP_1)
	v_div_fixup_f32 v4, v4, s1, v2
	v_and_b32_e32 v2, 0x7fffff, v4
	v_lshrrev_b32_e32 v6, 24, v4
	v_and_b32_e32 v9, 0x7f800000, v4
	s_delay_alu instid0(VALU_DEP_2) | instskip(NEXT) | instid1(VALU_DEP_1)
	v_and_b32_e32 v8, 0x80, v6
	v_or_b32_e32 v5, 0x7e, v8
	s_delay_alu instid0(VALU_DEP_3)
	v_cmpx_ne_u64_e32 0x7f800000, v[9:10]
	s_xor_b32 s8, exec_lo, s0
	s_cbranch_execz .LBB22_44
; %bb.29:                               ;   in Loop: Header=BB22_28 Depth=1
	v_dual_mov_b32 v7, v3 :: v_dual_and_b32 v6, 0x7fffffff, v4
	s_mov_b32 s0, exec_lo
	s_delay_alu instid0(VALU_DEP_1)
	v_cmpx_gt_u64_e32 0x43e00001, v[6:7]
	s_xor_b32 s10, exec_lo, s0
	s_cbranch_execz .LBB22_43
; %bb.30:                               ;   in Loop: Header=BB22_28 Depth=1
	v_mov_b32_e32 v5, 0
	s_mov_b32 s11, exec_lo
	v_cmpx_ne_u32_e32 0, v4
	s_cbranch_execz .LBB22_42
; %bb.31:                               ;   in Loop: Header=BB22_28 Depth=1
	v_bfe_u32 v9, v4, 23, 8
	v_or_b32_e32 v6, 0x800000, v2
	s_delay_alu instid0(VALU_DEP_2) | instskip(SKIP_1) | instid1(VALU_DEP_2)
	v_sub_nc_u32_e32 v4, 0x79, v9
	v_cmp_gt_u32_e32 vcc_lo, 0x7a, v9
	v_cndmask_b32_e32 v4, 0, v4, vcc_lo
	v_cmp_eq_u32_e32 vcc_lo, 0, v9
	s_delay_alu instid0(VALU_DEP_2) | instskip(SKIP_1) | instid1(VALU_DEP_2)
	v_cndmask_b32_e64 v10, v4, 0x78, vcc_lo
	v_cndmask_b32_e32 v2, v6, v2, vcc_lo
	v_add_nc_u32_e32 v4, 20, v10
	v_add_nc_u32_e32 v6, 19, v10
	s_delay_alu instid0(VALU_DEP_2) | instskip(NEXT) | instid1(VALU_DEP_2)
	v_lshlrev_b64 v[4:5], v4, -1
	v_lshlrev_b64 v[6:7], v6, 1
	s_delay_alu instid0(VALU_DEP_2) | instskip(NEXT) | instid1(VALU_DEP_3)
	v_not_b32_e32 v5, v5
	v_not_b32_e32 v4, v4
	s_delay_alu instid0(VALU_DEP_2) | instskip(NEXT) | instid1(VALU_DEP_2)
	v_and_b32_e32 v12, 0, v5
	v_and_b32_e32 v11, v2, v4
	v_lshrrev_b64 v[4:5], v10, v[2:3]
	s_delay_alu instid0(VALU_DEP_2) | instskip(NEXT) | instid1(VALU_DEP_2)
	v_cmp_eq_u64_e64 s0, v[11:12], v[6:7]
	v_dual_mov_b32 v7, v5 :: v_dual_mov_b32 v6, v4
	s_delay_alu instid0(VALU_DEP_2)
	s_and_saveexec_b32 s12, s0
; %bb.32:                               ;   in Loop: Header=BB22_28 Depth=1
	v_bfe_u32 v2, v4, 20, 1
	s_delay_alu instid0(VALU_DEP_1) | instskip(NEXT) | instid1(VALU_DEP_1)
	v_add_co_u32 v2, s0, v4, v2
	v_add_co_u32 v6, s0, v2, -1
; %bb.33:                               ;   in Loop: Header=BB22_28 Depth=1
	s_or_b32 exec_lo, exec_lo, s12
	v_add_nc_u32_e32 v2, 0xffffff81, v9
	v_lshrrev_b32_e32 v7, 23, v4
	s_mov_b32 s0, exec_lo
	s_delay_alu instid0(VALU_DEP_2) | instskip(NEXT) | instid1(VALU_DEP_1)
	v_cndmask_b32_e64 v2, v2, 0xffffff82, vcc_lo
	v_add3_u32 v7, v10, v2, v7
	v_and_b32_e32 v2, 0xfffff, v6
	s_delay_alu instid0(VALU_DEP_2) | instskip(NEXT) | instid1(VALU_DEP_2)
	v_add_nc_u32_e32 v6, 6, v7
	v_add_co_u32 v4, vcc_lo, v2, v4
	v_add_co_ci_u32_e32 v5, vcc_lo, 0, v5, vcc_lo
                                        ; implicit-def: $vgpr2
	s_delay_alu instid0(VALU_DEP_3)
	v_cmpx_ne_u32_e32 0, v6
	s_xor_b32 s0, exec_lo, s0
; %bb.34:                               ;   in Loop: Header=BB22_28 Depth=1
	s_delay_alu instid0(VALU_DEP_2) | instskip(SKIP_1) | instid1(VALU_DEP_1)
	v_cmp_lt_u64_e32 vcc_lo, 0xffffff, v[4:5]
	v_add_nc_u32_e32 v2, 7, v7
	v_cndmask_b32_e32 v2, v6, v2, vcc_lo
	v_cndmask_b32_e64 v6, 0, 1, vcc_lo
	s_delay_alu instid0(VALU_DEP_1)
	v_lshrrev_b64 v[4:5], v6, v[4:5]
; %bb.35:                               ;   in Loop: Header=BB22_28 Depth=1
	s_and_not1_saveexec_b32 s0, s0
; %bb.36:                               ;   in Loop: Header=BB22_28 Depth=1
	s_delay_alu instid0(VALU_DEP_1)
	v_bfe_u32 v2, v4, 23, 1
; %bb.37:                               ;   in Loop: Header=BB22_28 Depth=1
	s_or_b32 exec_lo, exec_lo, s0
	s_delay_alu instid0(VALU_DEP_2) | instskip(NEXT) | instid1(VALU_DEP_2)
	v_lshrrev_b64 v[4:5], 20, v[4:5]
	v_cmp_gt_i32_e32 vcc_lo, 16, v2
	v_cmp_ne_u32_e64 s0, 0, v2
	s_delay_alu instid0(VALU_DEP_3) | instskip(NEXT) | instid1(VALU_DEP_1)
	v_dual_cndmask_b32 v5, 0, v5 :: v_dual_cndmask_b32 v4, 7, v4
	v_cmp_ne_u64_e32 vcc_lo, 0, v[4:5]
                                        ; implicit-def: $vgpr5
	s_delay_alu instid0(VALU_DEP_3) | instskip(NEXT) | instid1(SALU_CYCLE_1)
	s_or_b32 s0, s0, vcc_lo
	s_and_saveexec_b32 s12, s0
	s_delay_alu instid0(SALU_CYCLE_1)
	s_xor_b32 s0, exec_lo, s12
; %bb.38:                               ;   in Loop: Header=BB22_28 Depth=1
	v_min_i32_e32 v2, 15, v2
	s_delay_alu instid0(VALU_DEP_1) | instskip(NEXT) | instid1(VALU_DEP_1)
	v_lshl_or_b32 v2, v2, 3, v8
                                        ; implicit-def: $vgpr8
	v_and_or_b32 v5, v4, 7, v2
; %bb.39:                               ;   in Loop: Header=BB22_28 Depth=1
	s_and_not1_saveexec_b32 s0, s0
; %bb.40:                               ;   in Loop: Header=BB22_28 Depth=1
	v_mov_b32_e32 v5, v8
; %bb.41:                               ;   in Loop: Header=BB22_28 Depth=1
	s_or_b32 exec_lo, exec_lo, s0
.LBB22_42:                              ;   in Loop: Header=BB22_28 Depth=1
	s_delay_alu instid0(SALU_CYCLE_1)
	s_or_b32 exec_lo, exec_lo, s11
.LBB22_43:                              ;   in Loop: Header=BB22_28 Depth=1
	s_and_not1_saveexec_b32 s0, s10
	s_delay_alu instid0(SALU_CYCLE_1)
	s_or_b32 exec_lo, exec_lo, s0
                                        ; implicit-def: $vgpr6
.LBB22_44:                              ;   in Loop: Header=BB22_28 Depth=1
	s_and_not1_saveexec_b32 s0, s8
	s_cbranch_execz .LBB22_27
; %bb.45:                               ;   in Loop: Header=BB22_28 Depth=1
	v_cmp_eq_u64_e32 vcc_lo, 0, v[2:3]
	v_or_b32_e32 v4, 0x7f, v6
	s_delay_alu instid0(VALU_DEP_1)
	v_cndmask_b32_e32 v5, v4, v5, vcc_lo
	s_branch .LBB22_27
.LBB22_46:
	s_nop 0
	s_sendmsg sendmsg(MSG_DEALLOC_VGPRS)
	s_endpgm
.LBB22_47:
                                        ; implicit-def: $sgpr16_sgpr17
	s_load_b64 s[14:15], s[0:1], 0x10
	s_branch .LBB22_3
	.section	.rodata,"a",@progbits
	.p2align	6, 0x0
	.amdhsa_kernel _ZN4vllm27concat_and_cache_mla_kernelIfhLNS_18Fp8KVCacheDataTypeE1EEEvPKT_S4_PT0_PKliiiiiiiPKf
		.amdhsa_group_segment_fixed_size 0
		.amdhsa_private_segment_fixed_size 0
		.amdhsa_kernarg_size 328
		.amdhsa_user_sgpr_count 15
		.amdhsa_user_sgpr_dispatch_ptr 0
		.amdhsa_user_sgpr_queue_ptr 0
		.amdhsa_user_sgpr_kernarg_segment_ptr 1
		.amdhsa_user_sgpr_dispatch_id 0
		.amdhsa_user_sgpr_private_segment_size 0
		.amdhsa_wavefront_size32 1
		.amdhsa_uses_dynamic_stack 0
		.amdhsa_enable_private_segment 0
		.amdhsa_system_sgpr_workgroup_id_x 1
		.amdhsa_system_sgpr_workgroup_id_y 0
		.amdhsa_system_sgpr_workgroup_id_z 0
		.amdhsa_system_sgpr_workgroup_info 0
		.amdhsa_system_vgpr_workitem_id 0
		.amdhsa_next_free_vgpr 14
		.amdhsa_next_free_sgpr 36
		.amdhsa_reserve_vcc 1
		.amdhsa_float_round_mode_32 0
		.amdhsa_float_round_mode_16_64 0
		.amdhsa_float_denorm_mode_32 3
		.amdhsa_float_denorm_mode_16_64 3
		.amdhsa_dx10_clamp 1
		.amdhsa_ieee_mode 1
		.amdhsa_fp16_overflow 0
		.amdhsa_workgroup_processor_mode 1
		.amdhsa_memory_ordered 1
		.amdhsa_forward_progress 0
		.amdhsa_shared_vgpr_count 0
		.amdhsa_exception_fp_ieee_invalid_op 0
		.amdhsa_exception_fp_denorm_src 0
		.amdhsa_exception_fp_ieee_div_zero 0
		.amdhsa_exception_fp_ieee_overflow 0
		.amdhsa_exception_fp_ieee_underflow 0
		.amdhsa_exception_fp_ieee_inexact 0
		.amdhsa_exception_int_div_zero 0
	.end_amdhsa_kernel
	.section	.text._ZN4vllm27concat_and_cache_mla_kernelIfhLNS_18Fp8KVCacheDataTypeE1EEEvPKT_S4_PT0_PKliiiiiiiPKf,"axG",@progbits,_ZN4vllm27concat_and_cache_mla_kernelIfhLNS_18Fp8KVCacheDataTypeE1EEEvPKT_S4_PT0_PKliiiiiiiPKf,comdat
.Lfunc_end22:
	.size	_ZN4vllm27concat_and_cache_mla_kernelIfhLNS_18Fp8KVCacheDataTypeE1EEEvPKT_S4_PT0_PKliiiiiiiPKf, .Lfunc_end22-_ZN4vllm27concat_and_cache_mla_kernelIfhLNS_18Fp8KVCacheDataTypeE1EEEvPKT_S4_PT0_PKliiiiiiiPKf
                                        ; -- End function
	.section	.AMDGPU.csdata,"",@progbits
; Kernel info:
; codeLenInByte = 2800
; NumSgprs: 38
; NumVgprs: 14
; ScratchSize: 0
; MemoryBound: 0
; FloatMode: 240
; IeeeMode: 1
; LDSByteSize: 0 bytes/workgroup (compile time only)
; SGPRBlocks: 4
; VGPRBlocks: 1
; NumSGPRsForWavesPerEU: 38
; NumVGPRsForWavesPerEU: 14
; Occupancy: 16
; WaveLimiterHint : 0
; COMPUTE_PGM_RSRC2:SCRATCH_EN: 0
; COMPUTE_PGM_RSRC2:USER_SGPR: 15
; COMPUTE_PGM_RSRC2:TRAP_HANDLER: 0
; COMPUTE_PGM_RSRC2:TGID_X_EN: 1
; COMPUTE_PGM_RSRC2:TGID_Y_EN: 0
; COMPUTE_PGM_RSRC2:TGID_Z_EN: 0
; COMPUTE_PGM_RSRC2:TIDIG_COMP_CNT: 0
	.section	.text._ZN4vllm27concat_and_cache_mla_kernelIthLNS_18Fp8KVCacheDataTypeE1EEEvPKT_S4_PT0_PKliiiiiiiPKf,"axG",@progbits,_ZN4vllm27concat_and_cache_mla_kernelIthLNS_18Fp8KVCacheDataTypeE1EEEvPKT_S4_PT0_PKliiiiiiiPKf,comdat
	.protected	_ZN4vllm27concat_and_cache_mla_kernelIthLNS_18Fp8KVCacheDataTypeE1EEEvPKT_S4_PT0_PKliiiiiiiPKf ; -- Begin function _ZN4vllm27concat_and_cache_mla_kernelIthLNS_18Fp8KVCacheDataTypeE1EEEvPKT_S4_PT0_PKliiiiiiiPKf
	.globl	_ZN4vllm27concat_and_cache_mla_kernelIthLNS_18Fp8KVCacheDataTypeE1EEEvPKT_S4_PT0_PKliiiiiiiPKf
	.p2align	8
	.type	_ZN4vllm27concat_and_cache_mla_kernelIthLNS_18Fp8KVCacheDataTypeE1EEEvPKT_S4_PT0_PKliiiiiiiPKf,@function
_ZN4vllm27concat_and_cache_mla_kernelIthLNS_18Fp8KVCacheDataTypeE1EEEvPKT_S4_PT0_PKliiiiiiiPKf: ; @_ZN4vllm27concat_and_cache_mla_kernelIthLNS_18Fp8KVCacheDataTypeE1EEEvPKT_S4_PT0_PKliiiiiiiPKf
; %bb.0:
	s_load_b64 s[2:3], s[0:1], 0x18
	s_mov_b32 s12, s15
	s_mov_b32 s13, 0
	s_delay_alu instid0(SALU_CYCLE_1)
	s_lshl_b64 s[4:5], s[12:13], 3
	s_waitcnt lgkmcnt(0)
	s_add_u32 s2, s2, s4
	s_addc_u32 s3, s3, s5
	s_load_b64 s[2:3], s[2:3], 0x0
	s_waitcnt lgkmcnt(0)
	v_cmp_lt_i64_e64 s4, s[2:3], 0
	s_delay_alu instid0(VALU_DEP_1)
	s_and_b32 vcc_lo, exec_lo, s4
	s_cbranch_vccnz .LBB23_46
; %bb.1:
	s_load_b256 s[4:11], s[0:1], 0x20
	s_waitcnt lgkmcnt(0)
	s_ashr_i32 s11, s10, 31
	s_delay_alu instid0(SALU_CYCLE_1) | instskip(SKIP_1) | instid1(SALU_CYCLE_1)
	s_or_b64 s[14:15], s[2:3], s[10:11]
	s_mov_b32 s14, s13
	s_cmp_lg_u64 s[14:15], 0
	s_cbranch_scc0 .LBB23_47
; %bb.2:
	s_add_u32 s16, s10, s11
	s_mov_b32 s14, s11
	s_mov_b32 s15, s11
	s_addc_u32 s17, s11, s11
	s_delay_alu instid0(SALU_CYCLE_1) | instskip(NEXT) | instid1(SALU_CYCLE_1)
	s_xor_b64 s[16:17], s[16:17], s[14:15]
	v_cvt_f32_u32_e32 v1, s16
	v_cvt_f32_u32_e32 v2, s17
	s_sub_u32 s19, 0, s16
	s_subb_u32 s20, 0, s17
	s_delay_alu instid0(VALU_DEP_1) | instskip(NEXT) | instid1(VALU_DEP_1)
	v_fmamk_f32 v1, v2, 0x4f800000, v1
	v_rcp_f32_e32 v1, v1
	s_waitcnt_depctr 0xfff
	v_mul_f32_e32 v1, 0x5f7ffffc, v1
	s_delay_alu instid0(VALU_DEP_1) | instskip(NEXT) | instid1(VALU_DEP_1)
	v_mul_f32_e32 v2, 0x2f800000, v1
	v_trunc_f32_e32 v2, v2
	s_delay_alu instid0(VALU_DEP_1) | instskip(SKIP_1) | instid1(VALU_DEP_2)
	v_fmamk_f32 v1, v2, 0xcf800000, v1
	v_cvt_u32_f32_e32 v2, v2
	v_cvt_u32_f32_e32 v1, v1
	s_delay_alu instid0(VALU_DEP_2) | instskip(NEXT) | instid1(VALU_DEP_2)
	v_readfirstlane_b32 s13, v2
	v_readfirstlane_b32 s18, v1
	s_delay_alu instid0(VALU_DEP_2) | instskip(NEXT) | instid1(VALU_DEP_1)
	s_mul_i32 s21, s19, s13
	s_mul_hi_u32 s23, s19, s18
	s_mul_i32 s22, s20, s18
	s_add_i32 s21, s23, s21
	s_mul_i32 s24, s19, s18
	s_add_i32 s21, s21, s22
	s_mul_hi_u32 s23, s18, s24
	s_mul_hi_u32 s25, s13, s24
	s_mul_i32 s22, s13, s24
	s_mul_hi_u32 s24, s18, s21
	s_mul_i32 s18, s18, s21
	s_mul_hi_u32 s26, s13, s21
	s_add_u32 s18, s23, s18
	s_addc_u32 s23, 0, s24
	s_add_u32 s18, s18, s22
	s_mul_i32 s21, s13, s21
	s_addc_u32 s18, s23, s25
	s_addc_u32 s22, s26, 0
	s_add_u32 s18, s18, s21
	s_addc_u32 s21, 0, s22
	v_add_co_u32 v1, s18, v1, s18
	s_delay_alu instid0(VALU_DEP_1) | instskip(SKIP_1) | instid1(VALU_DEP_1)
	s_cmp_lg_u32 s18, 0
	s_addc_u32 s13, s13, s21
	v_readfirstlane_b32 s18, v1
	s_mul_i32 s21, s19, s13
	s_delay_alu instid0(VALU_DEP_1)
	s_mul_hi_u32 s22, s19, s18
	s_mul_i32 s20, s20, s18
	s_add_i32 s21, s22, s21
	s_mul_i32 s19, s19, s18
	s_add_i32 s21, s21, s20
	s_mul_hi_u32 s22, s13, s19
	s_mul_i32 s23, s13, s19
	s_mul_hi_u32 s19, s18, s19
	s_mul_hi_u32 s24, s18, s21
	s_mul_i32 s18, s18, s21
	s_mul_hi_u32 s20, s13, s21
	s_add_u32 s18, s19, s18
	s_addc_u32 s19, 0, s24
	s_add_u32 s18, s18, s23
	s_mul_i32 s21, s13, s21
	s_addc_u32 s18, s19, s22
	s_addc_u32 s19, s20, 0
	s_add_u32 s18, s18, s21
	s_addc_u32 s19, 0, s19
	v_add_co_u32 v1, s18, v1, s18
	s_delay_alu instid0(VALU_DEP_1) | instskip(SKIP_2) | instid1(VALU_DEP_1)
	s_cmp_lg_u32 s18, 0
	s_addc_u32 s13, s13, s19
	s_ashr_i32 s18, s3, 31
	v_readfirstlane_b32 s22, v1
	s_add_u32 s20, s2, s18
	s_mov_b32 s19, s18
	s_addc_u32 s21, s3, s18
	s_delay_alu instid0(SALU_CYCLE_1) | instskip(NEXT) | instid1(SALU_CYCLE_1)
	s_xor_b64 s[20:21], s[20:21], s[18:19]
	s_mul_i32 s24, s20, s13
	s_mul_hi_u32 s25, s20, s22
	s_mul_hi_u32 s23, s20, s13
	;; [unrolled: 1-line block ×3, first 2 shown]
	s_mul_i32 s22, s21, s22
	s_add_u32 s24, s25, s24
	s_addc_u32 s23, 0, s23
	s_mul_hi_u32 s26, s21, s13
	s_add_u32 s22, s24, s22
	s_mul_i32 s13, s21, s13
	s_addc_u32 s22, s23, s27
	s_addc_u32 s23, s26, 0
	s_add_u32 s13, s22, s13
	s_addc_u32 s22, 0, s23
	s_mul_i32 s26, s16, s13
	s_mul_hi_u32 s23, s16, s13
	s_mul_i32 s25, s16, s22
	v_sub_co_u32 v1, s20, s20, s26
	s_mul_i32 s24, s17, s13
	s_add_i32 s23, s23, s25
	s_delay_alu instid0(SALU_CYCLE_1) | instskip(NEXT) | instid1(VALU_DEP_1)
	s_add_i32 s23, s23, s24
	v_sub_co_u32 v2, s25, v1, s16
	s_sub_i32 s24, s21, s23
	s_cmp_lg_u32 s20, 0
	s_subb_u32 s24, s24, s17
	s_cmp_lg_u32 s25, 0
	v_readfirstlane_b32 s25, v2
	s_subb_u32 s24, s24, 0
	s_delay_alu instid0(SALU_CYCLE_1) | instskip(SKIP_1) | instid1(VALU_DEP_1)
	s_cmp_ge_u32 s24, s17
	s_cselect_b32 s26, -1, 0
	s_cmp_ge_u32 s25, s16
	s_cselect_b32 s25, -1, 0
	s_cmp_eq_u32 s24, s17
	s_cselect_b32 s24, s25, s26
	s_add_u32 s25, s13, 1
	s_addc_u32 s26, s22, 0
	s_add_u32 s27, s13, 2
	s_addc_u32 s28, s22, 0
	s_cmp_lg_u32 s24, 0
	s_cselect_b32 s24, s27, s25
	s_cselect_b32 s25, s28, s26
	s_cmp_lg_u32 s20, 0
	v_readfirstlane_b32 s20, v1
	s_subb_u32 s21, s21, s23
	s_delay_alu instid0(SALU_CYCLE_1) | instskip(SKIP_1) | instid1(VALU_DEP_1)
	s_cmp_ge_u32 s21, s17
	s_cselect_b32 s23, -1, 0
	s_cmp_ge_u32 s20, s16
	s_cselect_b32 s16, -1, 0
	s_cmp_eq_u32 s21, s17
	s_cselect_b32 s16, s16, s23
	s_delay_alu instid0(SALU_CYCLE_1) | instskip(SKIP_3) | instid1(SALU_CYCLE_1)
	s_cmp_lg_u32 s16, 0
	s_cselect_b32 s17, s25, s22
	s_cselect_b32 s16, s24, s13
	s_xor_b64 s[14:15], s[18:19], s[14:15]
	s_xor_b64 s[16:17], s[16:17], s[14:15]
	s_delay_alu instid0(SALU_CYCLE_1)
	s_sub_u32 s16, s16, s14
	s_subb_u32 s17, s17, s15
	s_load_b64 s[14:15], s[0:1], 0x10
	s_cbranch_execnz .LBB23_4
.LBB23_3:
	v_cvt_f32_u32_e32 v1, s10
	s_sub_i32 s16, 0, s10
	s_delay_alu instid0(VALU_DEP_1) | instskip(SKIP_2) | instid1(VALU_DEP_1)
	v_rcp_iflag_f32_e32 v1, v1
	s_waitcnt_depctr 0xfff
	v_mul_f32_e32 v1, 0x4f7ffffe, v1
	v_cvt_u32_f32_e32 v1, v1
	s_delay_alu instid0(VALU_DEP_1) | instskip(NEXT) | instid1(VALU_DEP_1)
	v_readfirstlane_b32 s13, v1
	s_mul_i32 s16, s16, s13
	s_delay_alu instid0(SALU_CYCLE_1) | instskip(NEXT) | instid1(SALU_CYCLE_1)
	s_mul_hi_u32 s16, s13, s16
	s_add_i32 s13, s13, s16
	s_delay_alu instid0(SALU_CYCLE_1) | instskip(NEXT) | instid1(SALU_CYCLE_1)
	s_mul_hi_u32 s13, s2, s13
	s_mul_i32 s16, s13, s10
	s_add_i32 s17, s13, 1
	s_sub_i32 s16, s2, s16
	s_delay_alu instid0(SALU_CYCLE_1)
	s_sub_i32 s18, s16, s10
	s_cmp_ge_u32 s16, s10
	s_cselect_b32 s13, s17, s13
	s_cselect_b32 s16, s18, s16
	s_add_i32 s18, s13, 1
	s_cmp_ge_u32 s16, s10
	s_mov_b32 s17, 0
	s_cselect_b32 s16, s18, s13
.LBB23_4:
	s_clause 0x1
	s_load_b64 s[18:19], s[0:1], 0x8
	s_load_b64 s[20:21], s[0:1], 0x40
	s_mul_i32 s11, s16, s11
	s_mul_hi_u32 s13, s16, s10
	s_mul_hi_u32 s22, s16, s4
	s_add_i32 s11, s13, s11
	s_mul_i32 s13, s17, s10
	s_mul_i32 s10, s16, s10
	s_add_i32 s13, s11, s13
	s_sub_u32 s11, s2, s10
	s_subb_u32 s2, s3, s13
	s_mul_i32 s13, s17, s4
	s_mul_i32 s3, s16, s4
	s_mul_hi_u32 s23, s11, s5
	s_mul_i32 s17, s2, s5
	s_mul_i32 s10, s11, s5
	s_mov_b32 s24, exec_lo
	v_cmpx_gt_i32_e64 s8, v0
	s_cbranch_execz .LBB23_25
; %bb.5:
	s_clause 0x1
	s_load_b64 s[26:27], s[0:1], 0x0
	s_load_b32 s30, s[0:1], 0x54
	s_ashr_i32 s2, s6, 31
	s_mul_hi_u32 s25, s6, s12
	s_mul_i32 s28, s6, s12
	s_waitcnt lgkmcnt(0)
	s_load_b32 s6, s[20:21], 0x0
	s_ashr_i32 s29, s4, 31
	s_ashr_i32 s31, s5, 31
	s_mul_i32 s2, s2, s12
	s_mul_i32 s33, s16, s29
	s_mul_i32 s31, s11, s31
	s_add_i32 s29, s25, s2
	s_add_i32 s2, s22, s33
	;; [unrolled: 1-line block ×3, first 2 shown]
	s_lshl_b64 s[28:29], s[28:29], 1
	s_add_i32 s2, s2, s13
	s_add_i32 s31, s25, s17
	v_dual_mov_b32 v2, 0 :: v_dual_mov_b32 v3, v0
	s_add_u32 s25, s26, s28
	s_addc_u32 s26, s27, s29
	s_add_u32 s27, s14, s3
	s_addc_u32 s2, s15, s2
	;; [unrolled: 2-line block ×3, first 2 shown]
	s_and_b32 s29, s30, 0xffff
	s_mov_b32 s30, 0
	s_branch .LBB23_7
.LBB23_6:                               ;   in Loop: Header=BB23_7 Depth=1
	s_or_b32 exec_lo, exec_lo, s2
	v_add_co_u32 v7, vcc_lo, s27, v3
	v_add_nc_u32_e32 v3, s29, v3
	v_add_co_ci_u32_e32 v8, vcc_lo, s28, v4, vcc_lo
	s_delay_alu instid0(VALU_DEP_2) | instskip(SKIP_2) | instid1(SALU_CYCLE_1)
	v_cmp_le_i32_e32 vcc_lo, s8, v3
	global_store_b8 v[7:8], v6, off
	s_or_b32 s30, vcc_lo, s30
	s_and_not1_b32 exec_lo, exec_lo, s30
	s_cbranch_execz .LBB23_25
.LBB23_7:                               ; =>This Inner Loop Header: Depth=1
	v_ashrrev_i32_e32 v4, 31, v3
	s_mov_b32 s2, exec_lo
	v_mov_b32_e32 v11, v2
	s_delay_alu instid0(VALU_DEP_2) | instskip(NEXT) | instid1(VALU_DEP_1)
	v_lshlrev_b64 v[5:6], 1, v[3:4]
	v_add_co_u32 v5, vcc_lo, s25, v5
	s_delay_alu instid0(VALU_DEP_2) | instskip(SKIP_4) | instid1(VALU_DEP_1)
	v_add_co_ci_u32_e32 v6, vcc_lo, s26, v6, vcc_lo
	global_load_u16 v1, v[5:6], off
	s_waitcnt vmcnt(0)
	v_cvt_f32_f16_e32 v1, v1
	s_waitcnt lgkmcnt(0)
	v_div_scale_f32 v5, null, s6, s6, v1
	s_delay_alu instid0(VALU_DEP_1) | instskip(SKIP_2) | instid1(VALU_DEP_1)
	v_rcp_f32_e32 v6, v5
	s_waitcnt_depctr 0xfff
	v_fma_f32 v7, -v5, v6, 1.0
	v_fmac_f32_e32 v6, v7, v6
	v_div_scale_f32 v7, vcc_lo, v1, s6, v1
	s_delay_alu instid0(VALU_DEP_1) | instskip(NEXT) | instid1(VALU_DEP_1)
	v_mul_f32_e32 v8, v7, v6
	v_fma_f32 v9, -v5, v8, v7
	s_delay_alu instid0(VALU_DEP_1) | instskip(NEXT) | instid1(VALU_DEP_1)
	v_fmac_f32_e32 v8, v9, v6
	v_fma_f32 v5, -v5, v8, v7
	s_delay_alu instid0(VALU_DEP_1) | instskip(NEXT) | instid1(VALU_DEP_1)
	v_div_fmas_f32 v5, v5, v6, v8
	v_div_fixup_f32 v1, v5, s6, v1
	s_delay_alu instid0(VALU_DEP_1) | instskip(NEXT) | instid1(VALU_DEP_1)
	v_cvt_f16_f32_e32 v1, v1
	v_cvt_f32_f16_e32 v5, v1
	s_delay_alu instid0(VALU_DEP_1) | instskip(SKIP_2) | instid1(VALU_DEP_2)
	v_and_b32_e32 v1, 0x7fffff, v5
	v_lshrrev_b32_e32 v7, 24, v5
	v_and_b32_e32 v10, 0x7f800000, v5
	v_and_b32_e32 v9, 0x80, v7
	s_delay_alu instid0(VALU_DEP_1) | instskip(NEXT) | instid1(VALU_DEP_3)
	v_or_b32_e32 v6, 0x7e, v9
	v_cmpx_ne_u64_e32 0x7f800000, v[10:11]
	s_xor_b32 s31, exec_lo, s2
	s_cbranch_execz .LBB23_23
; %bb.8:                                ;   in Loop: Header=BB23_7 Depth=1
	v_dual_mov_b32 v8, v2 :: v_dual_and_b32 v7, 0x7fffffff, v5
	s_mov_b32 s2, exec_lo
	s_delay_alu instid0(VALU_DEP_1)
	v_cmpx_gt_u64_e32 0x43e00001, v[7:8]
	s_xor_b32 s33, exec_lo, s2
	s_cbranch_execz .LBB23_22
; %bb.9:                                ;   in Loop: Header=BB23_7 Depth=1
	v_mov_b32_e32 v6, 0
	s_mov_b32 s34, exec_lo
	v_cmpx_ne_u32_e32 0, v5
	s_cbranch_execz .LBB23_21
; %bb.10:                               ;   in Loop: Header=BB23_7 Depth=1
	v_bfe_u32 v10, v5, 23, 8
	v_or_b32_e32 v7, 0x800000, v1
	s_delay_alu instid0(VALU_DEP_2) | instskip(SKIP_1) | instid1(VALU_DEP_2)
	v_sub_nc_u32_e32 v5, 0x79, v10
	v_cmp_gt_u32_e32 vcc_lo, 0x7a, v10
	v_cndmask_b32_e32 v5, 0, v5, vcc_lo
	v_cmp_eq_u32_e32 vcc_lo, 0, v10
	s_delay_alu instid0(VALU_DEP_2) | instskip(SKIP_1) | instid1(VALU_DEP_2)
	v_cndmask_b32_e64 v11, v5, 0x78, vcc_lo
	v_cndmask_b32_e32 v1, v7, v1, vcc_lo
	v_add_nc_u32_e32 v5, 20, v11
	v_add_nc_u32_e32 v7, 19, v11
	s_delay_alu instid0(VALU_DEP_2) | instskip(NEXT) | instid1(VALU_DEP_2)
	v_lshlrev_b64 v[5:6], v5, -1
	v_lshlrev_b64 v[7:8], v7, 1
	s_delay_alu instid0(VALU_DEP_2) | instskip(NEXT) | instid1(VALU_DEP_3)
	v_not_b32_e32 v6, v6
	v_not_b32_e32 v5, v5
	s_delay_alu instid0(VALU_DEP_2) | instskip(NEXT) | instid1(VALU_DEP_2)
	v_and_b32_e32 v13, 0, v6
	v_and_b32_e32 v12, v1, v5
	v_lshrrev_b64 v[5:6], v11, v[1:2]
	s_delay_alu instid0(VALU_DEP_2) | instskip(NEXT) | instid1(VALU_DEP_2)
	v_cmp_eq_u64_e64 s2, v[12:13], v[7:8]
	v_dual_mov_b32 v8, v6 :: v_dual_mov_b32 v7, v5
	s_delay_alu instid0(VALU_DEP_2)
	s_and_saveexec_b32 s35, s2
; %bb.11:                               ;   in Loop: Header=BB23_7 Depth=1
	v_bfe_u32 v1, v5, 20, 1
	s_delay_alu instid0(VALU_DEP_1) | instskip(NEXT) | instid1(VALU_DEP_1)
	v_add_co_u32 v1, s2, v5, v1
	v_add_co_u32 v7, s2, v1, -1
; %bb.12:                               ;   in Loop: Header=BB23_7 Depth=1
	s_or_b32 exec_lo, exec_lo, s35
	v_add_nc_u32_e32 v1, 0xffffff81, v10
	v_lshrrev_b32_e32 v8, 23, v5
	s_mov_b32 s2, exec_lo
	s_delay_alu instid0(VALU_DEP_2) | instskip(NEXT) | instid1(VALU_DEP_1)
	v_cndmask_b32_e64 v1, v1, 0xffffff82, vcc_lo
	v_add3_u32 v8, v11, v1, v8
	v_and_b32_e32 v1, 0xfffff, v7
	s_delay_alu instid0(VALU_DEP_2) | instskip(NEXT) | instid1(VALU_DEP_2)
	v_add_nc_u32_e32 v7, 6, v8
	v_add_co_u32 v5, vcc_lo, v1, v5
	v_add_co_ci_u32_e32 v6, vcc_lo, 0, v6, vcc_lo
                                        ; implicit-def: $vgpr1
	s_delay_alu instid0(VALU_DEP_3)
	v_cmpx_ne_u32_e32 0, v7
	s_xor_b32 s2, exec_lo, s2
; %bb.13:                               ;   in Loop: Header=BB23_7 Depth=1
	s_delay_alu instid0(VALU_DEP_2) | instskip(SKIP_1) | instid1(VALU_DEP_1)
	v_cmp_lt_u64_e32 vcc_lo, 0xffffff, v[5:6]
	v_add_nc_u32_e32 v1, 7, v8
	v_cndmask_b32_e32 v1, v7, v1, vcc_lo
	v_cndmask_b32_e64 v7, 0, 1, vcc_lo
	s_delay_alu instid0(VALU_DEP_1)
	v_lshrrev_b64 v[5:6], v7, v[5:6]
; %bb.14:                               ;   in Loop: Header=BB23_7 Depth=1
	s_and_not1_saveexec_b32 s2, s2
; %bb.15:                               ;   in Loop: Header=BB23_7 Depth=1
	s_delay_alu instid0(VALU_DEP_1)
	v_bfe_u32 v1, v5, 23, 1
; %bb.16:                               ;   in Loop: Header=BB23_7 Depth=1
	s_or_b32 exec_lo, exec_lo, s2
	s_delay_alu instid0(VALU_DEP_2) | instskip(NEXT) | instid1(VALU_DEP_2)
	v_lshrrev_b64 v[5:6], 20, v[5:6]
	v_cmp_gt_i32_e32 vcc_lo, 16, v1
	v_cmp_ne_u32_e64 s2, 0, v1
	s_delay_alu instid0(VALU_DEP_3) | instskip(NEXT) | instid1(VALU_DEP_1)
	v_dual_cndmask_b32 v6, 0, v6 :: v_dual_cndmask_b32 v5, 7, v5
	v_cmp_ne_u64_e32 vcc_lo, 0, v[5:6]
                                        ; implicit-def: $vgpr6
	s_delay_alu instid0(VALU_DEP_3) | instskip(NEXT) | instid1(SALU_CYCLE_1)
	s_or_b32 s2, s2, vcc_lo
	s_and_saveexec_b32 s35, s2
	s_delay_alu instid0(SALU_CYCLE_1)
	s_xor_b32 s2, exec_lo, s35
; %bb.17:                               ;   in Loop: Header=BB23_7 Depth=1
	v_min_i32_e32 v1, 15, v1
	s_delay_alu instid0(VALU_DEP_1) | instskip(NEXT) | instid1(VALU_DEP_1)
	v_lshl_or_b32 v1, v1, 3, v9
                                        ; implicit-def: $vgpr9
	v_and_or_b32 v6, v5, 7, v1
; %bb.18:                               ;   in Loop: Header=BB23_7 Depth=1
	s_and_not1_saveexec_b32 s2, s2
; %bb.19:                               ;   in Loop: Header=BB23_7 Depth=1
	v_mov_b32_e32 v6, v9
; %bb.20:                               ;   in Loop: Header=BB23_7 Depth=1
	s_or_b32 exec_lo, exec_lo, s2
.LBB23_21:                              ;   in Loop: Header=BB23_7 Depth=1
	s_delay_alu instid0(SALU_CYCLE_1)
	s_or_b32 exec_lo, exec_lo, s34
.LBB23_22:                              ;   in Loop: Header=BB23_7 Depth=1
	s_and_not1_saveexec_b32 s2, s33
	s_delay_alu instid0(SALU_CYCLE_1)
	s_or_b32 exec_lo, exec_lo, s2
                                        ; implicit-def: $vgpr7
.LBB23_23:                              ;   in Loop: Header=BB23_7 Depth=1
	s_and_not1_saveexec_b32 s2, s31
	s_cbranch_execz .LBB23_6
; %bb.24:                               ;   in Loop: Header=BB23_7 Depth=1
	v_cmp_eq_u64_e32 vcc_lo, 0, v[1:2]
	v_or_b32_e32 v5, 0x7f, v7
	s_delay_alu instid0(VALU_DEP_1)
	v_cndmask_b32_e32 v6, v5, v6, vcc_lo
	s_branch .LBB23_6
.LBB23_25:
	s_or_b32 exec_lo, exec_lo, s24
	s_delay_alu instid0(SALU_CYCLE_1)
	s_mov_b32 s2, exec_lo
	v_cmpx_gt_i32_e64 s9, v0
	s_cbranch_execz .LBB23_46
; %bb.26:
	s_load_b32 s0, s[0:1], 0x54
	s_ashr_i32 s2, s7, 31
	s_waitcnt lgkmcnt(0)
	s_load_b32 s1, s[20:21], 0x0
	s_mul_hi_u32 s24, s7, s12
	s_mul_i32 s2, s2, s12
	s_mul_i32 s6, s7, s12
	s_add_i32 s7, s24, s2
	s_ashr_i32 s2, s4, 31
	s_ashr_i32 s4, s5, 31
	s_mul_i32 s2, s16, s2
	s_mul_i32 s11, s11, s4
	s_add_i32 s2, s22, s2
	s_add_i32 s4, s23, s11
	;; [unrolled: 1-line block ×4, first 2 shown]
	s_lshl_b64 s[4:5], s[6:7], 1
	s_ashr_i32 s6, s8, 31
	s_add_u32 s2, s18, s4
	s_addc_u32 s4, s19, s5
	s_add_u32 s3, s14, s3
	s_addc_u32 s5, s15, s11
	s_add_u32 s3, s3, s10
	v_mov_b32_e32 v3, 0
	s_addc_u32 s5, s5, s12
	s_add_u32 s3, s3, s8
	s_addc_u32 s5, s5, s6
	s_and_b32 s6, s0, 0xffff
	s_mov_b32 s7, 0
	s_branch .LBB23_28
.LBB23_27:                              ;   in Loop: Header=BB23_28 Depth=1
	s_or_b32 exec_lo, exec_lo, s0
	v_add_co_u32 v6, vcc_lo, s3, v0
	v_add_nc_u32_e32 v0, s6, v0
	v_add_co_ci_u32_e32 v7, vcc_lo, s5, v1, vcc_lo
	s_delay_alu instid0(VALU_DEP_2) | instskip(SKIP_2) | instid1(SALU_CYCLE_1)
	v_cmp_le_i32_e32 vcc_lo, s9, v0
	global_store_b8 v[6:7], v5, off
	s_or_b32 s7, vcc_lo, s7
	s_and_not1_b32 exec_lo, exec_lo, s7
	s_cbranch_execz .LBB23_46
.LBB23_28:                              ; =>This Inner Loop Header: Depth=1
	v_ashrrev_i32_e32 v1, 31, v0
	s_mov_b32 s0, exec_lo
	v_mov_b32_e32 v10, v3
	s_delay_alu instid0(VALU_DEP_2) | instskip(NEXT) | instid1(VALU_DEP_1)
	v_lshlrev_b64 v[4:5], 1, v[0:1]
	v_add_co_u32 v4, vcc_lo, s2, v4
	s_delay_alu instid0(VALU_DEP_2) | instskip(SKIP_4) | instid1(VALU_DEP_1)
	v_add_co_ci_u32_e32 v5, vcc_lo, s4, v5, vcc_lo
	global_load_u16 v2, v[4:5], off
	s_waitcnt vmcnt(0)
	v_cvt_f32_f16_e32 v2, v2
	s_waitcnt lgkmcnt(0)
	v_div_scale_f32 v4, null, s1, s1, v2
	s_delay_alu instid0(VALU_DEP_1) | instskip(SKIP_2) | instid1(VALU_DEP_1)
	v_rcp_f32_e32 v5, v4
	s_waitcnt_depctr 0xfff
	v_fma_f32 v6, -v4, v5, 1.0
	v_fmac_f32_e32 v5, v6, v5
	v_div_scale_f32 v6, vcc_lo, v2, s1, v2
	s_delay_alu instid0(VALU_DEP_1) | instskip(NEXT) | instid1(VALU_DEP_1)
	v_mul_f32_e32 v7, v6, v5
	v_fma_f32 v8, -v4, v7, v6
	s_delay_alu instid0(VALU_DEP_1) | instskip(NEXT) | instid1(VALU_DEP_1)
	v_fmac_f32_e32 v7, v8, v5
	v_fma_f32 v4, -v4, v7, v6
	s_delay_alu instid0(VALU_DEP_1) | instskip(NEXT) | instid1(VALU_DEP_1)
	v_div_fmas_f32 v4, v4, v5, v7
	v_div_fixup_f32 v2, v4, s1, v2
	s_delay_alu instid0(VALU_DEP_1) | instskip(NEXT) | instid1(VALU_DEP_1)
	v_cvt_f16_f32_e32 v2, v2
	v_cvt_f32_f16_e32 v4, v2
	s_delay_alu instid0(VALU_DEP_1) | instskip(SKIP_2) | instid1(VALU_DEP_2)
	v_and_b32_e32 v2, 0x7fffff, v4
	v_lshrrev_b32_e32 v6, 24, v4
	v_and_b32_e32 v9, 0x7f800000, v4
	v_and_b32_e32 v8, 0x80, v6
	s_delay_alu instid0(VALU_DEP_1) | instskip(NEXT) | instid1(VALU_DEP_3)
	v_or_b32_e32 v5, 0x7e, v8
	v_cmpx_ne_u64_e32 0x7f800000, v[9:10]
	s_xor_b32 s8, exec_lo, s0
	s_cbranch_execz .LBB23_44
; %bb.29:                               ;   in Loop: Header=BB23_28 Depth=1
	v_dual_mov_b32 v7, v3 :: v_dual_and_b32 v6, 0x7fffffff, v4
	s_mov_b32 s0, exec_lo
	s_delay_alu instid0(VALU_DEP_1)
	v_cmpx_gt_u64_e32 0x43e00001, v[6:7]
	s_xor_b32 s10, exec_lo, s0
	s_cbranch_execz .LBB23_43
; %bb.30:                               ;   in Loop: Header=BB23_28 Depth=1
	v_mov_b32_e32 v5, 0
	s_mov_b32 s11, exec_lo
	v_cmpx_ne_u32_e32 0, v4
	s_cbranch_execz .LBB23_42
; %bb.31:                               ;   in Loop: Header=BB23_28 Depth=1
	v_bfe_u32 v9, v4, 23, 8
	v_or_b32_e32 v6, 0x800000, v2
	s_delay_alu instid0(VALU_DEP_2) | instskip(SKIP_1) | instid1(VALU_DEP_2)
	v_sub_nc_u32_e32 v4, 0x79, v9
	v_cmp_gt_u32_e32 vcc_lo, 0x7a, v9
	v_cndmask_b32_e32 v4, 0, v4, vcc_lo
	v_cmp_eq_u32_e32 vcc_lo, 0, v9
	s_delay_alu instid0(VALU_DEP_2) | instskip(SKIP_1) | instid1(VALU_DEP_2)
	v_cndmask_b32_e64 v10, v4, 0x78, vcc_lo
	v_cndmask_b32_e32 v2, v6, v2, vcc_lo
	v_add_nc_u32_e32 v4, 20, v10
	v_add_nc_u32_e32 v6, 19, v10
	s_delay_alu instid0(VALU_DEP_2) | instskip(NEXT) | instid1(VALU_DEP_2)
	v_lshlrev_b64 v[4:5], v4, -1
	v_lshlrev_b64 v[6:7], v6, 1
	s_delay_alu instid0(VALU_DEP_2) | instskip(NEXT) | instid1(VALU_DEP_3)
	v_not_b32_e32 v5, v5
	v_not_b32_e32 v4, v4
	s_delay_alu instid0(VALU_DEP_2) | instskip(NEXT) | instid1(VALU_DEP_2)
	v_and_b32_e32 v12, 0, v5
	v_and_b32_e32 v11, v2, v4
	v_lshrrev_b64 v[4:5], v10, v[2:3]
	s_delay_alu instid0(VALU_DEP_2) | instskip(NEXT) | instid1(VALU_DEP_2)
	v_cmp_eq_u64_e64 s0, v[11:12], v[6:7]
	v_dual_mov_b32 v7, v5 :: v_dual_mov_b32 v6, v4
	s_delay_alu instid0(VALU_DEP_2)
	s_and_saveexec_b32 s12, s0
; %bb.32:                               ;   in Loop: Header=BB23_28 Depth=1
	v_bfe_u32 v2, v4, 20, 1
	s_delay_alu instid0(VALU_DEP_1) | instskip(NEXT) | instid1(VALU_DEP_1)
	v_add_co_u32 v2, s0, v4, v2
	v_add_co_u32 v6, s0, v2, -1
; %bb.33:                               ;   in Loop: Header=BB23_28 Depth=1
	s_or_b32 exec_lo, exec_lo, s12
	v_add_nc_u32_e32 v2, 0xffffff81, v9
	v_lshrrev_b32_e32 v7, 23, v4
	s_mov_b32 s0, exec_lo
	s_delay_alu instid0(VALU_DEP_2) | instskip(NEXT) | instid1(VALU_DEP_1)
	v_cndmask_b32_e64 v2, v2, 0xffffff82, vcc_lo
	v_add3_u32 v7, v10, v2, v7
	v_and_b32_e32 v2, 0xfffff, v6
	s_delay_alu instid0(VALU_DEP_2) | instskip(NEXT) | instid1(VALU_DEP_2)
	v_add_nc_u32_e32 v6, 6, v7
	v_add_co_u32 v4, vcc_lo, v2, v4
	v_add_co_ci_u32_e32 v5, vcc_lo, 0, v5, vcc_lo
                                        ; implicit-def: $vgpr2
	s_delay_alu instid0(VALU_DEP_3)
	v_cmpx_ne_u32_e32 0, v6
	s_xor_b32 s0, exec_lo, s0
; %bb.34:                               ;   in Loop: Header=BB23_28 Depth=1
	s_delay_alu instid0(VALU_DEP_2) | instskip(SKIP_1) | instid1(VALU_DEP_1)
	v_cmp_lt_u64_e32 vcc_lo, 0xffffff, v[4:5]
	v_add_nc_u32_e32 v2, 7, v7
	v_cndmask_b32_e32 v2, v6, v2, vcc_lo
	v_cndmask_b32_e64 v6, 0, 1, vcc_lo
	s_delay_alu instid0(VALU_DEP_1)
	v_lshrrev_b64 v[4:5], v6, v[4:5]
; %bb.35:                               ;   in Loop: Header=BB23_28 Depth=1
	s_and_not1_saveexec_b32 s0, s0
; %bb.36:                               ;   in Loop: Header=BB23_28 Depth=1
	s_delay_alu instid0(VALU_DEP_1)
	v_bfe_u32 v2, v4, 23, 1
; %bb.37:                               ;   in Loop: Header=BB23_28 Depth=1
	s_or_b32 exec_lo, exec_lo, s0
	s_delay_alu instid0(VALU_DEP_2) | instskip(NEXT) | instid1(VALU_DEP_2)
	v_lshrrev_b64 v[4:5], 20, v[4:5]
	v_cmp_gt_i32_e32 vcc_lo, 16, v2
	v_cmp_ne_u32_e64 s0, 0, v2
	s_delay_alu instid0(VALU_DEP_3) | instskip(NEXT) | instid1(VALU_DEP_1)
	v_dual_cndmask_b32 v5, 0, v5 :: v_dual_cndmask_b32 v4, 7, v4
	v_cmp_ne_u64_e32 vcc_lo, 0, v[4:5]
                                        ; implicit-def: $vgpr5
	s_delay_alu instid0(VALU_DEP_3) | instskip(NEXT) | instid1(SALU_CYCLE_1)
	s_or_b32 s0, s0, vcc_lo
	s_and_saveexec_b32 s12, s0
	s_delay_alu instid0(SALU_CYCLE_1)
	s_xor_b32 s0, exec_lo, s12
; %bb.38:                               ;   in Loop: Header=BB23_28 Depth=1
	v_min_i32_e32 v2, 15, v2
	s_delay_alu instid0(VALU_DEP_1) | instskip(NEXT) | instid1(VALU_DEP_1)
	v_lshl_or_b32 v2, v2, 3, v8
                                        ; implicit-def: $vgpr8
	v_and_or_b32 v5, v4, 7, v2
; %bb.39:                               ;   in Loop: Header=BB23_28 Depth=1
	s_and_not1_saveexec_b32 s0, s0
; %bb.40:                               ;   in Loop: Header=BB23_28 Depth=1
	v_mov_b32_e32 v5, v8
; %bb.41:                               ;   in Loop: Header=BB23_28 Depth=1
	s_or_b32 exec_lo, exec_lo, s0
.LBB23_42:                              ;   in Loop: Header=BB23_28 Depth=1
	s_delay_alu instid0(SALU_CYCLE_1)
	s_or_b32 exec_lo, exec_lo, s11
.LBB23_43:                              ;   in Loop: Header=BB23_28 Depth=1
	s_and_not1_saveexec_b32 s0, s10
	s_delay_alu instid0(SALU_CYCLE_1)
	s_or_b32 exec_lo, exec_lo, s0
                                        ; implicit-def: $vgpr6
.LBB23_44:                              ;   in Loop: Header=BB23_28 Depth=1
	s_and_not1_saveexec_b32 s0, s8
	s_cbranch_execz .LBB23_27
; %bb.45:                               ;   in Loop: Header=BB23_28 Depth=1
	v_cmp_eq_u64_e32 vcc_lo, 0, v[2:3]
	v_or_b32_e32 v4, 0x7f, v6
	s_delay_alu instid0(VALU_DEP_1)
	v_cndmask_b32_e32 v5, v4, v5, vcc_lo
	s_branch .LBB23_27
.LBB23_46:
	s_nop 0
	s_sendmsg sendmsg(MSG_DEALLOC_VGPRS)
	s_endpgm
.LBB23_47:
                                        ; implicit-def: $sgpr16_sgpr17
	s_load_b64 s[14:15], s[0:1], 0x10
	s_branch .LBB23_3
	.section	.rodata,"a",@progbits
	.p2align	6, 0x0
	.amdhsa_kernel _ZN4vllm27concat_and_cache_mla_kernelIthLNS_18Fp8KVCacheDataTypeE1EEEvPKT_S4_PT0_PKliiiiiiiPKf
		.amdhsa_group_segment_fixed_size 0
		.amdhsa_private_segment_fixed_size 0
		.amdhsa_kernarg_size 328
		.amdhsa_user_sgpr_count 15
		.amdhsa_user_sgpr_dispatch_ptr 0
		.amdhsa_user_sgpr_queue_ptr 0
		.amdhsa_user_sgpr_kernarg_segment_ptr 1
		.amdhsa_user_sgpr_dispatch_id 0
		.amdhsa_user_sgpr_private_segment_size 0
		.amdhsa_wavefront_size32 1
		.amdhsa_uses_dynamic_stack 0
		.amdhsa_enable_private_segment 0
		.amdhsa_system_sgpr_workgroup_id_x 1
		.amdhsa_system_sgpr_workgroup_id_y 0
		.amdhsa_system_sgpr_workgroup_id_z 0
		.amdhsa_system_sgpr_workgroup_info 0
		.amdhsa_system_vgpr_workitem_id 0
		.amdhsa_next_free_vgpr 14
		.amdhsa_next_free_sgpr 36
		.amdhsa_reserve_vcc 1
		.amdhsa_float_round_mode_32 0
		.amdhsa_float_round_mode_16_64 0
		.amdhsa_float_denorm_mode_32 3
		.amdhsa_float_denorm_mode_16_64 3
		.amdhsa_dx10_clamp 1
		.amdhsa_ieee_mode 1
		.amdhsa_fp16_overflow 0
		.amdhsa_workgroup_processor_mode 1
		.amdhsa_memory_ordered 1
		.amdhsa_forward_progress 0
		.amdhsa_shared_vgpr_count 0
		.amdhsa_exception_fp_ieee_invalid_op 0
		.amdhsa_exception_fp_denorm_src 0
		.amdhsa_exception_fp_ieee_div_zero 0
		.amdhsa_exception_fp_ieee_overflow 0
		.amdhsa_exception_fp_ieee_underflow 0
		.amdhsa_exception_fp_ieee_inexact 0
		.amdhsa_exception_int_div_zero 0
	.end_amdhsa_kernel
	.section	.text._ZN4vllm27concat_and_cache_mla_kernelIthLNS_18Fp8KVCacheDataTypeE1EEEvPKT_S4_PT0_PKliiiiiiiPKf,"axG",@progbits,_ZN4vllm27concat_and_cache_mla_kernelIthLNS_18Fp8KVCacheDataTypeE1EEEvPKT_S4_PT0_PKliiiiiiiPKf,comdat
.Lfunc_end23:
	.size	_ZN4vllm27concat_and_cache_mla_kernelIthLNS_18Fp8KVCacheDataTypeE1EEEvPKT_S4_PT0_PKliiiiiiiPKf, .Lfunc_end23-_ZN4vllm27concat_and_cache_mla_kernelIthLNS_18Fp8KVCacheDataTypeE1EEEvPKT_S4_PT0_PKliiiiiiiPKf
                                        ; -- End function
	.section	.AMDGPU.csdata,"",@progbits
; Kernel info:
; codeLenInByte = 2840
; NumSgprs: 38
; NumVgprs: 14
; ScratchSize: 0
; MemoryBound: 0
; FloatMode: 240
; IeeeMode: 1
; LDSByteSize: 0 bytes/workgroup (compile time only)
; SGPRBlocks: 4
; VGPRBlocks: 1
; NumSGPRsForWavesPerEU: 38
; NumVGPRsForWavesPerEU: 14
; Occupancy: 16
; WaveLimiterHint : 0
; COMPUTE_PGM_RSRC2:SCRATCH_EN: 0
; COMPUTE_PGM_RSRC2:USER_SGPR: 15
; COMPUTE_PGM_RSRC2:TRAP_HANDLER: 0
; COMPUTE_PGM_RSRC2:TGID_X_EN: 1
; COMPUTE_PGM_RSRC2:TGID_Y_EN: 0
; COMPUTE_PGM_RSRC2:TGID_Z_EN: 0
; COMPUTE_PGM_RSRC2:TIDIG_COMP_CNT: 0
	.section	.text._ZN4vllm27concat_and_cache_mla_kernelI14__hip_bfloat16hLNS_18Fp8KVCacheDataTypeE1EEEvPKT_S5_PT0_PKliiiiiiiPKf,"axG",@progbits,_ZN4vllm27concat_and_cache_mla_kernelI14__hip_bfloat16hLNS_18Fp8KVCacheDataTypeE1EEEvPKT_S5_PT0_PKliiiiiiiPKf,comdat
	.protected	_ZN4vllm27concat_and_cache_mla_kernelI14__hip_bfloat16hLNS_18Fp8KVCacheDataTypeE1EEEvPKT_S5_PT0_PKliiiiiiiPKf ; -- Begin function _ZN4vllm27concat_and_cache_mla_kernelI14__hip_bfloat16hLNS_18Fp8KVCacheDataTypeE1EEEvPKT_S5_PT0_PKliiiiiiiPKf
	.globl	_ZN4vllm27concat_and_cache_mla_kernelI14__hip_bfloat16hLNS_18Fp8KVCacheDataTypeE1EEEvPKT_S5_PT0_PKliiiiiiiPKf
	.p2align	8
	.type	_ZN4vllm27concat_and_cache_mla_kernelI14__hip_bfloat16hLNS_18Fp8KVCacheDataTypeE1EEEvPKT_S5_PT0_PKliiiiiiiPKf,@function
_ZN4vllm27concat_and_cache_mla_kernelI14__hip_bfloat16hLNS_18Fp8KVCacheDataTypeE1EEEvPKT_S5_PT0_PKliiiiiiiPKf: ; @_ZN4vllm27concat_and_cache_mla_kernelI14__hip_bfloat16hLNS_18Fp8KVCacheDataTypeE1EEEvPKT_S5_PT0_PKliiiiiiiPKf
; %bb.0:
	s_load_b64 s[2:3], s[0:1], 0x18
	s_mov_b32 s12, s15
	s_mov_b32 s13, 0
	s_delay_alu instid0(SALU_CYCLE_1)
	s_lshl_b64 s[4:5], s[12:13], 3
	s_waitcnt lgkmcnt(0)
	s_add_u32 s2, s2, s4
	s_addc_u32 s3, s3, s5
	s_load_b64 s[2:3], s[2:3], 0x0
	s_waitcnt lgkmcnt(0)
	v_cmp_lt_i64_e64 s4, s[2:3], 0
	s_delay_alu instid0(VALU_DEP_1)
	s_and_b32 vcc_lo, exec_lo, s4
	s_cbranch_vccnz .LBB24_46
; %bb.1:
	s_load_b256 s[4:11], s[0:1], 0x20
	s_waitcnt lgkmcnt(0)
	s_ashr_i32 s11, s10, 31
	s_delay_alu instid0(SALU_CYCLE_1) | instskip(SKIP_1) | instid1(SALU_CYCLE_1)
	s_or_b64 s[14:15], s[2:3], s[10:11]
	s_mov_b32 s14, s13
	s_cmp_lg_u64 s[14:15], 0
	s_cbranch_scc0 .LBB24_47
; %bb.2:
	s_add_u32 s16, s10, s11
	s_mov_b32 s14, s11
	s_mov_b32 s15, s11
	s_addc_u32 s17, s11, s11
	s_delay_alu instid0(SALU_CYCLE_1) | instskip(NEXT) | instid1(SALU_CYCLE_1)
	s_xor_b64 s[16:17], s[16:17], s[14:15]
	v_cvt_f32_u32_e32 v1, s16
	v_cvt_f32_u32_e32 v2, s17
	s_sub_u32 s19, 0, s16
	s_subb_u32 s20, 0, s17
	s_delay_alu instid0(VALU_DEP_1) | instskip(NEXT) | instid1(VALU_DEP_1)
	v_fmamk_f32 v1, v2, 0x4f800000, v1
	v_rcp_f32_e32 v1, v1
	s_waitcnt_depctr 0xfff
	v_mul_f32_e32 v1, 0x5f7ffffc, v1
	s_delay_alu instid0(VALU_DEP_1) | instskip(NEXT) | instid1(VALU_DEP_1)
	v_mul_f32_e32 v2, 0x2f800000, v1
	v_trunc_f32_e32 v2, v2
	s_delay_alu instid0(VALU_DEP_1) | instskip(SKIP_1) | instid1(VALU_DEP_2)
	v_fmamk_f32 v1, v2, 0xcf800000, v1
	v_cvt_u32_f32_e32 v2, v2
	v_cvt_u32_f32_e32 v1, v1
	s_delay_alu instid0(VALU_DEP_2) | instskip(NEXT) | instid1(VALU_DEP_2)
	v_readfirstlane_b32 s13, v2
	v_readfirstlane_b32 s18, v1
	s_delay_alu instid0(VALU_DEP_2) | instskip(NEXT) | instid1(VALU_DEP_1)
	s_mul_i32 s21, s19, s13
	s_mul_hi_u32 s23, s19, s18
	s_mul_i32 s22, s20, s18
	s_add_i32 s21, s23, s21
	s_mul_i32 s24, s19, s18
	s_add_i32 s21, s21, s22
	s_mul_hi_u32 s23, s18, s24
	s_mul_hi_u32 s25, s13, s24
	s_mul_i32 s22, s13, s24
	s_mul_hi_u32 s24, s18, s21
	s_mul_i32 s18, s18, s21
	s_mul_hi_u32 s26, s13, s21
	s_add_u32 s18, s23, s18
	s_addc_u32 s23, 0, s24
	s_add_u32 s18, s18, s22
	s_mul_i32 s21, s13, s21
	s_addc_u32 s18, s23, s25
	s_addc_u32 s22, s26, 0
	s_add_u32 s18, s18, s21
	s_addc_u32 s21, 0, s22
	v_add_co_u32 v1, s18, v1, s18
	s_delay_alu instid0(VALU_DEP_1) | instskip(SKIP_1) | instid1(VALU_DEP_1)
	s_cmp_lg_u32 s18, 0
	s_addc_u32 s13, s13, s21
	v_readfirstlane_b32 s18, v1
	s_mul_i32 s21, s19, s13
	s_delay_alu instid0(VALU_DEP_1)
	s_mul_hi_u32 s22, s19, s18
	s_mul_i32 s20, s20, s18
	s_add_i32 s21, s22, s21
	s_mul_i32 s19, s19, s18
	s_add_i32 s21, s21, s20
	s_mul_hi_u32 s22, s13, s19
	s_mul_i32 s23, s13, s19
	s_mul_hi_u32 s19, s18, s19
	s_mul_hi_u32 s24, s18, s21
	s_mul_i32 s18, s18, s21
	s_mul_hi_u32 s20, s13, s21
	s_add_u32 s18, s19, s18
	s_addc_u32 s19, 0, s24
	s_add_u32 s18, s18, s23
	s_mul_i32 s21, s13, s21
	s_addc_u32 s18, s19, s22
	s_addc_u32 s19, s20, 0
	s_add_u32 s18, s18, s21
	s_addc_u32 s19, 0, s19
	v_add_co_u32 v1, s18, v1, s18
	s_delay_alu instid0(VALU_DEP_1) | instskip(SKIP_2) | instid1(VALU_DEP_1)
	s_cmp_lg_u32 s18, 0
	s_addc_u32 s13, s13, s19
	s_ashr_i32 s18, s3, 31
	v_readfirstlane_b32 s22, v1
	s_add_u32 s20, s2, s18
	s_mov_b32 s19, s18
	s_addc_u32 s21, s3, s18
	s_delay_alu instid0(SALU_CYCLE_1) | instskip(NEXT) | instid1(SALU_CYCLE_1)
	s_xor_b64 s[20:21], s[20:21], s[18:19]
	s_mul_i32 s24, s20, s13
	s_mul_hi_u32 s25, s20, s22
	s_mul_hi_u32 s23, s20, s13
	;; [unrolled: 1-line block ×3, first 2 shown]
	s_mul_i32 s22, s21, s22
	s_add_u32 s24, s25, s24
	s_addc_u32 s23, 0, s23
	s_mul_hi_u32 s26, s21, s13
	s_add_u32 s22, s24, s22
	s_mul_i32 s13, s21, s13
	s_addc_u32 s22, s23, s27
	s_addc_u32 s23, s26, 0
	s_add_u32 s13, s22, s13
	s_addc_u32 s22, 0, s23
	s_mul_i32 s26, s16, s13
	s_mul_hi_u32 s23, s16, s13
	s_mul_i32 s25, s16, s22
	v_sub_co_u32 v1, s20, s20, s26
	s_mul_i32 s24, s17, s13
	s_add_i32 s23, s23, s25
	s_delay_alu instid0(SALU_CYCLE_1) | instskip(NEXT) | instid1(VALU_DEP_1)
	s_add_i32 s23, s23, s24
	v_sub_co_u32 v2, s25, v1, s16
	s_sub_i32 s24, s21, s23
	s_cmp_lg_u32 s20, 0
	s_subb_u32 s24, s24, s17
	s_cmp_lg_u32 s25, 0
	v_readfirstlane_b32 s25, v2
	s_subb_u32 s24, s24, 0
	s_delay_alu instid0(SALU_CYCLE_1) | instskip(SKIP_1) | instid1(VALU_DEP_1)
	s_cmp_ge_u32 s24, s17
	s_cselect_b32 s26, -1, 0
	s_cmp_ge_u32 s25, s16
	s_cselect_b32 s25, -1, 0
	s_cmp_eq_u32 s24, s17
	s_cselect_b32 s24, s25, s26
	s_add_u32 s25, s13, 1
	s_addc_u32 s26, s22, 0
	s_add_u32 s27, s13, 2
	s_addc_u32 s28, s22, 0
	s_cmp_lg_u32 s24, 0
	s_cselect_b32 s24, s27, s25
	s_cselect_b32 s25, s28, s26
	s_cmp_lg_u32 s20, 0
	v_readfirstlane_b32 s20, v1
	s_subb_u32 s21, s21, s23
	s_delay_alu instid0(SALU_CYCLE_1) | instskip(SKIP_1) | instid1(VALU_DEP_1)
	s_cmp_ge_u32 s21, s17
	s_cselect_b32 s23, -1, 0
	s_cmp_ge_u32 s20, s16
	s_cselect_b32 s16, -1, 0
	s_cmp_eq_u32 s21, s17
	s_cselect_b32 s16, s16, s23
	s_delay_alu instid0(SALU_CYCLE_1) | instskip(SKIP_3) | instid1(SALU_CYCLE_1)
	s_cmp_lg_u32 s16, 0
	s_cselect_b32 s17, s25, s22
	s_cselect_b32 s16, s24, s13
	s_xor_b64 s[14:15], s[18:19], s[14:15]
	s_xor_b64 s[16:17], s[16:17], s[14:15]
	s_delay_alu instid0(SALU_CYCLE_1)
	s_sub_u32 s16, s16, s14
	s_subb_u32 s17, s17, s15
	s_load_b64 s[14:15], s[0:1], 0x10
	s_cbranch_execnz .LBB24_4
.LBB24_3:
	v_cvt_f32_u32_e32 v1, s10
	s_sub_i32 s16, 0, s10
	s_delay_alu instid0(VALU_DEP_1) | instskip(SKIP_2) | instid1(VALU_DEP_1)
	v_rcp_iflag_f32_e32 v1, v1
	s_waitcnt_depctr 0xfff
	v_mul_f32_e32 v1, 0x4f7ffffe, v1
	v_cvt_u32_f32_e32 v1, v1
	s_delay_alu instid0(VALU_DEP_1) | instskip(NEXT) | instid1(VALU_DEP_1)
	v_readfirstlane_b32 s13, v1
	s_mul_i32 s16, s16, s13
	s_delay_alu instid0(SALU_CYCLE_1) | instskip(NEXT) | instid1(SALU_CYCLE_1)
	s_mul_hi_u32 s16, s13, s16
	s_add_i32 s13, s13, s16
	s_delay_alu instid0(SALU_CYCLE_1) | instskip(NEXT) | instid1(SALU_CYCLE_1)
	s_mul_hi_u32 s13, s2, s13
	s_mul_i32 s16, s13, s10
	s_add_i32 s17, s13, 1
	s_sub_i32 s16, s2, s16
	s_delay_alu instid0(SALU_CYCLE_1)
	s_sub_i32 s18, s16, s10
	s_cmp_ge_u32 s16, s10
	s_cselect_b32 s13, s17, s13
	s_cselect_b32 s16, s18, s16
	s_add_i32 s18, s13, 1
	s_cmp_ge_u32 s16, s10
	s_mov_b32 s17, 0
	s_cselect_b32 s16, s18, s13
.LBB24_4:
	s_clause 0x1
	s_load_b64 s[18:19], s[0:1], 0x8
	s_load_b64 s[20:21], s[0:1], 0x40
	s_mul_i32 s11, s16, s11
	s_mul_hi_u32 s13, s16, s10
	s_mul_hi_u32 s22, s16, s4
	s_add_i32 s11, s13, s11
	s_mul_i32 s13, s17, s10
	s_mul_i32 s10, s16, s10
	s_add_i32 s13, s11, s13
	s_sub_u32 s11, s2, s10
	s_subb_u32 s2, s3, s13
	s_mul_i32 s13, s17, s4
	s_mul_i32 s3, s16, s4
	s_mul_hi_u32 s23, s11, s5
	s_mul_i32 s17, s2, s5
	s_mul_i32 s10, s11, s5
	s_mov_b32 s24, exec_lo
	v_cmpx_gt_i32_e64 s8, v0
	s_cbranch_execz .LBB24_25
; %bb.5:
	s_clause 0x1
	s_load_b64 s[26:27], s[0:1], 0x0
	s_load_b32 s30, s[0:1], 0x54
	s_ashr_i32 s2, s6, 31
	s_mul_hi_u32 s25, s6, s12
	s_mul_i32 s28, s6, s12
	s_waitcnt lgkmcnt(0)
	s_load_b32 s6, s[20:21], 0x0
	s_ashr_i32 s29, s4, 31
	s_ashr_i32 s31, s5, 31
	s_mul_i32 s2, s2, s12
	s_mul_i32 s33, s16, s29
	;; [unrolled: 1-line block ×3, first 2 shown]
	s_add_i32 s29, s25, s2
	s_add_i32 s2, s22, s33
	;; [unrolled: 1-line block ×3, first 2 shown]
	s_lshl_b64 s[28:29], s[28:29], 1
	s_add_i32 s2, s2, s13
	s_add_i32 s31, s25, s17
	v_dual_mov_b32 v2, 0 :: v_dual_mov_b32 v3, v0
	s_add_u32 s25, s26, s28
	s_addc_u32 s26, s27, s29
	s_add_u32 s27, s14, s3
	s_addc_u32 s2, s15, s2
	;; [unrolled: 2-line block ×3, first 2 shown]
	s_and_b32 s29, s30, 0xffff
	s_mov_b32 s30, 0
	s_branch .LBB24_7
.LBB24_6:                               ;   in Loop: Header=BB24_7 Depth=1
	s_or_b32 exec_lo, exec_lo, s2
	v_add_co_u32 v7, vcc_lo, s27, v3
	v_add_nc_u32_e32 v3, s29, v3
	v_add_co_ci_u32_e32 v8, vcc_lo, s28, v4, vcc_lo
	s_delay_alu instid0(VALU_DEP_2) | instskip(SKIP_2) | instid1(SALU_CYCLE_1)
	v_cmp_le_i32_e32 vcc_lo, s8, v3
	global_store_b8 v[7:8], v6, off
	s_or_b32 s30, vcc_lo, s30
	s_and_not1_b32 exec_lo, exec_lo, s30
	s_cbranch_execz .LBB24_25
.LBB24_7:                               ; =>This Inner Loop Header: Depth=1
	v_ashrrev_i32_e32 v4, 31, v3
	s_mov_b32 s2, exec_lo
	v_mov_b32_e32 v11, v2
	s_delay_alu instid0(VALU_DEP_2) | instskip(NEXT) | instid1(VALU_DEP_1)
	v_lshlrev_b64 v[5:6], 1, v[3:4]
	v_add_co_u32 v5, vcc_lo, s25, v5
	s_delay_alu instid0(VALU_DEP_2) | instskip(SKIP_4) | instid1(VALU_DEP_1)
	v_add_co_ci_u32_e32 v6, vcc_lo, s26, v6, vcc_lo
	global_load_u16 v1, v[5:6], off
	s_waitcnt vmcnt(0)
	v_lshlrev_b32_e32 v1, 16, v1
	s_waitcnt lgkmcnt(0)
	v_div_scale_f32 v5, null, s6, s6, v1
	s_delay_alu instid0(VALU_DEP_1) | instskip(SKIP_2) | instid1(VALU_DEP_1)
	v_rcp_f32_e32 v6, v5
	s_waitcnt_depctr 0xfff
	v_fma_f32 v7, -v5, v6, 1.0
	v_fmac_f32_e32 v6, v7, v6
	v_div_scale_f32 v7, vcc_lo, v1, s6, v1
	s_delay_alu instid0(VALU_DEP_1) | instskip(NEXT) | instid1(VALU_DEP_1)
	v_mul_f32_e32 v8, v7, v6
	v_fma_f32 v9, -v5, v8, v7
	s_delay_alu instid0(VALU_DEP_1) | instskip(NEXT) | instid1(VALU_DEP_1)
	v_fmac_f32_e32 v8, v9, v6
	v_fma_f32 v5, -v5, v8, v7
	s_delay_alu instid0(VALU_DEP_1) | instskip(NEXT) | instid1(VALU_DEP_1)
	v_div_fmas_f32 v5, v5, v6, v8
	v_div_fixup_f32 v5, v5, s6, v1
	s_delay_alu instid0(VALU_DEP_1) | instskip(SKIP_2) | instid1(VALU_DEP_3)
	v_lshrrev_b32_e32 v7, 24, v5
	v_and_b32_e32 v10, 0x7f800000, v5
	v_and_b32_e32 v1, 0x7fffff, v5
	;; [unrolled: 1-line block ×3, first 2 shown]
	s_delay_alu instid0(VALU_DEP_1) | instskip(NEXT) | instid1(VALU_DEP_4)
	v_or_b32_e32 v6, 0x7e, v9
	v_cmpx_ne_u64_e32 0x7f800000, v[10:11]
	s_xor_b32 s31, exec_lo, s2
	s_cbranch_execz .LBB24_23
; %bb.8:                                ;   in Loop: Header=BB24_7 Depth=1
	v_dual_mov_b32 v8, v2 :: v_dual_and_b32 v7, 0x7fffffff, v5
	s_mov_b32 s2, exec_lo
	s_delay_alu instid0(VALU_DEP_1)
	v_cmpx_gt_u64_e32 0x43e00001, v[7:8]
	s_xor_b32 s33, exec_lo, s2
	s_cbranch_execz .LBB24_22
; %bb.9:                                ;   in Loop: Header=BB24_7 Depth=1
	v_mov_b32_e32 v6, 0
	s_mov_b32 s34, exec_lo
	v_cmpx_ne_u32_e32 0, v5
	s_cbranch_execz .LBB24_21
; %bb.10:                               ;   in Loop: Header=BB24_7 Depth=1
	v_bfe_u32 v10, v5, 23, 8
	v_or_b32_e32 v7, 0x800000, v1
	s_delay_alu instid0(VALU_DEP_2) | instskip(SKIP_1) | instid1(VALU_DEP_2)
	v_sub_nc_u32_e32 v5, 0x79, v10
	v_cmp_gt_u32_e32 vcc_lo, 0x7a, v10
	v_cndmask_b32_e32 v5, 0, v5, vcc_lo
	v_cmp_eq_u32_e32 vcc_lo, 0, v10
	s_delay_alu instid0(VALU_DEP_2) | instskip(SKIP_1) | instid1(VALU_DEP_2)
	v_cndmask_b32_e64 v11, v5, 0x78, vcc_lo
	v_cndmask_b32_e32 v1, v7, v1, vcc_lo
	v_add_nc_u32_e32 v5, 20, v11
	v_add_nc_u32_e32 v7, 19, v11
	s_delay_alu instid0(VALU_DEP_2) | instskip(NEXT) | instid1(VALU_DEP_2)
	v_lshlrev_b64 v[5:6], v5, -1
	v_lshlrev_b64 v[7:8], v7, 1
	s_delay_alu instid0(VALU_DEP_2) | instskip(NEXT) | instid1(VALU_DEP_3)
	v_not_b32_e32 v6, v6
	v_not_b32_e32 v5, v5
	s_delay_alu instid0(VALU_DEP_2) | instskip(NEXT) | instid1(VALU_DEP_2)
	v_and_b32_e32 v13, 0, v6
	v_and_b32_e32 v12, v1, v5
	v_lshrrev_b64 v[5:6], v11, v[1:2]
	s_delay_alu instid0(VALU_DEP_2) | instskip(NEXT) | instid1(VALU_DEP_2)
	v_cmp_eq_u64_e64 s2, v[12:13], v[7:8]
	v_dual_mov_b32 v8, v6 :: v_dual_mov_b32 v7, v5
	s_delay_alu instid0(VALU_DEP_2)
	s_and_saveexec_b32 s35, s2
; %bb.11:                               ;   in Loop: Header=BB24_7 Depth=1
	v_bfe_u32 v1, v5, 20, 1
	s_delay_alu instid0(VALU_DEP_1) | instskip(NEXT) | instid1(VALU_DEP_1)
	v_add_co_u32 v1, s2, v5, v1
	v_add_co_u32 v7, s2, v1, -1
; %bb.12:                               ;   in Loop: Header=BB24_7 Depth=1
	s_or_b32 exec_lo, exec_lo, s35
	v_add_nc_u32_e32 v1, 0xffffff81, v10
	v_lshrrev_b32_e32 v8, 23, v5
	s_mov_b32 s2, exec_lo
	s_delay_alu instid0(VALU_DEP_2) | instskip(NEXT) | instid1(VALU_DEP_1)
	v_cndmask_b32_e64 v1, v1, 0xffffff82, vcc_lo
	v_add3_u32 v8, v11, v1, v8
	v_and_b32_e32 v1, 0xfffff, v7
	s_delay_alu instid0(VALU_DEP_2) | instskip(NEXT) | instid1(VALU_DEP_2)
	v_add_nc_u32_e32 v7, 6, v8
	v_add_co_u32 v5, vcc_lo, v1, v5
	v_add_co_ci_u32_e32 v6, vcc_lo, 0, v6, vcc_lo
                                        ; implicit-def: $vgpr1
	s_delay_alu instid0(VALU_DEP_3)
	v_cmpx_ne_u32_e32 0, v7
	s_xor_b32 s2, exec_lo, s2
; %bb.13:                               ;   in Loop: Header=BB24_7 Depth=1
	s_delay_alu instid0(VALU_DEP_2) | instskip(SKIP_1) | instid1(VALU_DEP_1)
	v_cmp_lt_u64_e32 vcc_lo, 0xffffff, v[5:6]
	v_add_nc_u32_e32 v1, 7, v8
	v_cndmask_b32_e32 v1, v7, v1, vcc_lo
	v_cndmask_b32_e64 v7, 0, 1, vcc_lo
	s_delay_alu instid0(VALU_DEP_1)
	v_lshrrev_b64 v[5:6], v7, v[5:6]
; %bb.14:                               ;   in Loop: Header=BB24_7 Depth=1
	s_and_not1_saveexec_b32 s2, s2
; %bb.15:                               ;   in Loop: Header=BB24_7 Depth=1
	s_delay_alu instid0(VALU_DEP_1)
	v_bfe_u32 v1, v5, 23, 1
; %bb.16:                               ;   in Loop: Header=BB24_7 Depth=1
	s_or_b32 exec_lo, exec_lo, s2
	s_delay_alu instid0(VALU_DEP_2) | instskip(NEXT) | instid1(VALU_DEP_2)
	v_lshrrev_b64 v[5:6], 20, v[5:6]
	v_cmp_gt_i32_e32 vcc_lo, 16, v1
	v_cmp_ne_u32_e64 s2, 0, v1
	s_delay_alu instid0(VALU_DEP_3) | instskip(NEXT) | instid1(VALU_DEP_1)
	v_dual_cndmask_b32 v6, 0, v6 :: v_dual_cndmask_b32 v5, 7, v5
	v_cmp_ne_u64_e32 vcc_lo, 0, v[5:6]
                                        ; implicit-def: $vgpr6
	s_delay_alu instid0(VALU_DEP_3) | instskip(NEXT) | instid1(SALU_CYCLE_1)
	s_or_b32 s2, s2, vcc_lo
	s_and_saveexec_b32 s35, s2
	s_delay_alu instid0(SALU_CYCLE_1)
	s_xor_b32 s2, exec_lo, s35
; %bb.17:                               ;   in Loop: Header=BB24_7 Depth=1
	v_min_i32_e32 v1, 15, v1
	s_delay_alu instid0(VALU_DEP_1) | instskip(NEXT) | instid1(VALU_DEP_1)
	v_lshl_or_b32 v1, v1, 3, v9
                                        ; implicit-def: $vgpr9
	v_and_or_b32 v6, v5, 7, v1
; %bb.18:                               ;   in Loop: Header=BB24_7 Depth=1
	s_and_not1_saveexec_b32 s2, s2
; %bb.19:                               ;   in Loop: Header=BB24_7 Depth=1
	v_mov_b32_e32 v6, v9
; %bb.20:                               ;   in Loop: Header=BB24_7 Depth=1
	s_or_b32 exec_lo, exec_lo, s2
.LBB24_21:                              ;   in Loop: Header=BB24_7 Depth=1
	s_delay_alu instid0(SALU_CYCLE_1)
	s_or_b32 exec_lo, exec_lo, s34
.LBB24_22:                              ;   in Loop: Header=BB24_7 Depth=1
	s_and_not1_saveexec_b32 s2, s33
	s_delay_alu instid0(SALU_CYCLE_1)
	s_or_b32 exec_lo, exec_lo, s2
                                        ; implicit-def: $vgpr7
.LBB24_23:                              ;   in Loop: Header=BB24_7 Depth=1
	s_and_not1_saveexec_b32 s2, s31
	s_cbranch_execz .LBB24_6
; %bb.24:                               ;   in Loop: Header=BB24_7 Depth=1
	v_cmp_eq_u64_e32 vcc_lo, 0, v[1:2]
	v_or_b32_e32 v5, 0x7f, v7
	s_delay_alu instid0(VALU_DEP_1)
	v_cndmask_b32_e32 v6, v5, v6, vcc_lo
	s_branch .LBB24_6
.LBB24_25:
	s_or_b32 exec_lo, exec_lo, s24
	s_delay_alu instid0(SALU_CYCLE_1)
	s_mov_b32 s2, exec_lo
	v_cmpx_gt_i32_e64 s9, v0
	s_cbranch_execz .LBB24_46
; %bb.26:
	s_load_b32 s0, s[0:1], 0x54
	s_ashr_i32 s2, s7, 31
	s_waitcnt lgkmcnt(0)
	s_load_b32 s1, s[20:21], 0x0
	s_mul_hi_u32 s24, s7, s12
	s_mul_i32 s2, s2, s12
	s_mul_i32 s6, s7, s12
	s_add_i32 s7, s24, s2
	s_ashr_i32 s2, s4, 31
	s_ashr_i32 s4, s5, 31
	s_mul_i32 s2, s16, s2
	s_mul_i32 s11, s11, s4
	s_add_i32 s2, s22, s2
	s_add_i32 s4, s23, s11
	s_add_i32 s11, s2, s13
	s_add_i32 s12, s4, s17
	s_lshl_b64 s[4:5], s[6:7], 1
	s_ashr_i32 s6, s8, 31
	s_add_u32 s2, s18, s4
	s_addc_u32 s4, s19, s5
	s_add_u32 s3, s14, s3
	s_addc_u32 s5, s15, s11
	s_add_u32 s3, s3, s10
	v_mov_b32_e32 v3, 0
	s_addc_u32 s5, s5, s12
	s_add_u32 s3, s3, s8
	s_addc_u32 s5, s5, s6
	s_and_b32 s6, s0, 0xffff
	s_mov_b32 s7, 0
	s_branch .LBB24_28
.LBB24_27:                              ;   in Loop: Header=BB24_28 Depth=1
	s_or_b32 exec_lo, exec_lo, s0
	v_add_co_u32 v6, vcc_lo, s3, v0
	v_add_nc_u32_e32 v0, s6, v0
	v_add_co_ci_u32_e32 v7, vcc_lo, s5, v1, vcc_lo
	s_delay_alu instid0(VALU_DEP_2) | instskip(SKIP_2) | instid1(SALU_CYCLE_1)
	v_cmp_le_i32_e32 vcc_lo, s9, v0
	global_store_b8 v[6:7], v5, off
	s_or_b32 s7, vcc_lo, s7
	s_and_not1_b32 exec_lo, exec_lo, s7
	s_cbranch_execz .LBB24_46
.LBB24_28:                              ; =>This Inner Loop Header: Depth=1
	v_ashrrev_i32_e32 v1, 31, v0
	s_mov_b32 s0, exec_lo
	v_mov_b32_e32 v10, v3
	s_delay_alu instid0(VALU_DEP_2) | instskip(NEXT) | instid1(VALU_DEP_1)
	v_lshlrev_b64 v[4:5], 1, v[0:1]
	v_add_co_u32 v4, vcc_lo, s2, v4
	s_delay_alu instid0(VALU_DEP_2) | instskip(SKIP_4) | instid1(VALU_DEP_1)
	v_add_co_ci_u32_e32 v5, vcc_lo, s4, v5, vcc_lo
	global_load_u16 v2, v[4:5], off
	s_waitcnt vmcnt(0)
	v_lshlrev_b32_e32 v2, 16, v2
	s_waitcnt lgkmcnt(0)
	v_div_scale_f32 v4, null, s1, s1, v2
	s_delay_alu instid0(VALU_DEP_1) | instskip(SKIP_2) | instid1(VALU_DEP_1)
	v_rcp_f32_e32 v5, v4
	s_waitcnt_depctr 0xfff
	v_fma_f32 v6, -v4, v5, 1.0
	v_fmac_f32_e32 v5, v6, v5
	v_div_scale_f32 v6, vcc_lo, v2, s1, v2
	s_delay_alu instid0(VALU_DEP_1) | instskip(NEXT) | instid1(VALU_DEP_1)
	v_mul_f32_e32 v7, v6, v5
	v_fma_f32 v8, -v4, v7, v6
	s_delay_alu instid0(VALU_DEP_1) | instskip(NEXT) | instid1(VALU_DEP_1)
	v_fmac_f32_e32 v7, v8, v5
	v_fma_f32 v4, -v4, v7, v6
	s_delay_alu instid0(VALU_DEP_1) | instskip(NEXT) | instid1(VALU_DEP_1)
	v_div_fmas_f32 v4, v4, v5, v7
	v_div_fixup_f32 v4, v4, s1, v2
	s_delay_alu instid0(VALU_DEP_1) | instskip(SKIP_2) | instid1(VALU_DEP_3)
	v_lshrrev_b32_e32 v6, 24, v4
	v_and_b32_e32 v9, 0x7f800000, v4
	v_and_b32_e32 v2, 0x7fffff, v4
	v_and_b32_e32 v8, 0x80, v6
	s_delay_alu instid0(VALU_DEP_1) | instskip(NEXT) | instid1(VALU_DEP_4)
	v_or_b32_e32 v5, 0x7e, v8
	v_cmpx_ne_u64_e32 0x7f800000, v[9:10]
	s_xor_b32 s8, exec_lo, s0
	s_cbranch_execz .LBB24_44
; %bb.29:                               ;   in Loop: Header=BB24_28 Depth=1
	v_dual_mov_b32 v7, v3 :: v_dual_and_b32 v6, 0x7fffffff, v4
	s_mov_b32 s0, exec_lo
	s_delay_alu instid0(VALU_DEP_1)
	v_cmpx_gt_u64_e32 0x43e00001, v[6:7]
	s_xor_b32 s10, exec_lo, s0
	s_cbranch_execz .LBB24_43
; %bb.30:                               ;   in Loop: Header=BB24_28 Depth=1
	v_mov_b32_e32 v5, 0
	s_mov_b32 s11, exec_lo
	v_cmpx_ne_u32_e32 0, v4
	s_cbranch_execz .LBB24_42
; %bb.31:                               ;   in Loop: Header=BB24_28 Depth=1
	v_bfe_u32 v9, v4, 23, 8
	v_or_b32_e32 v6, 0x800000, v2
	s_delay_alu instid0(VALU_DEP_2) | instskip(SKIP_1) | instid1(VALU_DEP_2)
	v_sub_nc_u32_e32 v4, 0x79, v9
	v_cmp_gt_u32_e32 vcc_lo, 0x7a, v9
	v_cndmask_b32_e32 v4, 0, v4, vcc_lo
	v_cmp_eq_u32_e32 vcc_lo, 0, v9
	s_delay_alu instid0(VALU_DEP_2) | instskip(SKIP_1) | instid1(VALU_DEP_2)
	v_cndmask_b32_e64 v10, v4, 0x78, vcc_lo
	v_cndmask_b32_e32 v2, v6, v2, vcc_lo
	v_add_nc_u32_e32 v4, 20, v10
	v_add_nc_u32_e32 v6, 19, v10
	s_delay_alu instid0(VALU_DEP_2) | instskip(NEXT) | instid1(VALU_DEP_2)
	v_lshlrev_b64 v[4:5], v4, -1
	v_lshlrev_b64 v[6:7], v6, 1
	s_delay_alu instid0(VALU_DEP_2) | instskip(NEXT) | instid1(VALU_DEP_3)
	v_not_b32_e32 v5, v5
	v_not_b32_e32 v4, v4
	s_delay_alu instid0(VALU_DEP_2) | instskip(NEXT) | instid1(VALU_DEP_2)
	v_and_b32_e32 v12, 0, v5
	v_and_b32_e32 v11, v2, v4
	v_lshrrev_b64 v[4:5], v10, v[2:3]
	s_delay_alu instid0(VALU_DEP_2) | instskip(NEXT) | instid1(VALU_DEP_2)
	v_cmp_eq_u64_e64 s0, v[11:12], v[6:7]
	v_dual_mov_b32 v7, v5 :: v_dual_mov_b32 v6, v4
	s_delay_alu instid0(VALU_DEP_2)
	s_and_saveexec_b32 s12, s0
; %bb.32:                               ;   in Loop: Header=BB24_28 Depth=1
	v_bfe_u32 v2, v4, 20, 1
	s_delay_alu instid0(VALU_DEP_1) | instskip(NEXT) | instid1(VALU_DEP_1)
	v_add_co_u32 v2, s0, v4, v2
	v_add_co_u32 v6, s0, v2, -1
; %bb.33:                               ;   in Loop: Header=BB24_28 Depth=1
	s_or_b32 exec_lo, exec_lo, s12
	v_add_nc_u32_e32 v2, 0xffffff81, v9
	v_lshrrev_b32_e32 v7, 23, v4
	s_mov_b32 s0, exec_lo
	s_delay_alu instid0(VALU_DEP_2) | instskip(NEXT) | instid1(VALU_DEP_1)
	v_cndmask_b32_e64 v2, v2, 0xffffff82, vcc_lo
	v_add3_u32 v7, v10, v2, v7
	v_and_b32_e32 v2, 0xfffff, v6
	s_delay_alu instid0(VALU_DEP_2) | instskip(NEXT) | instid1(VALU_DEP_2)
	v_add_nc_u32_e32 v6, 6, v7
	v_add_co_u32 v4, vcc_lo, v2, v4
	v_add_co_ci_u32_e32 v5, vcc_lo, 0, v5, vcc_lo
                                        ; implicit-def: $vgpr2
	s_delay_alu instid0(VALU_DEP_3)
	v_cmpx_ne_u32_e32 0, v6
	s_xor_b32 s0, exec_lo, s0
; %bb.34:                               ;   in Loop: Header=BB24_28 Depth=1
	s_delay_alu instid0(VALU_DEP_2) | instskip(SKIP_1) | instid1(VALU_DEP_1)
	v_cmp_lt_u64_e32 vcc_lo, 0xffffff, v[4:5]
	v_add_nc_u32_e32 v2, 7, v7
	v_cndmask_b32_e32 v2, v6, v2, vcc_lo
	v_cndmask_b32_e64 v6, 0, 1, vcc_lo
	s_delay_alu instid0(VALU_DEP_1)
	v_lshrrev_b64 v[4:5], v6, v[4:5]
; %bb.35:                               ;   in Loop: Header=BB24_28 Depth=1
	s_and_not1_saveexec_b32 s0, s0
; %bb.36:                               ;   in Loop: Header=BB24_28 Depth=1
	s_delay_alu instid0(VALU_DEP_1)
	v_bfe_u32 v2, v4, 23, 1
; %bb.37:                               ;   in Loop: Header=BB24_28 Depth=1
	s_or_b32 exec_lo, exec_lo, s0
	s_delay_alu instid0(VALU_DEP_2) | instskip(NEXT) | instid1(VALU_DEP_2)
	v_lshrrev_b64 v[4:5], 20, v[4:5]
	v_cmp_gt_i32_e32 vcc_lo, 16, v2
	v_cmp_ne_u32_e64 s0, 0, v2
	s_delay_alu instid0(VALU_DEP_3) | instskip(NEXT) | instid1(VALU_DEP_1)
	v_dual_cndmask_b32 v5, 0, v5 :: v_dual_cndmask_b32 v4, 7, v4
	v_cmp_ne_u64_e32 vcc_lo, 0, v[4:5]
                                        ; implicit-def: $vgpr5
	s_delay_alu instid0(VALU_DEP_3) | instskip(NEXT) | instid1(SALU_CYCLE_1)
	s_or_b32 s0, s0, vcc_lo
	s_and_saveexec_b32 s12, s0
	s_delay_alu instid0(SALU_CYCLE_1)
	s_xor_b32 s0, exec_lo, s12
; %bb.38:                               ;   in Loop: Header=BB24_28 Depth=1
	v_min_i32_e32 v2, 15, v2
	s_delay_alu instid0(VALU_DEP_1) | instskip(NEXT) | instid1(VALU_DEP_1)
	v_lshl_or_b32 v2, v2, 3, v8
                                        ; implicit-def: $vgpr8
	v_and_or_b32 v5, v4, 7, v2
; %bb.39:                               ;   in Loop: Header=BB24_28 Depth=1
	s_and_not1_saveexec_b32 s0, s0
; %bb.40:                               ;   in Loop: Header=BB24_28 Depth=1
	v_mov_b32_e32 v5, v8
; %bb.41:                               ;   in Loop: Header=BB24_28 Depth=1
	s_or_b32 exec_lo, exec_lo, s0
.LBB24_42:                              ;   in Loop: Header=BB24_28 Depth=1
	s_delay_alu instid0(SALU_CYCLE_1)
	s_or_b32 exec_lo, exec_lo, s11
.LBB24_43:                              ;   in Loop: Header=BB24_28 Depth=1
	s_and_not1_saveexec_b32 s0, s10
	s_delay_alu instid0(SALU_CYCLE_1)
	s_or_b32 exec_lo, exec_lo, s0
                                        ; implicit-def: $vgpr6
.LBB24_44:                              ;   in Loop: Header=BB24_28 Depth=1
	s_and_not1_saveexec_b32 s0, s8
	s_cbranch_execz .LBB24_27
; %bb.45:                               ;   in Loop: Header=BB24_28 Depth=1
	v_cmp_eq_u64_e32 vcc_lo, 0, v[2:3]
	v_or_b32_e32 v4, 0x7f, v6
	s_delay_alu instid0(VALU_DEP_1)
	v_cndmask_b32_e32 v5, v4, v5, vcc_lo
	s_branch .LBB24_27
.LBB24_46:
	s_nop 0
	s_sendmsg sendmsg(MSG_DEALLOC_VGPRS)
	s_endpgm
.LBB24_47:
                                        ; implicit-def: $sgpr16_sgpr17
	s_load_b64 s[14:15], s[0:1], 0x10
	s_branch .LBB24_3
	.section	.rodata,"a",@progbits
	.p2align	6, 0x0
	.amdhsa_kernel _ZN4vllm27concat_and_cache_mla_kernelI14__hip_bfloat16hLNS_18Fp8KVCacheDataTypeE1EEEvPKT_S5_PT0_PKliiiiiiiPKf
		.amdhsa_group_segment_fixed_size 0
		.amdhsa_private_segment_fixed_size 0
		.amdhsa_kernarg_size 328
		.amdhsa_user_sgpr_count 15
		.amdhsa_user_sgpr_dispatch_ptr 0
		.amdhsa_user_sgpr_queue_ptr 0
		.amdhsa_user_sgpr_kernarg_segment_ptr 1
		.amdhsa_user_sgpr_dispatch_id 0
		.amdhsa_user_sgpr_private_segment_size 0
		.amdhsa_wavefront_size32 1
		.amdhsa_uses_dynamic_stack 0
		.amdhsa_enable_private_segment 0
		.amdhsa_system_sgpr_workgroup_id_x 1
		.amdhsa_system_sgpr_workgroup_id_y 0
		.amdhsa_system_sgpr_workgroup_id_z 0
		.amdhsa_system_sgpr_workgroup_info 0
		.amdhsa_system_vgpr_workitem_id 0
		.amdhsa_next_free_vgpr 14
		.amdhsa_next_free_sgpr 36
		.amdhsa_reserve_vcc 1
		.amdhsa_float_round_mode_32 0
		.amdhsa_float_round_mode_16_64 0
		.amdhsa_float_denorm_mode_32 3
		.amdhsa_float_denorm_mode_16_64 3
		.amdhsa_dx10_clamp 1
		.amdhsa_ieee_mode 1
		.amdhsa_fp16_overflow 0
		.amdhsa_workgroup_processor_mode 1
		.amdhsa_memory_ordered 1
		.amdhsa_forward_progress 0
		.amdhsa_shared_vgpr_count 0
		.amdhsa_exception_fp_ieee_invalid_op 0
		.amdhsa_exception_fp_denorm_src 0
		.amdhsa_exception_fp_ieee_div_zero 0
		.amdhsa_exception_fp_ieee_overflow 0
		.amdhsa_exception_fp_ieee_underflow 0
		.amdhsa_exception_fp_ieee_inexact 0
		.amdhsa_exception_int_div_zero 0
	.end_amdhsa_kernel
	.section	.text._ZN4vllm27concat_and_cache_mla_kernelI14__hip_bfloat16hLNS_18Fp8KVCacheDataTypeE1EEEvPKT_S5_PT0_PKliiiiiiiPKf,"axG",@progbits,_ZN4vllm27concat_and_cache_mla_kernelI14__hip_bfloat16hLNS_18Fp8KVCacheDataTypeE1EEEvPKT_S5_PT0_PKliiiiiiiPKf,comdat
.Lfunc_end24:
	.size	_ZN4vllm27concat_and_cache_mla_kernelI14__hip_bfloat16hLNS_18Fp8KVCacheDataTypeE1EEEvPKT_S5_PT0_PKliiiiiiiPKf, .Lfunc_end24-_ZN4vllm27concat_and_cache_mla_kernelI14__hip_bfloat16hLNS_18Fp8KVCacheDataTypeE1EEEvPKT_S5_PT0_PKliiiiiiiPKf
                                        ; -- End function
	.section	.AMDGPU.csdata,"",@progbits
; Kernel info:
; codeLenInByte = 2816
; NumSgprs: 38
; NumVgprs: 14
; ScratchSize: 0
; MemoryBound: 0
; FloatMode: 240
; IeeeMode: 1
; LDSByteSize: 0 bytes/workgroup (compile time only)
; SGPRBlocks: 4
; VGPRBlocks: 1
; NumSGPRsForWavesPerEU: 38
; NumVGPRsForWavesPerEU: 14
; Occupancy: 16
; WaveLimiterHint : 0
; COMPUTE_PGM_RSRC2:SCRATCH_EN: 0
; COMPUTE_PGM_RSRC2:USER_SGPR: 15
; COMPUTE_PGM_RSRC2:TRAP_HANDLER: 0
; COMPUTE_PGM_RSRC2:TGID_X_EN: 1
; COMPUTE_PGM_RSRC2:TGID_Y_EN: 0
; COMPUTE_PGM_RSRC2:TGID_Z_EN: 0
; COMPUTE_PGM_RSRC2:TIDIG_COMP_CNT: 0
	.text
	.p2align	2                               ; -- Begin function __ockl_fprintf_append_string_n
	.type	__ockl_fprintf_append_string_n,@function
__ockl_fprintf_append_string_n:         ; @__ockl_fprintf_append_string_n
; %bb.0:
	s_waitcnt vmcnt(0) expcnt(0) lgkmcnt(0)
	v_dual_mov_b32 v8, v3 :: v_dual_mov_b32 v7, v2
	v_or_b32_e32 v2, 2, v0
	v_cmp_eq_u32_e32 vcc_lo, 0, v6
	v_mbcnt_lo_u32_b32 v33, -1, 0
	s_mov_b32 s11, 0
	s_mov_b32 s0, exec_lo
	v_cndmask_b32_e32 v0, v2, v0, vcc_lo
	v_cmpx_ne_u64_e32 0, v[7:8]
	s_xor_b32 s10, exec_lo, s0
	s_cbranch_execz .LBB25_86
; %bb.1:
	s_load_b64 s[2:3], s[8:9], 0x50
	v_dual_mov_b32 v11, 2 :: v_dual_and_b32 v6, 2, v0
	v_mov_b32_e32 v10, 0
	v_and_b32_e32 v0, -3, v0
	v_mov_b32_e32 v12, 1
	s_mov_b32 s12, 0
	s_branch .LBB25_3
.LBB25_2:                               ;   in Loop: Header=BB25_3 Depth=1
	s_or_b32 exec_lo, exec_lo, s1
	v_sub_co_u32 v4, vcc_lo, v4, v29
	v_sub_co_ci_u32_e32 v5, vcc_lo, v5, v30, vcc_lo
	v_add_co_u32 v7, s0, v7, v29
	s_delay_alu instid0(VALU_DEP_1) | instskip(NEXT) | instid1(VALU_DEP_3)
	v_add_co_ci_u32_e64 v8, s0, v8, v30, s0
	v_cmp_eq_u64_e32 vcc_lo, 0, v[4:5]
	s_or_b32 s12, vcc_lo, s12
	s_delay_alu instid0(SALU_CYCLE_1)
	s_and_not1_b32 exec_lo, exec_lo, s12
	s_cbranch_execz .LBB25_85
.LBB25_3:                               ; =>This Loop Header: Depth=1
                                        ;     Child Loop BB25_6 Depth 2
                                        ;     Child Loop BB25_14 Depth 2
	;; [unrolled: 1-line block ×11, first 2 shown]
	v_cmp_gt_u64_e32 vcc_lo, 56, v[4:5]
	s_mov_b32 s1, exec_lo
                                        ; implicit-def: $vgpr2_vgpr3
                                        ; implicit-def: $sgpr4
	v_dual_cndmask_b32 v30, 0, v5 :: v_dual_cndmask_b32 v29, 56, v4
	v_cmpx_gt_u64_e32 8, v[4:5]
	s_xor_b32 s1, exec_lo, s1
	s_cbranch_execz .LBB25_9
; %bb.4:                                ;   in Loop: Header=BB25_3 Depth=1
	s_waitcnt vmcnt(0)
	v_mov_b32_e32 v2, 0
	v_mov_b32_e32 v3, 0
	s_mov_b64 s[4:5], 0
	s_mov_b32 s6, exec_lo
	v_cmpx_ne_u64_e32 0, v[4:5]
	s_cbranch_execz .LBB25_8
; %bb.5:                                ;   in Loop: Header=BB25_3 Depth=1
	v_lshlrev_b64 v[13:14], 3, v[29:30]
	v_dual_mov_b32 v2, 0 :: v_dual_mov_b32 v15, v8
	v_dual_mov_b32 v3, 0 :: v_dual_mov_b32 v14, v7
	s_mov_b32 s7, 0
	.p2align	6
.LBB25_6:                               ;   Parent Loop BB25_3 Depth=1
                                        ; =>  This Inner Loop Header: Depth=2
	flat_load_u8 v9, v[14:15]
	v_mov_b32_e32 v17, s11
	v_add_co_u32 v14, vcc_lo, v14, 1
	v_add_co_ci_u32_e32 v15, vcc_lo, 0, v15, vcc_lo
	s_waitcnt vmcnt(0) lgkmcnt(0)
	v_and_b32_e32 v16, 0xffff, v9
	s_delay_alu instid0(VALU_DEP_1) | instskip(SKIP_3) | instid1(VALU_DEP_2)
	v_lshlrev_b64 v[16:17], s4, v[16:17]
	s_add_u32 s4, s4, 8
	s_addc_u32 s5, s5, 0
	v_cmp_eq_u32_e64 s0, s4, v13
	v_or_b32_e32 v3, v17, v3
	s_delay_alu instid0(VALU_DEP_3) | instskip(NEXT) | instid1(VALU_DEP_3)
	v_or_b32_e32 v2, v16, v2
	s_or_b32 s7, s0, s7
	s_delay_alu instid0(SALU_CYCLE_1)
	s_and_not1_b32 exec_lo, exec_lo, s7
	s_cbranch_execnz .LBB25_6
; %bb.7:                                ;   in Loop: Header=BB25_3 Depth=1
	s_or_b32 exec_lo, exec_lo, s7
.LBB25_8:                               ;   in Loop: Header=BB25_3 Depth=1
	s_delay_alu instid0(SALU_CYCLE_1)
	s_or_b32 exec_lo, exec_lo, s6
	s_mov_b32 s4, 0
.LBB25_9:                               ;   in Loop: Header=BB25_3 Depth=1
	s_or_saveexec_b32 s0, s1
	v_dual_mov_b32 v9, s4 :: v_dual_mov_b32 v26, v8
	v_mov_b32_e32 v25, v7
	s_xor_b32 exec_lo, exec_lo, s0
	s_cbranch_execz .LBB25_11
; %bb.10:                               ;   in Loop: Header=BB25_3 Depth=1
	s_waitcnt vmcnt(0)
	flat_load_b64 v[2:3], v[7:8]
	v_add_co_u32 v25, vcc_lo, v7, 8
	v_add_co_ci_u32_e32 v26, vcc_lo, 0, v8, vcc_lo
	s_waitcnt vmcnt(0) lgkmcnt(0)
	v_and_b32_e32 v9, 0xff, v3
	v_and_b32_e32 v13, 0xff00, v3
	v_and_b32_e32 v14, 0xff0000, v3
	v_and_b32_e32 v3, 0xff000000, v3
	v_or3_b32 v2, v2, 0, 0
	s_delay_alu instid0(VALU_DEP_4) | instskip(SKIP_1) | instid1(VALU_DEP_2)
	v_or_b32_e32 v13, v9, v13
	v_add_nc_u32_e32 v9, -8, v29
	v_or3_b32 v3, v13, v14, v3
.LBB25_11:                              ;   in Loop: Header=BB25_3 Depth=1
	s_or_b32 exec_lo, exec_lo, s0
                                        ; implicit-def: $vgpr13_vgpr14
                                        ; implicit-def: $sgpr1
	s_delay_alu instid0(SALU_CYCLE_1) | instskip(NEXT) | instid1(VALU_DEP_2)
	s_mov_b32 s0, exec_lo
	v_cmpx_gt_u32_e32 8, v9
	s_xor_b32 s6, exec_lo, s0
	s_cbranch_execz .LBB25_17
; %bb.12:                               ;   in Loop: Header=BB25_3 Depth=1
	v_mov_b32_e32 v13, 0
	v_mov_b32_e32 v14, 0
	s_mov_b32 s7, exec_lo
	v_cmpx_ne_u32_e32 0, v9
	s_cbranch_execz .LBB25_16
; %bb.13:                               ;   in Loop: Header=BB25_3 Depth=1
	v_mov_b32_e32 v13, 0
	v_mov_b32_e32 v14, 0
	s_mov_b64 s[0:1], 0
	s_mov_b32 s13, 0
	s_mov_b64 s[4:5], 0
	.p2align	6
.LBB25_14:                              ;   Parent Loop BB25_3 Depth=1
                                        ; =>  This Inner Loop Header: Depth=2
	s_delay_alu instid0(SALU_CYCLE_1)
	v_add_co_u32 v15, vcc_lo, v25, s4
	v_add_co_ci_u32_e32 v16, vcc_lo, s5, v26, vcc_lo
	s_add_u32 s4, s4, 1
	s_addc_u32 s5, s5, 0
	v_cmp_eq_u32_e32 vcc_lo, s4, v9
	flat_load_u8 v15, v[15:16]
	s_waitcnt vmcnt(0) lgkmcnt(0)
	v_dual_mov_b32 v16, s11 :: v_dual_and_b32 v15, 0xffff, v15
	s_delay_alu instid0(VALU_DEP_1) | instskip(SKIP_3) | instid1(VALU_DEP_1)
	v_lshlrev_b64 v[15:16], s0, v[15:16]
	s_add_u32 s0, s0, 8
	s_addc_u32 s1, s1, 0
	s_or_b32 s13, vcc_lo, s13
	v_or_b32_e32 v14, v16, v14
	s_delay_alu instid0(VALU_DEP_2)
	v_or_b32_e32 v13, v15, v13
	s_and_not1_b32 exec_lo, exec_lo, s13
	s_cbranch_execnz .LBB25_14
; %bb.15:                               ;   in Loop: Header=BB25_3 Depth=1
	s_or_b32 exec_lo, exec_lo, s13
.LBB25_16:                              ;   in Loop: Header=BB25_3 Depth=1
	s_delay_alu instid0(SALU_CYCLE_1)
	s_or_b32 exec_lo, exec_lo, s7
	s_mov_b32 s1, 0
                                        ; implicit-def: $vgpr9
.LBB25_17:                              ;   in Loop: Header=BB25_3 Depth=1
	s_or_saveexec_b32 s0, s6
	v_mov_b32_e32 v17, s1
	s_xor_b32 exec_lo, exec_lo, s0
	s_cbranch_execz .LBB25_19
; %bb.18:                               ;   in Loop: Header=BB25_3 Depth=1
	flat_load_b64 v[13:14], v[25:26]
	v_add_co_u32 v25, vcc_lo, v25, 8
	v_add_nc_u32_e32 v17, -8, v9
	v_add_co_ci_u32_e32 v26, vcc_lo, 0, v26, vcc_lo
	s_waitcnt vmcnt(0) lgkmcnt(0)
	v_and_b32_e32 v15, 0xff, v14
	v_and_b32_e32 v16, 0xff00, v14
	;; [unrolled: 1-line block ×4, first 2 shown]
	v_or3_b32 v13, v13, 0, 0
	s_delay_alu instid0(VALU_DEP_4) | instskip(NEXT) | instid1(VALU_DEP_1)
	v_or_b32_e32 v15, v15, v16
	v_or3_b32 v14, v15, v18, v14
.LBB25_19:                              ;   in Loop: Header=BB25_3 Depth=1
	s_or_b32 exec_lo, exec_lo, s0
                                        ; implicit-def: $sgpr1
	s_delay_alu instid0(SALU_CYCLE_1)
	s_mov_b32 s0, exec_lo
	v_cmpx_gt_u32_e32 8, v17
	s_xor_b32 s6, exec_lo, s0
	s_cbranch_execz .LBB25_25
; %bb.20:                               ;   in Loop: Header=BB25_3 Depth=1
	v_mov_b32_e32 v15, 0
	v_mov_b32_e32 v16, 0
	s_mov_b32 s7, exec_lo
	v_cmpx_ne_u32_e32 0, v17
	s_cbranch_execz .LBB25_24
; %bb.21:                               ;   in Loop: Header=BB25_3 Depth=1
	v_mov_b32_e32 v15, 0
	v_mov_b32_e32 v16, 0
	s_mov_b64 s[0:1], 0
	s_mov_b32 s13, 0
	s_mov_b64 s[4:5], 0
	.p2align	6
.LBB25_22:                              ;   Parent Loop BB25_3 Depth=1
                                        ; =>  This Inner Loop Header: Depth=2
	s_delay_alu instid0(SALU_CYCLE_1)
	v_add_co_u32 v18, vcc_lo, v25, s4
	v_add_co_ci_u32_e32 v19, vcc_lo, s5, v26, vcc_lo
	s_add_u32 s4, s4, 1
	s_addc_u32 s5, s5, 0
	v_cmp_eq_u32_e32 vcc_lo, s4, v17
	flat_load_u8 v9, v[18:19]
	s_waitcnt vmcnt(0) lgkmcnt(0)
	v_dual_mov_b32 v19, s11 :: v_dual_and_b32 v18, 0xffff, v9
	s_delay_alu instid0(VALU_DEP_1) | instskip(SKIP_3) | instid1(VALU_DEP_1)
	v_lshlrev_b64 v[18:19], s0, v[18:19]
	s_add_u32 s0, s0, 8
	s_addc_u32 s1, s1, 0
	s_or_b32 s13, vcc_lo, s13
	v_or_b32_e32 v16, v19, v16
	s_delay_alu instid0(VALU_DEP_2)
	v_or_b32_e32 v15, v18, v15
	s_and_not1_b32 exec_lo, exec_lo, s13
	s_cbranch_execnz .LBB25_22
; %bb.23:                               ;   in Loop: Header=BB25_3 Depth=1
	s_or_b32 exec_lo, exec_lo, s13
.LBB25_24:                              ;   in Loop: Header=BB25_3 Depth=1
	s_delay_alu instid0(SALU_CYCLE_1)
	s_or_b32 exec_lo, exec_lo, s7
	s_mov_b32 s1, 0
                                        ; implicit-def: $vgpr17
.LBB25_25:                              ;   in Loop: Header=BB25_3 Depth=1
	s_or_saveexec_b32 s0, s6
	v_mov_b32_e32 v9, s1
	s_xor_b32 exec_lo, exec_lo, s0
	s_cbranch_execz .LBB25_27
; %bb.26:                               ;   in Loop: Header=BB25_3 Depth=1
	flat_load_b64 v[15:16], v[25:26]
	v_add_co_u32 v25, vcc_lo, v25, 8
	v_add_co_ci_u32_e32 v26, vcc_lo, 0, v26, vcc_lo
	s_waitcnt vmcnt(0) lgkmcnt(0)
	v_and_b32_e32 v9, 0xff, v16
	v_and_b32_e32 v18, 0xff00, v16
	v_and_b32_e32 v19, 0xff0000, v16
	v_and_b32_e32 v16, 0xff000000, v16
	v_or3_b32 v15, v15, 0, 0
	s_delay_alu instid0(VALU_DEP_4) | instskip(SKIP_1) | instid1(VALU_DEP_2)
	v_or_b32_e32 v18, v9, v18
	v_add_nc_u32_e32 v9, -8, v17
	v_or3_b32 v16, v18, v19, v16
.LBB25_27:                              ;   in Loop: Header=BB25_3 Depth=1
	s_or_b32 exec_lo, exec_lo, s0
                                        ; implicit-def: $vgpr17_vgpr18
                                        ; implicit-def: $sgpr1
	s_delay_alu instid0(SALU_CYCLE_1) | instskip(NEXT) | instid1(VALU_DEP_1)
	s_mov_b32 s0, exec_lo
	v_cmpx_gt_u32_e32 8, v9
	s_xor_b32 s6, exec_lo, s0
	s_cbranch_execz .LBB25_33
; %bb.28:                               ;   in Loop: Header=BB25_3 Depth=1
	v_mov_b32_e32 v17, 0
	v_mov_b32_e32 v18, 0
	s_mov_b32 s7, exec_lo
	v_cmpx_ne_u32_e32 0, v9
	s_cbranch_execz .LBB25_32
; %bb.29:                               ;   in Loop: Header=BB25_3 Depth=1
	v_mov_b32_e32 v17, 0
	v_mov_b32_e32 v18, 0
	s_mov_b64 s[0:1], 0
	s_mov_b32 s13, 0
	s_mov_b64 s[4:5], 0
	.p2align	6
.LBB25_30:                              ;   Parent Loop BB25_3 Depth=1
                                        ; =>  This Inner Loop Header: Depth=2
	s_delay_alu instid0(SALU_CYCLE_1)
	v_add_co_u32 v19, vcc_lo, v25, s4
	v_add_co_ci_u32_e32 v20, vcc_lo, s5, v26, vcc_lo
	s_add_u32 s4, s4, 1
	s_addc_u32 s5, s5, 0
	v_cmp_eq_u32_e32 vcc_lo, s4, v9
	flat_load_u8 v19, v[19:20]
	s_waitcnt vmcnt(0) lgkmcnt(0)
	v_dual_mov_b32 v20, s11 :: v_dual_and_b32 v19, 0xffff, v19
	s_delay_alu instid0(VALU_DEP_1) | instskip(SKIP_3) | instid1(VALU_DEP_1)
	v_lshlrev_b64 v[19:20], s0, v[19:20]
	s_add_u32 s0, s0, 8
	s_addc_u32 s1, s1, 0
	s_or_b32 s13, vcc_lo, s13
	v_or_b32_e32 v18, v20, v18
	s_delay_alu instid0(VALU_DEP_2)
	v_or_b32_e32 v17, v19, v17
	s_and_not1_b32 exec_lo, exec_lo, s13
	s_cbranch_execnz .LBB25_30
; %bb.31:                               ;   in Loop: Header=BB25_3 Depth=1
	s_or_b32 exec_lo, exec_lo, s13
.LBB25_32:                              ;   in Loop: Header=BB25_3 Depth=1
	s_delay_alu instid0(SALU_CYCLE_1)
	s_or_b32 exec_lo, exec_lo, s7
	s_mov_b32 s1, 0
                                        ; implicit-def: $vgpr9
.LBB25_33:                              ;   in Loop: Header=BB25_3 Depth=1
	s_or_saveexec_b32 s0, s6
	v_mov_b32_e32 v21, s1
	s_xor_b32 exec_lo, exec_lo, s0
	s_cbranch_execz .LBB25_35
; %bb.34:                               ;   in Loop: Header=BB25_3 Depth=1
	flat_load_b64 v[17:18], v[25:26]
	v_add_co_u32 v25, vcc_lo, v25, 8
	v_add_nc_u32_e32 v21, -8, v9
	v_add_co_ci_u32_e32 v26, vcc_lo, 0, v26, vcc_lo
	s_waitcnt vmcnt(0) lgkmcnt(0)
	v_and_b32_e32 v19, 0xff, v18
	v_and_b32_e32 v20, 0xff00, v18
	;; [unrolled: 1-line block ×4, first 2 shown]
	v_or3_b32 v17, v17, 0, 0
	s_delay_alu instid0(VALU_DEP_4) | instskip(NEXT) | instid1(VALU_DEP_1)
	v_or_b32_e32 v19, v19, v20
	v_or3_b32 v18, v19, v22, v18
.LBB25_35:                              ;   in Loop: Header=BB25_3 Depth=1
	s_or_b32 exec_lo, exec_lo, s0
                                        ; implicit-def: $sgpr1
	s_delay_alu instid0(SALU_CYCLE_1)
	s_mov_b32 s0, exec_lo
	v_cmpx_gt_u32_e32 8, v21
	s_xor_b32 s6, exec_lo, s0
	s_cbranch_execz .LBB25_41
; %bb.36:                               ;   in Loop: Header=BB25_3 Depth=1
	v_mov_b32_e32 v19, 0
	v_mov_b32_e32 v20, 0
	s_mov_b32 s7, exec_lo
	v_cmpx_ne_u32_e32 0, v21
	s_cbranch_execz .LBB25_40
; %bb.37:                               ;   in Loop: Header=BB25_3 Depth=1
	v_mov_b32_e32 v19, 0
	v_mov_b32_e32 v20, 0
	s_mov_b64 s[0:1], 0
	s_mov_b32 s13, 0
	s_mov_b64 s[4:5], 0
	.p2align	6
.LBB25_38:                              ;   Parent Loop BB25_3 Depth=1
                                        ; =>  This Inner Loop Header: Depth=2
	s_delay_alu instid0(SALU_CYCLE_1)
	v_add_co_u32 v22, vcc_lo, v25, s4
	v_add_co_ci_u32_e32 v23, vcc_lo, s5, v26, vcc_lo
	s_add_u32 s4, s4, 1
	s_addc_u32 s5, s5, 0
	v_cmp_eq_u32_e32 vcc_lo, s4, v21
	flat_load_u8 v9, v[22:23]
	s_waitcnt vmcnt(0) lgkmcnt(0)
	v_dual_mov_b32 v23, s11 :: v_dual_and_b32 v22, 0xffff, v9
	s_delay_alu instid0(VALU_DEP_1) | instskip(SKIP_3) | instid1(VALU_DEP_1)
	v_lshlrev_b64 v[22:23], s0, v[22:23]
	s_add_u32 s0, s0, 8
	s_addc_u32 s1, s1, 0
	s_or_b32 s13, vcc_lo, s13
	v_or_b32_e32 v20, v23, v20
	s_delay_alu instid0(VALU_DEP_2)
	v_or_b32_e32 v19, v22, v19
	s_and_not1_b32 exec_lo, exec_lo, s13
	s_cbranch_execnz .LBB25_38
; %bb.39:                               ;   in Loop: Header=BB25_3 Depth=1
	s_or_b32 exec_lo, exec_lo, s13
.LBB25_40:                              ;   in Loop: Header=BB25_3 Depth=1
	s_delay_alu instid0(SALU_CYCLE_1)
	s_or_b32 exec_lo, exec_lo, s7
	s_mov_b32 s1, 0
                                        ; implicit-def: $vgpr21
.LBB25_41:                              ;   in Loop: Header=BB25_3 Depth=1
	s_or_saveexec_b32 s0, s6
	v_mov_b32_e32 v9, s1
	s_xor_b32 exec_lo, exec_lo, s0
	s_cbranch_execz .LBB25_43
; %bb.42:                               ;   in Loop: Header=BB25_3 Depth=1
	flat_load_b64 v[19:20], v[25:26]
	v_add_co_u32 v25, vcc_lo, v25, 8
	v_add_co_ci_u32_e32 v26, vcc_lo, 0, v26, vcc_lo
	s_waitcnt vmcnt(0) lgkmcnt(0)
	v_and_b32_e32 v9, 0xff, v20
	v_and_b32_e32 v22, 0xff00, v20
	;; [unrolled: 1-line block ×4, first 2 shown]
	v_or3_b32 v19, v19, 0, 0
	s_delay_alu instid0(VALU_DEP_4) | instskip(SKIP_1) | instid1(VALU_DEP_2)
	v_or_b32_e32 v22, v9, v22
	v_add_nc_u32_e32 v9, -8, v21
	v_or3_b32 v20, v22, v23, v20
.LBB25_43:                              ;   in Loop: Header=BB25_3 Depth=1
	s_or_b32 exec_lo, exec_lo, s0
                                        ; implicit-def: $vgpr21_vgpr22
                                        ; implicit-def: $sgpr1
	s_delay_alu instid0(SALU_CYCLE_1) | instskip(NEXT) | instid1(VALU_DEP_1)
	s_mov_b32 s0, exec_lo
	v_cmpx_gt_u32_e32 8, v9
	s_xor_b32 s6, exec_lo, s0
	s_cbranch_execz .LBB25_49
; %bb.44:                               ;   in Loop: Header=BB25_3 Depth=1
	v_mov_b32_e32 v21, 0
	v_mov_b32_e32 v22, 0
	s_mov_b32 s7, exec_lo
	v_cmpx_ne_u32_e32 0, v9
	s_cbranch_execz .LBB25_48
; %bb.45:                               ;   in Loop: Header=BB25_3 Depth=1
	v_mov_b32_e32 v21, 0
	v_mov_b32_e32 v22, 0
	s_mov_b64 s[0:1], 0
	s_mov_b32 s13, 0
	s_mov_b64 s[4:5], 0
	.p2align	6
.LBB25_46:                              ;   Parent Loop BB25_3 Depth=1
                                        ; =>  This Inner Loop Header: Depth=2
	s_delay_alu instid0(SALU_CYCLE_1)
	v_add_co_u32 v23, vcc_lo, v25, s4
	v_add_co_ci_u32_e32 v24, vcc_lo, s5, v26, vcc_lo
	s_add_u32 s4, s4, 1
	s_addc_u32 s5, s5, 0
	v_cmp_eq_u32_e32 vcc_lo, s4, v9
	flat_load_u8 v23, v[23:24]
	s_waitcnt vmcnt(0) lgkmcnt(0)
	v_dual_mov_b32 v24, s11 :: v_dual_and_b32 v23, 0xffff, v23
	s_delay_alu instid0(VALU_DEP_1) | instskip(SKIP_3) | instid1(VALU_DEP_1)
	v_lshlrev_b64 v[23:24], s0, v[23:24]
	s_add_u32 s0, s0, 8
	s_addc_u32 s1, s1, 0
	s_or_b32 s13, vcc_lo, s13
	v_or_b32_e32 v22, v24, v22
	s_delay_alu instid0(VALU_DEP_2)
	v_or_b32_e32 v21, v23, v21
	s_and_not1_b32 exec_lo, exec_lo, s13
	s_cbranch_execnz .LBB25_46
; %bb.47:                               ;   in Loop: Header=BB25_3 Depth=1
	s_or_b32 exec_lo, exec_lo, s13
.LBB25_48:                              ;   in Loop: Header=BB25_3 Depth=1
	s_delay_alu instid0(SALU_CYCLE_1)
	s_or_b32 exec_lo, exec_lo, s7
	s_mov_b32 s1, 0
                                        ; implicit-def: $vgpr9
.LBB25_49:                              ;   in Loop: Header=BB25_3 Depth=1
	s_or_saveexec_b32 s0, s6
	v_mov_b32_e32 v27, s1
	s_xor_b32 exec_lo, exec_lo, s0
	s_cbranch_execz .LBB25_51
; %bb.50:                               ;   in Loop: Header=BB25_3 Depth=1
	flat_load_b64 v[21:22], v[25:26]
	v_add_co_u32 v25, vcc_lo, v25, 8
	v_add_nc_u32_e32 v27, -8, v9
	v_add_co_ci_u32_e32 v26, vcc_lo, 0, v26, vcc_lo
	s_waitcnt vmcnt(0) lgkmcnt(0)
	v_and_b32_e32 v23, 0xff, v22
	v_and_b32_e32 v24, 0xff00, v22
	;; [unrolled: 1-line block ×4, first 2 shown]
	v_or3_b32 v21, v21, 0, 0
	s_delay_alu instid0(VALU_DEP_4) | instskip(NEXT) | instid1(VALU_DEP_1)
	v_or_b32_e32 v23, v23, v24
	v_or3_b32 v22, v23, v28, v22
.LBB25_51:                              ;   in Loop: Header=BB25_3 Depth=1
	s_or_b32 exec_lo, exec_lo, s0
	s_delay_alu instid0(SALU_CYCLE_1)
	s_mov_b32 s0, exec_lo
	v_cmpx_gt_u32_e32 8, v27
	s_xor_b32 s4, exec_lo, s0
	s_cbranch_execz .LBB25_57
; %bb.52:                               ;   in Loop: Header=BB25_3 Depth=1
	v_mov_b32_e32 v23, 0
	v_mov_b32_e32 v24, 0
	s_mov_b32 s5, exec_lo
	v_cmpx_ne_u32_e32 0, v27
	s_cbranch_execz .LBB25_56
; %bb.53:                               ;   in Loop: Header=BB25_3 Depth=1
	v_mov_b32_e32 v23, 0
	v_mov_b32_e32 v24, 0
	s_mov_b64 s[0:1], 0
	s_mov_b32 s6, 0
	.p2align	6
.LBB25_54:                              ;   Parent Loop BB25_3 Depth=1
                                        ; =>  This Inner Loop Header: Depth=2
	flat_load_u8 v9, v[25:26]
	v_dual_mov_b32 v32, s11 :: v_dual_add_nc_u32 v27, -1, v27
	v_add_co_u32 v25, vcc_lo, v25, 1
	v_add_co_ci_u32_e32 v26, vcc_lo, 0, v26, vcc_lo
	s_delay_alu instid0(VALU_DEP_3) | instskip(SKIP_2) | instid1(VALU_DEP_1)
	v_cmp_eq_u32_e32 vcc_lo, 0, v27
	s_waitcnt vmcnt(0) lgkmcnt(0)
	v_and_b32_e32 v31, 0xffff, v9
	v_lshlrev_b64 v[31:32], s0, v[31:32]
	s_add_u32 s0, s0, 8
	s_addc_u32 s1, s1, 0
	s_or_b32 s6, vcc_lo, s6
	s_delay_alu instid0(VALU_DEP_1) | instskip(NEXT) | instid1(VALU_DEP_2)
	v_or_b32_e32 v24, v32, v24
	v_or_b32_e32 v23, v31, v23
	s_and_not1_b32 exec_lo, exec_lo, s6
	s_cbranch_execnz .LBB25_54
; %bb.55:                               ;   in Loop: Header=BB25_3 Depth=1
	s_or_b32 exec_lo, exec_lo, s6
.LBB25_56:                              ;   in Loop: Header=BB25_3 Depth=1
	s_delay_alu instid0(SALU_CYCLE_1)
	s_or_b32 exec_lo, exec_lo, s5
                                        ; implicit-def: $vgpr25_vgpr26
.LBB25_57:                              ;   in Loop: Header=BB25_3 Depth=1
	s_and_not1_saveexec_b32 s0, s4
	s_cbranch_execz .LBB25_59
; %bb.58:                               ;   in Loop: Header=BB25_3 Depth=1
	flat_load_b64 v[23:24], v[25:26]
	s_waitcnt vmcnt(0) lgkmcnt(0)
	v_and_b32_e32 v9, 0xff, v24
	v_and_b32_e32 v25, 0xff00, v24
	;; [unrolled: 1-line block ×4, first 2 shown]
	v_or3_b32 v23, v23, 0, 0
	s_delay_alu instid0(VALU_DEP_4) | instskip(NEXT) | instid1(VALU_DEP_1)
	v_or_b32_e32 v9, v9, v25
	v_or3_b32 v24, v9, v26, v24
.LBB25_59:                              ;   in Loop: Header=BB25_3 Depth=1
	s_or_b32 exec_lo, exec_lo, s0
	v_readfirstlane_b32 s0, v33
	v_mov_b32_e32 v31, 0
	v_mov_b32_e32 v32, 0
	s_delay_alu instid0(VALU_DEP_3) | instskip(NEXT) | instid1(VALU_DEP_1)
	v_cmp_eq_u32_e64 s0, s0, v33
	s_and_saveexec_b32 s1, s0
	s_cbranch_execz .LBB25_65
; %bb.60:                               ;   in Loop: Header=BB25_3 Depth=1
	s_waitcnt lgkmcnt(0)
	global_load_b64 v[27:28], v10, s[2:3] offset:24 glc
	s_waitcnt vmcnt(0)
	buffer_gl1_inv
	buffer_gl0_inv
	s_clause 0x1
	global_load_b64 v[25:26], v10, s[2:3] offset:40
	global_load_b64 v[31:32], v10, s[2:3]
	s_mov_b32 s4, exec_lo
	s_waitcnt vmcnt(1)
	v_and_b32_e32 v9, v26, v28
	v_and_b32_e32 v25, v25, v27
	s_delay_alu instid0(VALU_DEP_2) | instskip(NEXT) | instid1(VALU_DEP_2)
	v_mul_lo_u32 v9, v9, 24
	v_mul_hi_u32 v26, v25, 24
	v_mul_lo_u32 v25, v25, 24
	s_delay_alu instid0(VALU_DEP_2) | instskip(SKIP_1) | instid1(VALU_DEP_2)
	v_add_nc_u32_e32 v9, v26, v9
	s_waitcnt vmcnt(0)
	v_add_co_u32 v25, vcc_lo, v31, v25
	s_delay_alu instid0(VALU_DEP_2)
	v_add_co_ci_u32_e32 v26, vcc_lo, v32, v9, vcc_lo
	global_load_b64 v[25:26], v[25:26], off glc
	s_waitcnt vmcnt(0)
	global_atomic_cmpswap_b64 v[31:32], v10, v[25:28], s[2:3] offset:24 glc
	s_waitcnt vmcnt(0)
	buffer_gl1_inv
	buffer_gl0_inv
	v_cmpx_ne_u64_e64 v[31:32], v[27:28]
	s_cbranch_execz .LBB25_64
; %bb.61:                               ;   in Loop: Header=BB25_3 Depth=1
	s_mov_b32 s5, 0
	.p2align	6
.LBB25_62:                              ;   Parent Loop BB25_3 Depth=1
                                        ; =>  This Inner Loop Header: Depth=2
	s_sleep 1
	s_clause 0x1
	global_load_b64 v[25:26], v10, s[2:3] offset:40
	global_load_b64 v[34:35], v10, s[2:3]
	v_dual_mov_b32 v27, v31 :: v_dual_mov_b32 v28, v32
	s_waitcnt vmcnt(1)
	s_delay_alu instid0(VALU_DEP_1) | instskip(SKIP_1) | instid1(VALU_DEP_1)
	v_and_b32_e32 v9, v25, v27
	s_waitcnt vmcnt(0)
	v_mad_u64_u32 v[31:32], null, v9, 24, v[34:35]
	s_delay_alu instid0(VALU_DEP_1) | instskip(NEXT) | instid1(VALU_DEP_1)
	v_dual_mov_b32 v9, v32 :: v_dual_and_b32 v34, v26, v28
	v_mad_u64_u32 v[25:26], null, v34, 24, v[9:10]
	s_delay_alu instid0(VALU_DEP_1)
	v_mov_b32_e32 v32, v25
	global_load_b64 v[25:26], v[31:32], off glc
	s_waitcnt vmcnt(0)
	global_atomic_cmpswap_b64 v[31:32], v10, v[25:28], s[2:3] offset:24 glc
	s_waitcnt vmcnt(0)
	buffer_gl1_inv
	buffer_gl0_inv
	v_cmp_eq_u64_e32 vcc_lo, v[31:32], v[27:28]
	s_or_b32 s5, vcc_lo, s5
	s_delay_alu instid0(SALU_CYCLE_1)
	s_and_not1_b32 exec_lo, exec_lo, s5
	s_cbranch_execnz .LBB25_62
; %bb.63:                               ;   in Loop: Header=BB25_3 Depth=1
	s_or_b32 exec_lo, exec_lo, s5
.LBB25_64:                              ;   in Loop: Header=BB25_3 Depth=1
	s_delay_alu instid0(SALU_CYCLE_1)
	s_or_b32 exec_lo, exec_lo, s4
.LBB25_65:                              ;   in Loop: Header=BB25_3 Depth=1
	s_delay_alu instid0(SALU_CYCLE_1)
	s_or_b32 exec_lo, exec_lo, s1
	s_waitcnt lgkmcnt(0)
	s_clause 0x1
	global_load_b64 v[34:35], v10, s[2:3] offset:40
	global_load_b128 v[25:28], v10, s[2:3]
	v_readfirstlane_b32 s4, v31
	v_readfirstlane_b32 s5, v32
	s_mov_b32 s1, exec_lo
	s_waitcnt vmcnt(1)
	v_readfirstlane_b32 s6, v34
	v_readfirstlane_b32 s7, v35
	s_delay_alu instid0(VALU_DEP_1) | instskip(NEXT) | instid1(SALU_CYCLE_1)
	s_and_b64 s[6:7], s[4:5], s[6:7]
	s_mul_i32 s13, s7, 24
	s_mul_hi_u32 s14, s6, 24
	s_mul_i32 s15, s6, 24
	s_add_i32 s14, s14, s13
	s_waitcnt vmcnt(0)
	v_add_co_u32 v31, vcc_lo, v25, s15
	v_add_co_ci_u32_e32 v32, vcc_lo, s14, v26, vcc_lo
	s_and_saveexec_b32 s13, s0
	s_cbranch_execz .LBB25_67
; %bb.66:                               ;   in Loop: Header=BB25_3 Depth=1
	v_mov_b32_e32 v9, s1
	global_store_b128 v[31:32], v[9:12], off offset:8
.LBB25_67:                              ;   in Loop: Header=BB25_3 Depth=1
	s_or_b32 exec_lo, exec_lo, s13
	v_cmp_lt_u64_e32 vcc_lo, 56, v[4:5]
	v_or_b32_e32 v9, 0, v1
	v_or_b32_e32 v34, v0, v6
	v_lshl_add_u32 v35, v29, 2, 28
	s_lshl_b64 s[6:7], s[6:7], 12
	s_delay_alu instid0(SALU_CYCLE_1) | instskip(NEXT) | instid1(VALU_DEP_1)
	v_add_co_u32 v27, s1, v27, s6
	v_add_co_ci_u32_e64 v28, s1, s7, v28, s1
	v_dual_cndmask_b32 v1, v9, v1 :: v_dual_cndmask_b32 v0, v34, v0
	v_and_b32_e32 v9, 0x1e0, v35
	v_lshlrev_b32_e32 v34, 6, v33
	v_readfirstlane_b32 s6, v27
	v_readfirstlane_b32 s7, v28
	s_delay_alu instid0(VALU_DEP_4)
	v_and_or_b32 v0, 0xffffff1f, v0, v9
	s_clause 0x3
	global_store_b128 v34, v[0:3], s[6:7]
	global_store_b128 v34, v[13:16], s[6:7] offset:16
	global_store_b128 v34, v[17:20], s[6:7] offset:32
	;; [unrolled: 1-line block ×3, first 2 shown]
	s_and_saveexec_b32 s1, s0
	s_cbranch_execz .LBB25_75
; %bb.68:                               ;   in Loop: Header=BB25_3 Depth=1
	s_clause 0x1
	global_load_b64 v[17:18], v10, s[2:3] offset:32 glc
	global_load_b64 v[0:1], v10, s[2:3] offset:40
	v_dual_mov_b32 v15, s4 :: v_dual_mov_b32 v16, s5
	s_waitcnt vmcnt(0)
	v_readfirstlane_b32 s6, v0
	v_readfirstlane_b32 s7, v1
	s_delay_alu instid0(VALU_DEP_1) | instskip(NEXT) | instid1(SALU_CYCLE_1)
	s_and_b64 s[6:7], s[6:7], s[4:5]
	s_mul_i32 s7, s7, 24
	s_mul_hi_u32 s13, s6, 24
	s_mul_i32 s6, s6, 24
	s_add_i32 s13, s13, s7
	v_add_co_u32 v13, vcc_lo, v25, s6
	v_add_co_ci_u32_e32 v14, vcc_lo, s13, v26, vcc_lo
	s_mov_b32 s6, exec_lo
	global_store_b64 v[13:14], v[17:18], off
	s_waitcnt_vscnt null, 0x0
	global_atomic_cmpswap_b64 v[2:3], v10, v[15:18], s[2:3] offset:32 glc
	s_waitcnt vmcnt(0)
	v_cmpx_ne_u64_e64 v[2:3], v[17:18]
	s_cbranch_execz .LBB25_71
; %bb.69:                               ;   in Loop: Header=BB25_3 Depth=1
	s_mov_b32 s7, 0
.LBB25_70:                              ;   Parent Loop BB25_3 Depth=1
                                        ; =>  This Inner Loop Header: Depth=2
	v_dual_mov_b32 v0, s4 :: v_dual_mov_b32 v1, s5
	s_sleep 1
	global_store_b64 v[13:14], v[2:3], off
	s_waitcnt_vscnt null, 0x0
	global_atomic_cmpswap_b64 v[0:1], v10, v[0:3], s[2:3] offset:32 glc
	s_waitcnt vmcnt(0)
	v_cmp_eq_u64_e32 vcc_lo, v[0:1], v[2:3]
	v_dual_mov_b32 v3, v1 :: v_dual_mov_b32 v2, v0
	s_or_b32 s7, vcc_lo, s7
	s_delay_alu instid0(SALU_CYCLE_1)
	s_and_not1_b32 exec_lo, exec_lo, s7
	s_cbranch_execnz .LBB25_70
.LBB25_71:                              ;   in Loop: Header=BB25_3 Depth=1
	s_or_b32 exec_lo, exec_lo, s6
	global_load_b64 v[0:1], v10, s[2:3] offset:16
	s_mov_b32 s7, exec_lo
	s_mov_b32 s6, exec_lo
	v_mbcnt_lo_u32_b32 v2, s7, 0
	s_delay_alu instid0(VALU_DEP_1)
	v_cmpx_eq_u32_e32 0, v2
	s_cbranch_execz .LBB25_73
; %bb.72:                               ;   in Loop: Header=BB25_3 Depth=1
	s_bcnt1_i32_b32 s7, s7
	s_delay_alu instid0(SALU_CYCLE_1)
	v_mov_b32_e32 v9, s7
	s_waitcnt vmcnt(0)
	global_atomic_add_u64 v[0:1], v[9:10], off offset:8
.LBB25_73:                              ;   in Loop: Header=BB25_3 Depth=1
	s_or_b32 exec_lo, exec_lo, s6
	s_waitcnt vmcnt(0)
	global_load_b64 v[2:3], v[0:1], off offset:16
	s_waitcnt vmcnt(0)
	v_cmp_eq_u64_e32 vcc_lo, 0, v[2:3]
	s_cbranch_vccnz .LBB25_75
; %bb.74:                               ;   in Loop: Header=BB25_3 Depth=1
	global_load_b32 v9, v[0:1], off offset:24
	s_waitcnt vmcnt(0)
	v_and_b32_e32 v0, 0xffffff, v9
	s_waitcnt_vscnt null, 0x0
	global_store_b64 v[2:3], v[9:10], off
	v_readfirstlane_b32 m0, v0
	s_sendmsg sendmsg(MSG_INTERRUPT)
.LBB25_75:                              ;   in Loop: Header=BB25_3 Depth=1
	s_or_b32 exec_lo, exec_lo, s1
	v_add_co_u32 v0, vcc_lo, v27, v34
	v_add_co_ci_u32_e32 v1, vcc_lo, 0, v28, vcc_lo
	s_branch .LBB25_79
	.p2align	6
.LBB25_76:                              ;   in Loop: Header=BB25_79 Depth=2
	s_or_b32 exec_lo, exec_lo, s1
	s_delay_alu instid0(VALU_DEP_1) | instskip(NEXT) | instid1(VALU_DEP_1)
	v_readfirstlane_b32 s1, v2
	s_cmp_eq_u32 s1, 0
	s_cbranch_scc1 .LBB25_78
; %bb.77:                               ;   in Loop: Header=BB25_79 Depth=2
	s_sleep 1
	s_cbranch_execnz .LBB25_79
	s_branch .LBB25_81
	.p2align	6
.LBB25_78:                              ;   in Loop: Header=BB25_3 Depth=1
	s_branch .LBB25_81
.LBB25_79:                              ;   Parent Loop BB25_3 Depth=1
                                        ; =>  This Inner Loop Header: Depth=2
	v_mov_b32_e32 v2, 1
	s_and_saveexec_b32 s1, s0
	s_cbranch_execz .LBB25_76
; %bb.80:                               ;   in Loop: Header=BB25_79 Depth=2
	global_load_b32 v2, v[31:32], off offset:20 glc
	s_waitcnt vmcnt(0)
	buffer_gl1_inv
	buffer_gl0_inv
	v_and_b32_e32 v2, 1, v2
	s_branch .LBB25_76
.LBB25_81:                              ;   in Loop: Header=BB25_3 Depth=1
	global_load_b128 v[0:3], v[0:1], off
	s_and_saveexec_b32 s1, s0
	s_cbranch_execz .LBB25_2
; %bb.82:                               ;   in Loop: Header=BB25_3 Depth=1
	s_clause 0x2
	global_load_b64 v[2:3], v10, s[2:3] offset:40
	global_load_b64 v[17:18], v10, s[2:3] offset:24 glc
	global_load_b64 v[15:16], v10, s[2:3]
	s_waitcnt vmcnt(2)
	v_add_co_u32 v9, vcc_lo, v2, 1
	v_add_co_ci_u32_e32 v19, vcc_lo, 0, v3, vcc_lo
	s_delay_alu instid0(VALU_DEP_2) | instskip(NEXT) | instid1(VALU_DEP_2)
	v_add_co_u32 v13, vcc_lo, v9, s4
	v_add_co_ci_u32_e32 v14, vcc_lo, s5, v19, vcc_lo
	s_delay_alu instid0(VALU_DEP_1) | instskip(SKIP_1) | instid1(VALU_DEP_1)
	v_cmp_eq_u64_e32 vcc_lo, 0, v[13:14]
	v_dual_cndmask_b32 v14, v14, v19 :: v_dual_cndmask_b32 v13, v13, v9
	v_and_b32_e32 v3, v14, v3
	s_delay_alu instid0(VALU_DEP_2) | instskip(NEXT) | instid1(VALU_DEP_2)
	v_and_b32_e32 v2, v13, v2
	v_mul_lo_u32 v3, v3, 24
	s_delay_alu instid0(VALU_DEP_2) | instskip(SKIP_1) | instid1(VALU_DEP_2)
	v_mul_hi_u32 v9, v2, 24
	v_mul_lo_u32 v2, v2, 24
	v_add_nc_u32_e32 v3, v9, v3
	s_waitcnt vmcnt(0)
	s_delay_alu instid0(VALU_DEP_2) | instskip(SKIP_1) | instid1(VALU_DEP_3)
	v_add_co_u32 v2, vcc_lo, v15, v2
	v_mov_b32_e32 v15, v17
	v_add_co_ci_u32_e32 v3, vcc_lo, v16, v3, vcc_lo
	v_mov_b32_e32 v16, v18
	global_store_b64 v[2:3], v[17:18], off
	s_waitcnt_vscnt null, 0x0
	global_atomic_cmpswap_b64 v[15:16], v10, v[13:16], s[2:3] offset:24 glc
	s_waitcnt vmcnt(0)
	v_cmp_ne_u64_e32 vcc_lo, v[15:16], v[17:18]
	s_and_b32 exec_lo, exec_lo, vcc_lo
	s_cbranch_execz .LBB25_2
; %bb.83:                               ;   in Loop: Header=BB25_3 Depth=1
	s_mov_b32 s0, 0
.LBB25_84:                              ;   Parent Loop BB25_3 Depth=1
                                        ; =>  This Inner Loop Header: Depth=2
	s_sleep 1
	global_store_b64 v[2:3], v[15:16], off
	s_waitcnt_vscnt null, 0x0
	global_atomic_cmpswap_b64 v[17:18], v10, v[13:16], s[2:3] offset:24 glc
	s_waitcnt vmcnt(0)
	v_cmp_eq_u64_e32 vcc_lo, v[17:18], v[15:16]
	v_dual_mov_b32 v15, v17 :: v_dual_mov_b32 v16, v18
	s_or_b32 s0, vcc_lo, s0
	s_delay_alu instid0(SALU_CYCLE_1)
	s_and_not1_b32 exec_lo, exec_lo, s0
	s_cbranch_execnz .LBB25_84
	s_branch .LBB25_2
.LBB25_85:
	s_or_b32 exec_lo, exec_lo, s12
                                        ; implicit-def: $vgpr0
                                        ; implicit-def: $vgpr33
                                        ; implicit-def: $vgpr1
.LBB25_86:
	s_and_not1_saveexec_b32 s1, s10
	s_cbranch_execz .LBB25_108
; %bb.87:
	s_load_b64 s[2:3], s[8:9], 0x50
	v_readfirstlane_b32 s0, v33
	v_mov_b32_e32 v8, 0
	v_mov_b32_e32 v9, 0
	s_delay_alu instid0(VALU_DEP_3) | instskip(NEXT) | instid1(VALU_DEP_1)
	v_cmp_eq_u32_e64 s0, s0, v33
	s_and_saveexec_b32 s4, s0
	s_cbranch_execz .LBB25_93
; %bb.88:
	s_waitcnt vmcnt(0)
	v_mov_b32_e32 v2, 0
	s_mov_b32 s5, exec_lo
	s_waitcnt lgkmcnt(0)
	global_load_b64 v[5:6], v2, s[2:3] offset:24 glc
	s_waitcnt vmcnt(0)
	buffer_gl1_inv
	buffer_gl0_inv
	s_clause 0x1
	global_load_b64 v[3:4], v2, s[2:3] offset:40
	global_load_b64 v[7:8], v2, s[2:3]
	s_waitcnt vmcnt(1)
	v_and_b32_e32 v3, v3, v5
	v_and_b32_e32 v4, v4, v6
	s_delay_alu instid0(VALU_DEP_2) | instskip(NEXT) | instid1(VALU_DEP_2)
	v_mul_hi_u32 v9, v3, 24
	v_mul_lo_u32 v4, v4, 24
	v_mul_lo_u32 v3, v3, 24
	s_delay_alu instid0(VALU_DEP_2) | instskip(SKIP_1) | instid1(VALU_DEP_2)
	v_add_nc_u32_e32 v4, v9, v4
	s_waitcnt vmcnt(0)
	v_add_co_u32 v3, vcc_lo, v7, v3
	s_delay_alu instid0(VALU_DEP_2)
	v_add_co_ci_u32_e32 v4, vcc_lo, v8, v4, vcc_lo
	global_load_b64 v[3:4], v[3:4], off glc
	s_waitcnt vmcnt(0)
	global_atomic_cmpswap_b64 v[8:9], v2, v[3:6], s[2:3] offset:24 glc
	s_waitcnt vmcnt(0)
	buffer_gl1_inv
	buffer_gl0_inv
	v_cmpx_ne_u64_e64 v[8:9], v[5:6]
	s_cbranch_execz .LBB25_92
; %bb.89:
	s_mov_b32 s6, 0
	.p2align	6
.LBB25_90:                              ; =>This Inner Loop Header: Depth=1
	s_sleep 1
	s_clause 0x1
	global_load_b64 v[3:4], v2, s[2:3] offset:40
	global_load_b64 v[10:11], v2, s[2:3]
	v_dual_mov_b32 v5, v8 :: v_dual_mov_b32 v6, v9
	s_waitcnt vmcnt(1)
	s_delay_alu instid0(VALU_DEP_1) | instskip(NEXT) | instid1(VALU_DEP_2)
	v_and_b32_e32 v3, v3, v5
	v_and_b32_e32 v4, v4, v6
	s_waitcnt vmcnt(0)
	s_delay_alu instid0(VALU_DEP_2) | instskip(NEXT) | instid1(VALU_DEP_1)
	v_mad_u64_u32 v[7:8], null, v3, 24, v[10:11]
	v_mov_b32_e32 v3, v8
	s_delay_alu instid0(VALU_DEP_1)
	v_mad_u64_u32 v[8:9], null, v4, 24, v[3:4]
	global_load_b64 v[3:4], v[7:8], off glc
	s_waitcnt vmcnt(0)
	global_atomic_cmpswap_b64 v[8:9], v2, v[3:6], s[2:3] offset:24 glc
	s_waitcnt vmcnt(0)
	buffer_gl1_inv
	buffer_gl0_inv
	v_cmp_eq_u64_e32 vcc_lo, v[8:9], v[5:6]
	s_or_b32 s6, vcc_lo, s6
	s_delay_alu instid0(SALU_CYCLE_1)
	s_and_not1_b32 exec_lo, exec_lo, s6
	s_cbranch_execnz .LBB25_90
; %bb.91:
	s_or_b32 exec_lo, exec_lo, s6
.LBB25_92:
	s_delay_alu instid0(SALU_CYCLE_1)
	s_or_b32 exec_lo, exec_lo, s5
.LBB25_93:
	s_delay_alu instid0(SALU_CYCLE_1)
	s_or_b32 exec_lo, exec_lo, s4
	s_waitcnt vmcnt(0)
	v_mov_b32_e32 v2, 0
	v_readfirstlane_b32 s4, v8
	v_readfirstlane_b32 s5, v9
	s_mov_b32 s8, exec_lo
	s_waitcnt lgkmcnt(0)
	s_clause 0x1
	global_load_b64 v[10:11], v2, s[2:3] offset:40
	global_load_b128 v[4:7], v2, s[2:3]
	s_waitcnt vmcnt(1)
	v_readfirstlane_b32 s6, v10
	v_readfirstlane_b32 s7, v11
	s_delay_alu instid0(VALU_DEP_1) | instskip(NEXT) | instid1(SALU_CYCLE_1)
	s_and_b64 s[6:7], s[4:5], s[6:7]
	s_mul_i32 s9, s7, 24
	s_mul_hi_u32 s10, s6, 24
	s_mul_i32 s11, s6, 24
	s_add_i32 s10, s10, s9
	s_waitcnt vmcnt(0)
	v_add_co_u32 v8, vcc_lo, v4, s11
	v_add_co_ci_u32_e32 v9, vcc_lo, s10, v5, vcc_lo
	s_and_saveexec_b32 s9, s0
	s_cbranch_execz .LBB25_95
; %bb.94:
	v_dual_mov_b32 v10, s8 :: v_dual_mov_b32 v11, v2
	v_dual_mov_b32 v12, 2 :: v_dual_mov_b32 v13, 1
	global_store_b128 v[8:9], v[10:13], off offset:8
.LBB25_95:
	s_or_b32 exec_lo, exec_lo, s9
	s_lshl_b64 s[6:7], s[6:7], 12
	s_mov_b32 s8, 0
	v_add_co_u32 v6, vcc_lo, v6, s6
	v_add_co_ci_u32_e32 v7, vcc_lo, s7, v7, vcc_lo
	s_mov_b32 s11, s8
	s_mov_b32 s9, s8
	;; [unrolled: 1-line block ×3, first 2 shown]
	v_and_or_b32 v0, 0xffffff1f, v0, 32
	v_dual_mov_b32 v3, v2 :: v_dual_lshlrev_b32 v14, 6, v33
	v_readfirstlane_b32 s6, v6
	v_readfirstlane_b32 s7, v7
	v_dual_mov_b32 v13, s11 :: v_dual_mov_b32 v12, s10
	v_dual_mov_b32 v11, s9 :: v_dual_mov_b32 v10, s8
	s_clause 0x3
	global_store_b128 v14, v[0:3], s[6:7]
	global_store_b128 v14, v[10:13], s[6:7] offset:16
	global_store_b128 v14, v[10:13], s[6:7] offset:32
	global_store_b128 v14, v[10:13], s[6:7] offset:48
	s_and_saveexec_b32 s6, s0
	s_cbranch_execz .LBB25_102
; %bb.96:
	v_mov_b32_e32 v6, 0
	s_mov_b32 s7, exec_lo
	s_clause 0x1
	global_load_b64 v[12:13], v6, s[2:3] offset:32 glc
	global_load_b64 v[0:1], v6, s[2:3] offset:40
	v_dual_mov_b32 v11, s5 :: v_dual_mov_b32 v10, s4
	s_waitcnt vmcnt(0)
	v_and_b32_e32 v1, s5, v1
	v_and_b32_e32 v0, s4, v0
	s_delay_alu instid0(VALU_DEP_2) | instskip(NEXT) | instid1(VALU_DEP_2)
	v_mul_lo_u32 v1, v1, 24
	v_mul_hi_u32 v2, v0, 24
	v_mul_lo_u32 v0, v0, 24
	s_delay_alu instid0(VALU_DEP_2) | instskip(NEXT) | instid1(VALU_DEP_2)
	v_add_nc_u32_e32 v1, v2, v1
	v_add_co_u32 v4, vcc_lo, v4, v0
	s_delay_alu instid0(VALU_DEP_2)
	v_add_co_ci_u32_e32 v5, vcc_lo, v5, v1, vcc_lo
	global_store_b64 v[4:5], v[12:13], off
	s_waitcnt_vscnt null, 0x0
	global_atomic_cmpswap_b64 v[2:3], v6, v[10:13], s[2:3] offset:32 glc
	s_waitcnt vmcnt(0)
	v_cmpx_ne_u64_e64 v[2:3], v[12:13]
	s_cbranch_execz .LBB25_98
.LBB25_97:                              ; =>This Inner Loop Header: Depth=1
	v_dual_mov_b32 v0, s4 :: v_dual_mov_b32 v1, s5
	s_sleep 1
	global_store_b64 v[4:5], v[2:3], off
	s_waitcnt_vscnt null, 0x0
	global_atomic_cmpswap_b64 v[0:1], v6, v[0:3], s[2:3] offset:32 glc
	s_waitcnt vmcnt(0)
	v_cmp_eq_u64_e32 vcc_lo, v[0:1], v[2:3]
	v_dual_mov_b32 v3, v1 :: v_dual_mov_b32 v2, v0
	s_or_b32 s8, vcc_lo, s8
	s_delay_alu instid0(SALU_CYCLE_1)
	s_and_not1_b32 exec_lo, exec_lo, s8
	s_cbranch_execnz .LBB25_97
.LBB25_98:
	s_or_b32 exec_lo, exec_lo, s7
	v_mov_b32_e32 v3, 0
	s_mov_b32 s8, exec_lo
	s_mov_b32 s7, exec_lo
	v_mbcnt_lo_u32_b32 v2, s8, 0
	global_load_b64 v[0:1], v3, s[2:3] offset:16
	v_cmpx_eq_u32_e32 0, v2
	s_cbranch_execz .LBB25_100
; %bb.99:
	s_bcnt1_i32_b32 s8, s8
	s_delay_alu instid0(SALU_CYCLE_1)
	v_mov_b32_e32 v2, s8
	s_waitcnt vmcnt(0)
	global_atomic_add_u64 v[0:1], v[2:3], off offset:8
.LBB25_100:
	s_or_b32 exec_lo, exec_lo, s7
	s_waitcnt vmcnt(0)
	global_load_b64 v[2:3], v[0:1], off offset:16
	s_waitcnt vmcnt(0)
	v_cmp_eq_u64_e32 vcc_lo, 0, v[2:3]
	s_cbranch_vccnz .LBB25_102
; %bb.101:
	global_load_b32 v0, v[0:1], off offset:24
	s_waitcnt vmcnt(0)
	v_dual_mov_b32 v1, 0 :: v_dual_and_b32 v4, 0xffffff, v0
	s_waitcnt_vscnt null, 0x0
	global_store_b64 v[2:3], v[0:1], off
	v_readfirstlane_b32 m0, v4
	s_sendmsg sendmsg(MSG_INTERRUPT)
.LBB25_102:
	s_or_b32 exec_lo, exec_lo, s6
	s_branch .LBB25_106
	.p2align	6
.LBB25_103:                             ;   in Loop: Header=BB25_106 Depth=1
	s_or_b32 exec_lo, exec_lo, s6
	s_delay_alu instid0(VALU_DEP_1) | instskip(NEXT) | instid1(VALU_DEP_1)
	v_readfirstlane_b32 s6, v0
	s_cmp_eq_u32 s6, 0
	s_cbranch_scc1 .LBB25_105
; %bb.104:                              ;   in Loop: Header=BB25_106 Depth=1
	s_sleep 1
	s_cbranch_execnz .LBB25_106
	s_branch .LBB25_109
	.p2align	6
.LBB25_105:
	s_branch .LBB25_109
.LBB25_106:                             ; =>This Inner Loop Header: Depth=1
	v_mov_b32_e32 v0, 1
	s_and_saveexec_b32 s6, s0
	s_cbranch_execz .LBB25_103
; %bb.107:                              ;   in Loop: Header=BB25_106 Depth=1
	global_load_b32 v0, v[8:9], off offset:20 glc
	s_waitcnt vmcnt(0)
	buffer_gl1_inv
	buffer_gl0_inv
	v_and_b32_e32 v0, 1, v0
	s_branch .LBB25_103
.LBB25_108:
	s_or_b32 exec_lo, exec_lo, s1
	s_waitcnt vmcnt(0) lgkmcnt(0)
	s_setpc_b64 s[30:31]
.LBB25_109:
	s_and_saveexec_b32 s6, s0
	s_cbranch_execz .LBB25_113
; %bb.110:
	v_mov_b32_e32 v6, 0
	s_clause 0x2
	global_load_b64 v[2:3], v6, s[2:3] offset:40
	global_load_b64 v[7:8], v6, s[2:3] offset:24 glc
	global_load_b64 v[4:5], v6, s[2:3]
	s_waitcnt vmcnt(2)
	v_add_co_u32 v9, vcc_lo, v2, 1
	v_add_co_ci_u32_e32 v10, vcc_lo, 0, v3, vcc_lo
	s_delay_alu instid0(VALU_DEP_2) | instskip(NEXT) | instid1(VALU_DEP_2)
	v_add_co_u32 v0, vcc_lo, v9, s4
	v_add_co_ci_u32_e32 v1, vcc_lo, s5, v10, vcc_lo
	s_delay_alu instid0(VALU_DEP_1) | instskip(SKIP_1) | instid1(VALU_DEP_1)
	v_cmp_eq_u64_e32 vcc_lo, 0, v[0:1]
	v_dual_cndmask_b32 v1, v1, v10 :: v_dual_cndmask_b32 v0, v0, v9
	v_and_b32_e32 v3, v1, v3
	s_delay_alu instid0(VALU_DEP_2) | instskip(NEXT) | instid1(VALU_DEP_2)
	v_and_b32_e32 v2, v0, v2
	v_mul_lo_u32 v3, v3, 24
	s_delay_alu instid0(VALU_DEP_2) | instskip(SKIP_1) | instid1(VALU_DEP_2)
	v_mul_hi_u32 v9, v2, 24
	v_mul_lo_u32 v2, v2, 24
	v_add_nc_u32_e32 v3, v9, v3
	s_waitcnt vmcnt(0)
	s_delay_alu instid0(VALU_DEP_2) | instskip(SKIP_1) | instid1(VALU_DEP_3)
	v_add_co_u32 v4, vcc_lo, v4, v2
	v_mov_b32_e32 v2, v7
	v_add_co_ci_u32_e32 v5, vcc_lo, v5, v3, vcc_lo
	v_mov_b32_e32 v3, v8
	global_store_b64 v[4:5], v[7:8], off
	s_waitcnt_vscnt null, 0x0
	global_atomic_cmpswap_b64 v[2:3], v6, v[0:3], s[2:3] offset:24 glc
	s_waitcnt vmcnt(0)
	v_cmp_ne_u64_e32 vcc_lo, v[2:3], v[7:8]
	s_and_b32 exec_lo, exec_lo, vcc_lo
	s_cbranch_execz .LBB25_113
; %bb.111:
	s_mov_b32 s0, 0
.LBB25_112:                             ; =>This Inner Loop Header: Depth=1
	s_sleep 1
	global_store_b64 v[4:5], v[2:3], off
	s_waitcnt_vscnt null, 0x0
	global_atomic_cmpswap_b64 v[7:8], v6, v[0:3], s[2:3] offset:24 glc
	s_waitcnt vmcnt(0)
	v_cmp_eq_u64_e32 vcc_lo, v[7:8], v[2:3]
	v_dual_mov_b32 v2, v7 :: v_dual_mov_b32 v3, v8
	s_or_b32 s0, vcc_lo, s0
	s_delay_alu instid0(SALU_CYCLE_1)
	s_and_not1_b32 exec_lo, exec_lo, s0
	s_cbranch_execnz .LBB25_112
.LBB25_113:
	s_or_b32 exec_lo, exec_lo, s6
	s_delay_alu instid0(SALU_CYCLE_1)
	s_or_b32 exec_lo, exec_lo, s1
	s_waitcnt lgkmcnt(0)
	s_setpc_b64 s[30:31]
.Lfunc_end25:
	.size	__ockl_fprintf_append_string_n, .Lfunc_end25-__ockl_fprintf_append_string_n
                                        ; -- End function
	.section	.AMDGPU.csdata,"",@progbits
; Function info:
; codeLenInByte = 4740
; NumSgprs: 34
; NumVgprs: 36
; ScratchSize: 0
; MemoryBound: 0
	.text
	.p2align	2                               ; -- Begin function __assert_fail
	.type	__assert_fail,@function
__assert_fail:                          ; @__assert_fail
; %bb.0:
	s_waitcnt vmcnt(0) expcnt(0) lgkmcnt(0)
	s_mov_b32 s16, s33
	s_mov_b32 s33, s32
	s_or_saveexec_b32 s0, -1
	scratch_store_b32 off, v40, s33 offset:48 ; 4-byte Folded Spill
	s_mov_b32 exec_lo, s0
	v_writelane_b32 v40, s30, 0
	s_add_i32 s32, s32, 64
	v_writelane_b32 v40, s31, 1
	s_getpc_b64 s[0:1]
	s_add_u32 s0, s0, __const.__assert_fail.fmt@rel32@lo+4
	s_addc_u32 s1, s1, __const.__assert_fail.fmt@rel32@hi+12
	s_getpc_b64 s[2:3]
	s_add_u32 s2, s2, __const.__assert_fail.fmt@rel32@lo+20
	s_addc_u32 s3, s3, __const.__assert_fail.fmt@rel32@hi+28
	v_mbcnt_lo_u32_b32 v49, -1, 0
	s_clause 0x1
	s_load_b128 s[4:7], s[0:1], 0x0
	s_load_b128 s[12:15], s[2:3], 0x0
	s_load_b64 s[2:3], s[8:9], 0x50
	v_dual_mov_b32 v8, v1 :: v_dual_mov_b32 v7, v0
	v_dual_mov_b32 v9, 0 :: v_dual_mov_b32 v18, 0x73256020
	v_readfirstlane_b32 s0, v49
	v_mov_b32_e32 v21, 0xa2e
	v_mov_b32_e32 v19, 0x61662027
	;; [unrolled: 1-line block ×4, first 2 shown]
	v_cmp_eq_u32_e64 s0, s0, v49
	v_mov_b32_e32 v1, 0
	s_waitcnt lgkmcnt(0)
	v_mov_b32_e32 v13, s7
	v_mov_b32_e32 v17, s15
	v_dual_mov_b32 v15, s13 :: v_dual_mov_b32 v12, s6
	v_dual_mov_b32 v11, s5 :: v_dual_mov_b32 v14, s12
	v_mov_b32_e32 v10, s4
	v_mov_b32_e32 v16, s14
	s_clause 0x4
	scratch_store_b128 off, v[10:13], s33
	scratch_store_b128 off, v[14:17], s33 offset:16
	scratch_store_b8 off, v9, s33 offset:46
	scratch_store_b16 off, v21, s33 offset:44
	scratch_store_b96 off, v[18:20], s33 offset:32
	s_and_saveexec_b32 s1, s0
	s_cbranch_execz .LBB26_6
; %bb.1:
	global_load_b64 v[12:13], v9, s[2:3] offset:24 glc
	s_waitcnt vmcnt(0)
	buffer_gl1_inv
	buffer_gl0_inv
	s_clause 0x1
	global_load_b64 v[0:1], v9, s[2:3] offset:40
	global_load_b64 v[10:11], v9, s[2:3]
	s_mov_b32 s4, exec_lo
	s_waitcnt vmcnt(1)
	v_and_b32_e32 v1, v1, v13
	v_and_b32_e32 v0, v0, v12
	s_delay_alu instid0(VALU_DEP_2) | instskip(NEXT) | instid1(VALU_DEP_2)
	v_mul_lo_u32 v1, v1, 24
	v_mul_hi_u32 v14, v0, 24
	v_mul_lo_u32 v0, v0, 24
	s_delay_alu instid0(VALU_DEP_2) | instskip(SKIP_1) | instid1(VALU_DEP_2)
	v_add_nc_u32_e32 v1, v14, v1
	s_waitcnt vmcnt(0)
	v_add_co_u32 v0, vcc_lo, v10, v0
	s_delay_alu instid0(VALU_DEP_2)
	v_add_co_ci_u32_e32 v1, vcc_lo, v11, v1, vcc_lo
	global_load_b64 v[10:11], v[0:1], off glc
	s_waitcnt vmcnt(0)
	global_atomic_cmpswap_b64 v[0:1], v9, v[10:13], s[2:3] offset:24 glc
	s_waitcnt vmcnt(0)
	buffer_gl1_inv
	buffer_gl0_inv
	v_cmpx_ne_u64_e64 v[0:1], v[12:13]
	s_cbranch_execz .LBB26_5
; %bb.2:
	s_mov_b32 s5, 0
	.p2align	6
.LBB26_3:                               ; =>This Inner Loop Header: Depth=1
	s_sleep 1
	s_clause 0x1
	global_load_b64 v[10:11], v9, s[2:3] offset:40
	global_load_b64 v[14:15], v9, s[2:3]
	v_dual_mov_b32 v13, v1 :: v_dual_mov_b32 v12, v0
	s_waitcnt vmcnt(1)
	s_delay_alu instid0(VALU_DEP_1) | instskip(SKIP_1) | instid1(VALU_DEP_1)
	v_and_b32_e32 v10, v10, v12
	s_waitcnt vmcnt(0)
	v_mad_u64_u32 v[0:1], null, v10, 24, v[14:15]
	v_and_b32_e32 v14, v11, v13
	s_delay_alu instid0(VALU_DEP_1) | instskip(NEXT) | instid1(VALU_DEP_1)
	v_mad_u64_u32 v[10:11], null, v14, 24, v[1:2]
	v_mov_b32_e32 v1, v10
	global_load_b64 v[10:11], v[0:1], off glc
	s_waitcnt vmcnt(0)
	global_atomic_cmpswap_b64 v[0:1], v9, v[10:13], s[2:3] offset:24 glc
	s_waitcnt vmcnt(0)
	buffer_gl1_inv
	buffer_gl0_inv
	v_cmp_eq_u64_e32 vcc_lo, v[0:1], v[12:13]
	s_or_b32 s5, vcc_lo, s5
	s_delay_alu instid0(SALU_CYCLE_1)
	s_and_not1_b32 exec_lo, exec_lo, s5
	s_cbranch_execnz .LBB26_3
; %bb.4:
	s_or_b32 exec_lo, exec_lo, s5
.LBB26_5:
	s_delay_alu instid0(SALU_CYCLE_1)
	s_or_b32 exec_lo, exec_lo, s4
.LBB26_6:
	s_delay_alu instid0(SALU_CYCLE_1)
	s_or_b32 exec_lo, exec_lo, s1
	s_clause 0x1
	global_load_b64 v[10:11], v9, s[2:3] offset:40
	global_load_b128 v[13:16], v9, s[2:3]
	v_readfirstlane_b32 s4, v0
	v_readfirstlane_b32 s5, v1
	s_mov_b32 s1, exec_lo
	s_waitcnt vmcnt(1)
	v_readfirstlane_b32 s6, v10
	v_readfirstlane_b32 s7, v11
	s_delay_alu instid0(VALU_DEP_1) | instskip(NEXT) | instid1(SALU_CYCLE_1)
	s_and_b64 s[6:7], s[4:5], s[6:7]
	s_mul_i32 s10, s7, 24
	s_mul_hi_u32 s11, s6, 24
	s_mul_i32 s12, s6, 24
	s_add_i32 s11, s11, s10
	s_waitcnt vmcnt(0)
	v_add_co_u32 v0, vcc_lo, v13, s12
	v_add_co_ci_u32_e32 v1, vcc_lo, s11, v14, vcc_lo
	s_and_saveexec_b32 s10, s0
	s_cbranch_execz .LBB26_8
; %bb.7:
	v_dual_mov_b32 v9, s1 :: v_dual_mov_b32 v10, 0
	v_dual_mov_b32 v11, 2 :: v_dual_mov_b32 v12, 1
	global_store_b128 v[0:1], v[9:12], off offset:8
.LBB26_8:
	s_or_b32 exec_lo, exec_lo, s10
	s_lshl_b64 s[6:7], s[6:7], 12
	v_dual_mov_b32 v11, 1 :: v_dual_lshlrev_b32 v48, 6, v49
	v_add_co_u32 v15, vcc_lo, v15, s6
	v_add_co_ci_u32_e32 v16, vcc_lo, s7, v16, vcc_lo
	v_dual_mov_b32 v10, 0 :: v_dual_mov_b32 v9, 33
	s_mov_b32 s12, 0
	s_delay_alu instid0(VALU_DEP_3)
	v_readfirstlane_b32 s6, v15
	s_mov_b32 s15, s12
	v_add_co_u32 v15, vcc_lo, v15, v48
	s_mov_b32 s13, s12
	s_mov_b32 s14, s12
	v_mov_b32_e32 v12, v10
	v_readfirstlane_b32 s7, v16
	v_dual_mov_b32 v20, s15 :: v_dual_mov_b32 v17, s12
	v_add_co_ci_u32_e32 v16, vcc_lo, 0, v16, vcc_lo
	v_dual_mov_b32 v19, s14 :: v_dual_mov_b32 v18, s13
	s_clause 0x3
	global_store_b128 v48, v[9:12], s[6:7]
	global_store_b128 v48, v[17:20], s[6:7] offset:16
	global_store_b128 v48, v[17:20], s[6:7] offset:32
	;; [unrolled: 1-line block ×3, first 2 shown]
	s_and_saveexec_b32 s1, s0
	s_cbranch_execz .LBB26_16
; %bb.9:
	s_clause 0x1
	global_load_b64 v[21:22], v10, s[2:3] offset:32 glc
	global_load_b64 v[11:12], v10, s[2:3] offset:40
	v_mov_b32_e32 v19, s4
	s_mov_b32 s6, exec_lo
	s_waitcnt vmcnt(0)
	v_dual_mov_b32 v20, s5 :: v_dual_and_b32 v9, s5, v12
	v_and_b32_e32 v11, s4, v11
	s_delay_alu instid0(VALU_DEP_2) | instskip(NEXT) | instid1(VALU_DEP_2)
	v_mul_lo_u32 v9, v9, 24
	v_mul_hi_u32 v12, v11, 24
	v_mul_lo_u32 v11, v11, 24
	s_delay_alu instid0(VALU_DEP_2) | instskip(NEXT) | instid1(VALU_DEP_2)
	v_add_nc_u32_e32 v9, v12, v9
	v_add_co_u32 v17, vcc_lo, v13, v11
	s_delay_alu instid0(VALU_DEP_2)
	v_add_co_ci_u32_e32 v18, vcc_lo, v14, v9, vcc_lo
	global_store_b64 v[17:18], v[21:22], off
	s_waitcnt_vscnt null, 0x0
	global_atomic_cmpswap_b64 v[13:14], v10, v[19:22], s[2:3] offset:32 glc
	s_waitcnt vmcnt(0)
	v_cmpx_ne_u64_e64 v[13:14], v[21:22]
	s_cbranch_execz .LBB26_12
; %bb.10:
	s_mov_b32 s7, 0
.LBB26_11:                              ; =>This Inner Loop Header: Depth=1
	v_dual_mov_b32 v11, s4 :: v_dual_mov_b32 v12, s5
	s_sleep 1
	global_store_b64 v[17:18], v[13:14], off
	s_waitcnt_vscnt null, 0x0
	global_atomic_cmpswap_b64 v[11:12], v10, v[11:14], s[2:3] offset:32 glc
	s_waitcnt vmcnt(0)
	v_cmp_eq_u64_e32 vcc_lo, v[11:12], v[13:14]
	v_dual_mov_b32 v14, v12 :: v_dual_mov_b32 v13, v11
	s_or_b32 s7, vcc_lo, s7
	s_delay_alu instid0(SALU_CYCLE_1)
	s_and_not1_b32 exec_lo, exec_lo, s7
	s_cbranch_execnz .LBB26_11
.LBB26_12:
	s_or_b32 exec_lo, exec_lo, s6
	v_mov_b32_e32 v12, 0
	s_mov_b32 s7, exec_lo
	s_mov_b32 s6, exec_lo
	v_mbcnt_lo_u32_b32 v11, s7, 0
	global_load_b64 v[9:10], v12, s[2:3] offset:16
	v_cmpx_eq_u32_e32 0, v11
	s_cbranch_execz .LBB26_14
; %bb.13:
	s_bcnt1_i32_b32 s7, s7
	s_delay_alu instid0(SALU_CYCLE_1)
	v_mov_b32_e32 v11, s7
	s_waitcnt vmcnt(0)
	global_atomic_add_u64 v[9:10], v[11:12], off offset:8
.LBB26_14:
	s_or_b32 exec_lo, exec_lo, s6
	s_waitcnt vmcnt(0)
	global_load_b64 v[11:12], v[9:10], off offset:16
	s_waitcnt vmcnt(0)
	v_cmp_eq_u64_e32 vcc_lo, 0, v[11:12]
	s_cbranch_vccnz .LBB26_16
; %bb.15:
	global_load_b32 v9, v[9:10], off offset:24
	s_waitcnt vmcnt(0)
	v_dual_mov_b32 v10, 0 :: v_dual_and_b32 v13, 0xffffff, v9
	s_waitcnt_vscnt null, 0x0
	global_store_b64 v[11:12], v[9:10], off
	v_readfirstlane_b32 m0, v13
	s_sendmsg sendmsg(MSG_INTERRUPT)
.LBB26_16:
	s_or_b32 exec_lo, exec_lo, s1
	s_branch .LBB26_20
	.p2align	6
.LBB26_17:                              ;   in Loop: Header=BB26_20 Depth=1
	s_or_b32 exec_lo, exec_lo, s1
	s_delay_alu instid0(VALU_DEP_1) | instskip(NEXT) | instid1(VALU_DEP_1)
	v_readfirstlane_b32 s1, v9
	s_cmp_eq_u32 s1, 0
	s_cbranch_scc1 .LBB26_19
; %bb.18:                               ;   in Loop: Header=BB26_20 Depth=1
	s_sleep 1
	s_cbranch_execnz .LBB26_20
	s_branch .LBB26_22
	.p2align	6
.LBB26_19:
	s_branch .LBB26_22
.LBB26_20:                              ; =>This Inner Loop Header: Depth=1
	v_mov_b32_e32 v9, 1
	s_and_saveexec_b32 s1, s0
	s_cbranch_execz .LBB26_17
; %bb.21:                               ;   in Loop: Header=BB26_20 Depth=1
	global_load_b32 v9, v[0:1], off offset:20 glc
	s_waitcnt vmcnt(0)
	buffer_gl1_inv
	buffer_gl0_inv
	v_and_b32_e32 v9, 1, v9
	s_branch .LBB26_17
.LBB26_22:
	global_load_b64 v[13:14], v[15:16], off
	s_and_saveexec_b32 s1, s0
	s_cbranch_execz .LBB26_26
; %bb.23:
	v_mov_b32_e32 v15, 0
	s_clause 0x2
	global_load_b64 v[0:1], v15, s[2:3] offset:40
	global_load_b64 v[16:17], v15, s[2:3] offset:24 glc
	global_load_b64 v[11:12], v15, s[2:3]
	s_waitcnt vmcnt(2)
	v_add_co_u32 v18, vcc_lo, v0, 1
	v_add_co_ci_u32_e32 v19, vcc_lo, 0, v1, vcc_lo
	s_delay_alu instid0(VALU_DEP_2) | instskip(NEXT) | instid1(VALU_DEP_2)
	v_add_co_u32 v9, vcc_lo, v18, s4
	v_add_co_ci_u32_e32 v10, vcc_lo, s5, v19, vcc_lo
	s_delay_alu instid0(VALU_DEP_1) | instskip(SKIP_1) | instid1(VALU_DEP_1)
	v_cmp_eq_u64_e32 vcc_lo, 0, v[9:10]
	v_dual_cndmask_b32 v10, v10, v19 :: v_dual_cndmask_b32 v9, v9, v18
	v_and_b32_e32 v1, v10, v1
	s_delay_alu instid0(VALU_DEP_2) | instskip(NEXT) | instid1(VALU_DEP_2)
	v_and_b32_e32 v0, v9, v0
	v_mul_lo_u32 v1, v1, 24
	s_delay_alu instid0(VALU_DEP_2) | instskip(SKIP_1) | instid1(VALU_DEP_2)
	v_mul_hi_u32 v18, v0, 24
	v_mul_lo_u32 v0, v0, 24
	v_add_nc_u32_e32 v1, v18, v1
	s_waitcnt vmcnt(0)
	s_delay_alu instid0(VALU_DEP_2) | instskip(SKIP_1) | instid1(VALU_DEP_3)
	v_add_co_u32 v0, vcc_lo, v11, v0
	v_mov_b32_e32 v11, v16
	v_add_co_ci_u32_e32 v1, vcc_lo, v12, v1, vcc_lo
	v_mov_b32_e32 v12, v17
	global_store_b64 v[0:1], v[16:17], off
	s_waitcnt_vscnt null, 0x0
	global_atomic_cmpswap_b64 v[11:12], v15, v[9:12], s[2:3] offset:24 glc
	s_waitcnt vmcnt(0)
	v_cmp_ne_u64_e32 vcc_lo, v[11:12], v[16:17]
	s_and_b32 exec_lo, exec_lo, vcc_lo
	s_cbranch_execz .LBB26_26
; %bb.24:
	s_mov_b32 s0, 0
.LBB26_25:                              ; =>This Inner Loop Header: Depth=1
	s_sleep 1
	global_store_b64 v[0:1], v[11:12], off
	s_waitcnt_vscnt null, 0x0
	global_atomic_cmpswap_b64 v[16:17], v15, v[9:12], s[2:3] offset:24 glc
	s_waitcnt vmcnt(0)
	v_cmp_eq_u64_e32 vcc_lo, v[16:17], v[11:12]
	v_dual_mov_b32 v11, v16 :: v_dual_mov_b32 v12, v17
	s_or_b32 s0, vcc_lo, s0
	s_delay_alu instid0(SALU_CYCLE_1)
	s_and_not1_b32 exec_lo, exec_lo, s0
	s_cbranch_execnz .LBB26_25
.LBB26_26:
	s_or_b32 exec_lo, exec_lo, s1
	v_mov_b32_e32 v1, s33
	s_mov_b32 s0, 0
.LBB26_27:                              ; =>This Inner Loop Header: Depth=1
	scratch_load_u8 v9, v1, off
	v_add_nc_u32_e32 v0, 1, v1
	s_delay_alu instid0(VALU_DEP_1) | instskip(SKIP_3) | instid1(SALU_CYCLE_1)
	v_mov_b32_e32 v1, v0
	s_waitcnt vmcnt(0)
	v_cmp_eq_u16_e32 vcc_lo, 0, v9
	s_or_b32 s0, vcc_lo, s0
	s_and_not1_b32 exec_lo, exec_lo, s0
	s_cbranch_execnz .LBB26_27
; %bb.28:
	s_or_b32 exec_lo, exec_lo, s0
	v_cmp_ne_u32_e64 s0, -1, s33
	s_delay_alu instid0(VALU_DEP_1)
	s_and_b32 vcc_lo, exec_lo, s0
	s_cbranch_vccz .LBB26_113
; %bb.29:
	v_subrev_nc_u32_e32 v0, s33, v0
	v_dual_mov_b32 v16, 0 :: v_dual_and_b32 v39, 2, v13
	v_dual_mov_b32 v10, v14 :: v_dual_and_b32 v9, -3, v13
	s_delay_alu instid0(VALU_DEP_3)
	v_ashrrev_i32_e32 v1, 31, v0
	v_dual_mov_b32 v50, s33 :: v_dual_mov_b32 v17, 2
	v_mov_b32_e32 v18, 1
	s_mov_b32 s11, 0
	s_mov_b32 s10, 0
	s_branch .LBB26_31
.LBB26_30:                              ;   in Loop: Header=BB26_31 Depth=1
	s_or_b32 exec_lo, exec_lo, s1
	v_sub_co_u32 v0, vcc_lo, v0, v35
	v_sub_co_ci_u32_e32 v1, vcc_lo, v1, v36, vcc_lo
	v_add_nc_u32_e32 v50, v50, v35
	s_delay_alu instid0(VALU_DEP_2) | instskip(SKIP_1) | instid1(SALU_CYCLE_1)
	v_cmp_eq_u64_e32 vcc_lo, 0, v[0:1]
	s_or_b32 s10, vcc_lo, s10
	s_and_not1_b32 exec_lo, exec_lo, s10
	s_cbranch_execz .LBB26_114
.LBB26_31:                              ; =>This Loop Header: Depth=1
                                        ;     Child Loop BB26_34 Depth 2
                                        ;     Child Loop BB26_42 Depth 2
	;; [unrolled: 1-line block ×11, first 2 shown]
	v_cmp_gt_u64_e32 vcc_lo, 56, v[0:1]
	s_mov_b32 s4, exec_lo
                                        ; implicit-def: $vgpr11_vgpr12
                                        ; implicit-def: $sgpr1
	v_dual_cndmask_b32 v36, 0, v1 :: v_dual_cndmask_b32 v35, 56, v0
	v_cmpx_gt_u64_e32 8, v[0:1]
	s_xor_b32 s4, exec_lo, s4
	s_cbranch_execz .LBB26_37
; %bb.32:                               ;   in Loop: Header=BB26_31 Depth=1
	s_waitcnt vmcnt(0)
	v_mov_b32_e32 v11, 0
	v_mov_b32_e32 v12, 0
	s_mov_b64 s[0:1], 0
	s_mov_b32 s5, exec_lo
	v_cmpx_ne_u64_e32 0, v[0:1]
	s_cbranch_execz .LBB26_36
; %bb.33:                               ;   in Loop: Header=BB26_31 Depth=1
	v_lshlrev_b64 v[19:20], 3, v[35:36]
	v_mov_b32_e32 v11, 0
	v_dual_mov_b32 v12, 0 :: v_dual_mov_b32 v15, v50
	s_mov_b32 s6, 0
.LBB26_34:                              ;   Parent Loop BB26_31 Depth=1
                                        ; =>  This Inner Loop Header: Depth=2
	scratch_load_u8 v20, v15, off
	v_mov_b32_e32 v21, s11
	v_add_nc_u32_e32 v15, 1, v15
	s_waitcnt vmcnt(0)
	v_and_b32_e32 v20, 0xffff, v20
	s_delay_alu instid0(VALU_DEP_1) | instskip(SKIP_3) | instid1(VALU_DEP_2)
	v_lshlrev_b64 v[20:21], s0, v[20:21]
	s_add_u32 s0, s0, 8
	s_addc_u32 s1, s1, 0
	v_cmp_eq_u32_e32 vcc_lo, s0, v19
	v_or_b32_e32 v12, v21, v12
	s_delay_alu instid0(VALU_DEP_3) | instskip(SKIP_1) | instid1(SALU_CYCLE_1)
	v_or_b32_e32 v11, v20, v11
	s_or_b32 s6, vcc_lo, s6
	s_and_not1_b32 exec_lo, exec_lo, s6
	s_cbranch_execnz .LBB26_34
; %bb.35:                               ;   in Loop: Header=BB26_31 Depth=1
	s_or_b32 exec_lo, exec_lo, s6
.LBB26_36:                              ;   in Loop: Header=BB26_31 Depth=1
	s_delay_alu instid0(SALU_CYCLE_1)
	s_or_b32 exec_lo, exec_lo, s5
	s_mov_b32 s1, 0
.LBB26_37:                              ;   in Loop: Header=BB26_31 Depth=1
	s_or_saveexec_b32 s0, s4
	v_mov_b32_e32 v21, s1
	v_mov_b32_e32 v15, v50
	s_xor_b32 exec_lo, exec_lo, s0
	s_cbranch_execz .LBB26_39
; %bb.38:                               ;   in Loop: Header=BB26_31 Depth=1
	scratch_load_b64 v[11:12], v50, off
	v_add_nc_u32_e32 v21, -8, v35
	s_waitcnt vmcnt(0)
	v_and_b32_e32 v15, 0xff, v12
	v_and_b32_e32 v19, 0xff00, v12
	;; [unrolled: 1-line block ×4, first 2 shown]
	v_or3_b32 v11, v11, 0, 0
	s_delay_alu instid0(VALU_DEP_4) | instskip(NEXT) | instid1(VALU_DEP_1)
	v_or_b32_e32 v15, v15, v19
	v_or3_b32 v12, v15, v20, v12
	v_add_nc_u32_e32 v15, 8, v50
.LBB26_39:                              ;   in Loop: Header=BB26_31 Depth=1
	s_or_b32 exec_lo, exec_lo, s0
                                        ; implicit-def: $vgpr19_vgpr20
                                        ; implicit-def: $sgpr1
	s_delay_alu instid0(SALU_CYCLE_1)
	s_mov_b32 s0, exec_lo
	v_cmpx_gt_u32_e32 8, v21
	s_xor_b32 s4, exec_lo, s0
	s_cbranch_execz .LBB26_45
; %bb.40:                               ;   in Loop: Header=BB26_31 Depth=1
	v_mov_b32_e32 v19, 0
	v_mov_b32_e32 v20, 0
	s_mov_b32 s5, exec_lo
	v_cmpx_ne_u32_e32 0, v21
	s_cbranch_execz .LBB26_44
; %bb.41:                               ;   in Loop: Header=BB26_31 Depth=1
	v_mov_b32_e32 v19, 0
	v_mov_b32_e32 v20, 0
	s_mov_b64 s[0:1], 0
	s_mov_b32 s6, 0
	s_mov_b32 s7, 0
	.p2align	6
.LBB26_42:                              ;   Parent Loop BB26_31 Depth=1
                                        ; =>  This Inner Loop Header: Depth=2
	s_delay_alu instid0(SALU_CYCLE_1) | instskip(SKIP_1) | instid1(SALU_CYCLE_1)
	v_dual_mov_b32 v23, s11 :: v_dual_add_nc_u32 v22, s7, v15
	s_add_i32 s7, s7, 1
	v_cmp_eq_u32_e32 vcc_lo, s7, v21
	scratch_load_u8 v22, v22, off
	s_waitcnt vmcnt(0)
	v_and_b32_e32 v22, 0xffff, v22
	s_delay_alu instid0(VALU_DEP_1) | instskip(SKIP_3) | instid1(VALU_DEP_1)
	v_lshlrev_b64 v[22:23], s0, v[22:23]
	s_add_u32 s0, s0, 8
	s_addc_u32 s1, s1, 0
	s_or_b32 s6, vcc_lo, s6
	v_or_b32_e32 v20, v23, v20
	s_delay_alu instid0(VALU_DEP_2)
	v_or_b32_e32 v19, v22, v19
	s_and_not1_b32 exec_lo, exec_lo, s6
	s_cbranch_execnz .LBB26_42
; %bb.43:                               ;   in Loop: Header=BB26_31 Depth=1
	s_or_b32 exec_lo, exec_lo, s6
.LBB26_44:                              ;   in Loop: Header=BB26_31 Depth=1
	s_delay_alu instid0(SALU_CYCLE_1)
	s_or_b32 exec_lo, exec_lo, s5
	s_mov_b32 s1, 0
                                        ; implicit-def: $vgpr21
.LBB26_45:                              ;   in Loop: Header=BB26_31 Depth=1
	s_or_saveexec_b32 s0, s4
	v_mov_b32_e32 v23, s1
	s_xor_b32 exec_lo, exec_lo, s0
	s_cbranch_execz .LBB26_47
; %bb.46:                               ;   in Loop: Header=BB26_31 Depth=1
	scratch_load_b64 v[19:20], v15, off
	v_add_nc_u32_e32 v15, 8, v15
	s_waitcnt vmcnt(0)
	v_and_b32_e32 v22, 0xff, v20
	v_and_b32_e32 v23, 0xff00, v20
	;; [unrolled: 1-line block ×4, first 2 shown]
	v_or3_b32 v19, v19, 0, 0
	s_delay_alu instid0(VALU_DEP_4) | instskip(SKIP_1) | instid1(VALU_DEP_2)
	v_or_b32_e32 v22, v22, v23
	v_add_nc_u32_e32 v23, -8, v21
	v_or3_b32 v20, v22, v24, v20
.LBB26_47:                              ;   in Loop: Header=BB26_31 Depth=1
	s_or_b32 exec_lo, exec_lo, s0
                                        ; implicit-def: $sgpr1
	s_delay_alu instid0(SALU_CYCLE_1) | instskip(NEXT) | instid1(VALU_DEP_1)
	s_mov_b32 s0, exec_lo
	v_cmpx_gt_u32_e32 8, v23
	s_xor_b32 s4, exec_lo, s0
	s_cbranch_execz .LBB26_53
; %bb.48:                               ;   in Loop: Header=BB26_31 Depth=1
	v_mov_b32_e32 v21, 0
	v_mov_b32_e32 v22, 0
	s_mov_b32 s5, exec_lo
	v_cmpx_ne_u32_e32 0, v23
	s_cbranch_execz .LBB26_52
; %bb.49:                               ;   in Loop: Header=BB26_31 Depth=1
	v_mov_b32_e32 v21, 0
	v_mov_b32_e32 v22, 0
	s_mov_b64 s[0:1], 0
	s_mov_b32 s6, 0
	s_mov_b32 s7, 0
	.p2align	6
.LBB26_50:                              ;   Parent Loop BB26_31 Depth=1
                                        ; =>  This Inner Loop Header: Depth=2
	s_delay_alu instid0(SALU_CYCLE_1) | instskip(SKIP_1) | instid1(SALU_CYCLE_1)
	v_dual_mov_b32 v25, s11 :: v_dual_add_nc_u32 v24, s7, v15
	s_add_i32 s7, s7, 1
	v_cmp_eq_u32_e32 vcc_lo, s7, v23
	scratch_load_u8 v24, v24, off
	s_waitcnt vmcnt(0)
	v_and_b32_e32 v24, 0xffff, v24
	s_delay_alu instid0(VALU_DEP_1) | instskip(SKIP_3) | instid1(VALU_DEP_1)
	v_lshlrev_b64 v[24:25], s0, v[24:25]
	s_add_u32 s0, s0, 8
	s_addc_u32 s1, s1, 0
	s_or_b32 s6, vcc_lo, s6
	v_or_b32_e32 v22, v25, v22
	s_delay_alu instid0(VALU_DEP_2)
	v_or_b32_e32 v21, v24, v21
	s_and_not1_b32 exec_lo, exec_lo, s6
	s_cbranch_execnz .LBB26_50
; %bb.51:                               ;   in Loop: Header=BB26_31 Depth=1
	s_or_b32 exec_lo, exec_lo, s6
.LBB26_52:                              ;   in Loop: Header=BB26_31 Depth=1
	s_delay_alu instid0(SALU_CYCLE_1)
	s_or_b32 exec_lo, exec_lo, s5
	s_mov_b32 s1, 0
                                        ; implicit-def: $vgpr23
.LBB26_53:                              ;   in Loop: Header=BB26_31 Depth=1
	s_or_saveexec_b32 s0, s4
	v_mov_b32_e32 v25, s1
	s_xor_b32 exec_lo, exec_lo, s0
	s_cbranch_execz .LBB26_55
; %bb.54:                               ;   in Loop: Header=BB26_31 Depth=1
	scratch_load_b64 v[21:22], v15, off
	v_add_nc_u32_e32 v15, 8, v15
	s_waitcnt vmcnt(0)
	v_and_b32_e32 v24, 0xff, v22
	v_and_b32_e32 v25, 0xff00, v22
	;; [unrolled: 1-line block ×4, first 2 shown]
	v_or3_b32 v21, v21, 0, 0
	s_delay_alu instid0(VALU_DEP_4) | instskip(SKIP_1) | instid1(VALU_DEP_2)
	v_or_b32_e32 v24, v24, v25
	v_add_nc_u32_e32 v25, -8, v23
	v_or3_b32 v22, v24, v26, v22
.LBB26_55:                              ;   in Loop: Header=BB26_31 Depth=1
	s_or_b32 exec_lo, exec_lo, s0
                                        ; implicit-def: $vgpr23_vgpr24
                                        ; implicit-def: $sgpr1
	s_delay_alu instid0(SALU_CYCLE_1) | instskip(NEXT) | instid1(VALU_DEP_1)
	s_mov_b32 s0, exec_lo
	v_cmpx_gt_u32_e32 8, v25
	s_xor_b32 s4, exec_lo, s0
	s_cbranch_execz .LBB26_61
; %bb.56:                               ;   in Loop: Header=BB26_31 Depth=1
	v_mov_b32_e32 v23, 0
	v_mov_b32_e32 v24, 0
	s_mov_b32 s5, exec_lo
	v_cmpx_ne_u32_e32 0, v25
	s_cbranch_execz .LBB26_60
; %bb.57:                               ;   in Loop: Header=BB26_31 Depth=1
	v_mov_b32_e32 v23, 0
	v_mov_b32_e32 v24, 0
	s_mov_b64 s[0:1], 0
	s_mov_b32 s6, 0
	s_mov_b32 s7, 0
	.p2align	6
.LBB26_58:                              ;   Parent Loop BB26_31 Depth=1
                                        ; =>  This Inner Loop Header: Depth=2
	s_delay_alu instid0(SALU_CYCLE_1) | instskip(SKIP_1) | instid1(SALU_CYCLE_1)
	v_dual_mov_b32 v27, s11 :: v_dual_add_nc_u32 v26, s7, v15
	s_add_i32 s7, s7, 1
	v_cmp_eq_u32_e32 vcc_lo, s7, v25
	scratch_load_u8 v26, v26, off
	s_waitcnt vmcnt(0)
	v_and_b32_e32 v26, 0xffff, v26
	s_delay_alu instid0(VALU_DEP_1) | instskip(SKIP_3) | instid1(VALU_DEP_1)
	v_lshlrev_b64 v[26:27], s0, v[26:27]
	s_add_u32 s0, s0, 8
	s_addc_u32 s1, s1, 0
	s_or_b32 s6, vcc_lo, s6
	v_or_b32_e32 v24, v27, v24
	s_delay_alu instid0(VALU_DEP_2)
	v_or_b32_e32 v23, v26, v23
	s_and_not1_b32 exec_lo, exec_lo, s6
	s_cbranch_execnz .LBB26_58
; %bb.59:                               ;   in Loop: Header=BB26_31 Depth=1
	s_or_b32 exec_lo, exec_lo, s6
.LBB26_60:                              ;   in Loop: Header=BB26_31 Depth=1
	s_delay_alu instid0(SALU_CYCLE_1)
	s_or_b32 exec_lo, exec_lo, s5
	s_mov_b32 s1, 0
                                        ; implicit-def: $vgpr25
.LBB26_61:                              ;   in Loop: Header=BB26_31 Depth=1
	s_or_saveexec_b32 s0, s4
	v_mov_b32_e32 v27, s1
	s_xor_b32 exec_lo, exec_lo, s0
	s_cbranch_execz .LBB26_63
; %bb.62:                               ;   in Loop: Header=BB26_31 Depth=1
	scratch_load_b64 v[23:24], v15, off
	v_add_nc_u32_e32 v15, 8, v15
	s_waitcnt vmcnt(0)
	v_and_b32_e32 v26, 0xff, v24
	v_and_b32_e32 v27, 0xff00, v24
	;; [unrolled: 1-line block ×4, first 2 shown]
	v_or3_b32 v23, v23, 0, 0
	s_delay_alu instid0(VALU_DEP_4) | instskip(SKIP_1) | instid1(VALU_DEP_2)
	v_or_b32_e32 v26, v26, v27
	v_add_nc_u32_e32 v27, -8, v25
	v_or3_b32 v24, v26, v28, v24
.LBB26_63:                              ;   in Loop: Header=BB26_31 Depth=1
	s_or_b32 exec_lo, exec_lo, s0
                                        ; implicit-def: $sgpr1
	s_delay_alu instid0(SALU_CYCLE_1) | instskip(NEXT) | instid1(VALU_DEP_1)
	s_mov_b32 s0, exec_lo
	v_cmpx_gt_u32_e32 8, v27
	s_xor_b32 s4, exec_lo, s0
	s_cbranch_execz .LBB26_69
; %bb.64:                               ;   in Loop: Header=BB26_31 Depth=1
	v_mov_b32_e32 v25, 0
	v_mov_b32_e32 v26, 0
	s_mov_b32 s5, exec_lo
	v_cmpx_ne_u32_e32 0, v27
	s_cbranch_execz .LBB26_68
; %bb.65:                               ;   in Loop: Header=BB26_31 Depth=1
	v_mov_b32_e32 v25, 0
	v_mov_b32_e32 v26, 0
	s_mov_b64 s[0:1], 0
	s_mov_b32 s6, 0
	s_mov_b32 s7, 0
	.p2align	6
.LBB26_66:                              ;   Parent Loop BB26_31 Depth=1
                                        ; =>  This Inner Loop Header: Depth=2
	s_delay_alu instid0(SALU_CYCLE_1) | instskip(SKIP_1) | instid1(SALU_CYCLE_1)
	v_dual_mov_b32 v29, s11 :: v_dual_add_nc_u32 v28, s7, v15
	s_add_i32 s7, s7, 1
	v_cmp_eq_u32_e32 vcc_lo, s7, v27
	scratch_load_u8 v28, v28, off
	s_waitcnt vmcnt(0)
	v_and_b32_e32 v28, 0xffff, v28
	s_delay_alu instid0(VALU_DEP_1) | instskip(SKIP_3) | instid1(VALU_DEP_1)
	v_lshlrev_b64 v[28:29], s0, v[28:29]
	s_add_u32 s0, s0, 8
	s_addc_u32 s1, s1, 0
	s_or_b32 s6, vcc_lo, s6
	v_or_b32_e32 v26, v29, v26
	s_delay_alu instid0(VALU_DEP_2)
	v_or_b32_e32 v25, v28, v25
	s_and_not1_b32 exec_lo, exec_lo, s6
	s_cbranch_execnz .LBB26_66
; %bb.67:                               ;   in Loop: Header=BB26_31 Depth=1
	s_or_b32 exec_lo, exec_lo, s6
.LBB26_68:                              ;   in Loop: Header=BB26_31 Depth=1
	s_delay_alu instid0(SALU_CYCLE_1)
	s_or_b32 exec_lo, exec_lo, s5
	s_mov_b32 s1, 0
                                        ; implicit-def: $vgpr27
.LBB26_69:                              ;   in Loop: Header=BB26_31 Depth=1
	s_or_saveexec_b32 s0, s4
	v_mov_b32_e32 v29, s1
	s_xor_b32 exec_lo, exec_lo, s0
	s_cbranch_execz .LBB26_71
; %bb.70:                               ;   in Loop: Header=BB26_31 Depth=1
	scratch_load_b64 v[25:26], v15, off
	v_add_nc_u32_e32 v15, 8, v15
	s_waitcnt vmcnt(0)
	v_and_b32_e32 v28, 0xff, v26
	v_and_b32_e32 v29, 0xff00, v26
	;; [unrolled: 1-line block ×4, first 2 shown]
	v_or3_b32 v25, v25, 0, 0
	s_delay_alu instid0(VALU_DEP_4) | instskip(SKIP_1) | instid1(VALU_DEP_2)
	v_or_b32_e32 v28, v28, v29
	v_add_nc_u32_e32 v29, -8, v27
	v_or3_b32 v26, v28, v30, v26
.LBB26_71:                              ;   in Loop: Header=BB26_31 Depth=1
	s_or_b32 exec_lo, exec_lo, s0
                                        ; implicit-def: $vgpr27_vgpr28
                                        ; implicit-def: $sgpr1
	s_delay_alu instid0(SALU_CYCLE_1) | instskip(NEXT) | instid1(VALU_DEP_1)
	s_mov_b32 s0, exec_lo
	v_cmpx_gt_u32_e32 8, v29
	s_xor_b32 s4, exec_lo, s0
	s_cbranch_execz .LBB26_77
; %bb.72:                               ;   in Loop: Header=BB26_31 Depth=1
	v_mov_b32_e32 v27, 0
	v_mov_b32_e32 v28, 0
	s_mov_b32 s5, exec_lo
	v_cmpx_ne_u32_e32 0, v29
	s_cbranch_execz .LBB26_76
; %bb.73:                               ;   in Loop: Header=BB26_31 Depth=1
	v_mov_b32_e32 v27, 0
	v_mov_b32_e32 v28, 0
	s_mov_b64 s[0:1], 0
	s_mov_b32 s6, 0
	s_mov_b32 s7, 0
	.p2align	6
.LBB26_74:                              ;   Parent Loop BB26_31 Depth=1
                                        ; =>  This Inner Loop Header: Depth=2
	s_delay_alu instid0(SALU_CYCLE_1) | instskip(SKIP_1) | instid1(SALU_CYCLE_1)
	v_dual_mov_b32 v31, s11 :: v_dual_add_nc_u32 v30, s7, v15
	s_add_i32 s7, s7, 1
	v_cmp_eq_u32_e32 vcc_lo, s7, v29
	scratch_load_u8 v30, v30, off
	s_waitcnt vmcnt(0)
	v_and_b32_e32 v30, 0xffff, v30
	s_delay_alu instid0(VALU_DEP_1) | instskip(SKIP_3) | instid1(VALU_DEP_1)
	v_lshlrev_b64 v[30:31], s0, v[30:31]
	s_add_u32 s0, s0, 8
	s_addc_u32 s1, s1, 0
	s_or_b32 s6, vcc_lo, s6
	v_or_b32_e32 v28, v31, v28
	s_delay_alu instid0(VALU_DEP_2)
	v_or_b32_e32 v27, v30, v27
	s_and_not1_b32 exec_lo, exec_lo, s6
	s_cbranch_execnz .LBB26_74
; %bb.75:                               ;   in Loop: Header=BB26_31 Depth=1
	s_or_b32 exec_lo, exec_lo, s6
.LBB26_76:                              ;   in Loop: Header=BB26_31 Depth=1
	s_delay_alu instid0(SALU_CYCLE_1)
	s_or_b32 exec_lo, exec_lo, s5
	s_mov_b32 s1, 0
                                        ; implicit-def: $vgpr29
.LBB26_77:                              ;   in Loop: Header=BB26_31 Depth=1
	s_or_saveexec_b32 s0, s4
	v_mov_b32_e32 v31, s1
	s_xor_b32 exec_lo, exec_lo, s0
	s_cbranch_execz .LBB26_79
; %bb.78:                               ;   in Loop: Header=BB26_31 Depth=1
	scratch_load_b64 v[27:28], v15, off
	v_add_nc_u32_e32 v15, 8, v15
	s_waitcnt vmcnt(0)
	v_and_b32_e32 v30, 0xff, v28
	v_and_b32_e32 v31, 0xff00, v28
	;; [unrolled: 1-line block ×4, first 2 shown]
	v_or3_b32 v27, v27, 0, 0
	s_delay_alu instid0(VALU_DEP_4) | instskip(SKIP_1) | instid1(VALU_DEP_2)
	v_or_b32_e32 v30, v30, v31
	v_add_nc_u32_e32 v31, -8, v29
	v_or3_b32 v28, v30, v32, v28
.LBB26_79:                              ;   in Loop: Header=BB26_31 Depth=1
	s_or_b32 exec_lo, exec_lo, s0
	s_delay_alu instid0(SALU_CYCLE_1) | instskip(NEXT) | instid1(VALU_DEP_1)
	s_mov_b32 s0, exec_lo
	v_cmpx_gt_u32_e32 8, v31
	s_xor_b32 s4, exec_lo, s0
	s_cbranch_execz .LBB26_85
; %bb.80:                               ;   in Loop: Header=BB26_31 Depth=1
	v_mov_b32_e32 v29, 0
	v_mov_b32_e32 v30, 0
	s_mov_b32 s5, exec_lo
	v_cmpx_ne_u32_e32 0, v31
	s_cbranch_execz .LBB26_84
; %bb.81:                               ;   in Loop: Header=BB26_31 Depth=1
	v_mov_b32_e32 v29, 0
	v_mov_b32_e32 v30, 0
	s_mov_b64 s[0:1], 0
	s_mov_b32 s6, 0
	.p2align	6
.LBB26_82:                              ;   Parent Loop BB26_31 Depth=1
                                        ; =>  This Inner Loop Header: Depth=2
	scratch_load_u8 v32, v15, off
	v_mov_b32_e32 v33, s11
	v_add_nc_u32_e32 v31, -1, v31
	v_add_nc_u32_e32 v15, 1, v15
	s_delay_alu instid0(VALU_DEP_2) | instskip(SKIP_2) | instid1(VALU_DEP_1)
	v_cmp_eq_u32_e32 vcc_lo, 0, v31
	s_waitcnt vmcnt(0)
	v_and_b32_e32 v32, 0xffff, v32
	v_lshlrev_b64 v[32:33], s0, v[32:33]
	s_add_u32 s0, s0, 8
	s_addc_u32 s1, s1, 0
	s_or_b32 s6, vcc_lo, s6
	s_delay_alu instid0(VALU_DEP_1) | instskip(NEXT) | instid1(VALU_DEP_2)
	v_or_b32_e32 v30, v33, v30
	v_or_b32_e32 v29, v32, v29
	s_and_not1_b32 exec_lo, exec_lo, s6
	s_cbranch_execnz .LBB26_82
; %bb.83:                               ;   in Loop: Header=BB26_31 Depth=1
	s_or_b32 exec_lo, exec_lo, s6
.LBB26_84:                              ;   in Loop: Header=BB26_31 Depth=1
	s_delay_alu instid0(SALU_CYCLE_1)
	s_or_b32 exec_lo, exec_lo, s5
                                        ; implicit-def: $vgpr15
.LBB26_85:                              ;   in Loop: Header=BB26_31 Depth=1
	s_and_not1_saveexec_b32 s0, s4
	s_cbranch_execz .LBB26_87
; %bb.86:                               ;   in Loop: Header=BB26_31 Depth=1
	scratch_load_b64 v[29:30], v15, off
	s_waitcnt vmcnt(0)
	v_and_b32_e32 v15, 0xff, v30
	v_and_b32_e32 v31, 0xff00, v30
	v_and_b32_e32 v32, 0xff0000, v30
	v_and_b32_e32 v30, 0xff000000, v30
	v_or3_b32 v29, v29, 0, 0
	s_delay_alu instid0(VALU_DEP_4) | instskip(NEXT) | instid1(VALU_DEP_1)
	v_or_b32_e32 v15, v15, v31
	v_or3_b32 v30, v15, v32, v30
.LBB26_87:                              ;   in Loop: Header=BB26_31 Depth=1
	s_or_b32 exec_lo, exec_lo, s0
	v_readfirstlane_b32 s0, v49
	v_mov_b32_e32 v37, 0
	v_mov_b32_e32 v38, 0
	s_delay_alu instid0(VALU_DEP_3) | instskip(NEXT) | instid1(VALU_DEP_1)
	v_cmp_eq_u32_e64 s0, s0, v49
	s_and_saveexec_b32 s1, s0
	s_cbranch_execz .LBB26_93
; %bb.88:                               ;   in Loop: Header=BB26_31 Depth=1
	global_load_b64 v[33:34], v16, s[2:3] offset:24 glc
	s_waitcnt vmcnt(0)
	buffer_gl1_inv
	buffer_gl0_inv
	s_clause 0x1
	global_load_b64 v[31:32], v16, s[2:3] offset:40
	global_load_b64 v[37:38], v16, s[2:3]
	s_mov_b32 s4, exec_lo
	s_waitcnt vmcnt(1)
	v_and_b32_e32 v15, v32, v34
	v_and_b32_e32 v31, v31, v33
	s_delay_alu instid0(VALU_DEP_2) | instskip(NEXT) | instid1(VALU_DEP_2)
	v_mul_lo_u32 v15, v15, 24
	v_mul_hi_u32 v32, v31, 24
	v_mul_lo_u32 v31, v31, 24
	s_delay_alu instid0(VALU_DEP_2) | instskip(SKIP_1) | instid1(VALU_DEP_2)
	v_add_nc_u32_e32 v15, v32, v15
	s_waitcnt vmcnt(0)
	v_add_co_u32 v31, vcc_lo, v37, v31
	s_delay_alu instid0(VALU_DEP_2)
	v_add_co_ci_u32_e32 v32, vcc_lo, v38, v15, vcc_lo
	global_load_b64 v[31:32], v[31:32], off glc
	s_waitcnt vmcnt(0)
	global_atomic_cmpswap_b64 v[37:38], v16, v[31:34], s[2:3] offset:24 glc
	s_waitcnt vmcnt(0)
	buffer_gl1_inv
	buffer_gl0_inv
	v_cmpx_ne_u64_e64 v[37:38], v[33:34]
	s_cbranch_execz .LBB26_92
; %bb.89:                               ;   in Loop: Header=BB26_31 Depth=1
	s_mov_b32 s5, 0
	.p2align	6
.LBB26_90:                              ;   Parent Loop BB26_31 Depth=1
                                        ; =>  This Inner Loop Header: Depth=2
	s_sleep 1
	s_clause 0x1
	global_load_b64 v[31:32], v16, s[2:3] offset:40
	global_load_b64 v[51:52], v16, s[2:3]
	v_dual_mov_b32 v33, v37 :: v_dual_mov_b32 v34, v38
	s_waitcnt vmcnt(1)
	s_delay_alu instid0(VALU_DEP_1) | instskip(SKIP_1) | instid1(VALU_DEP_1)
	v_and_b32_e32 v15, v31, v33
	s_waitcnt vmcnt(0)
	v_mad_u64_u32 v[37:38], null, v15, 24, v[51:52]
	v_and_b32_e32 v51, v32, v34
	s_delay_alu instid0(VALU_DEP_2) | instskip(NEXT) | instid1(VALU_DEP_1)
	v_mov_b32_e32 v15, v38
	v_mad_u64_u32 v[31:32], null, v51, 24, v[15:16]
	s_delay_alu instid0(VALU_DEP_1)
	v_mov_b32_e32 v38, v31
	global_load_b64 v[31:32], v[37:38], off glc
	s_waitcnt vmcnt(0)
	global_atomic_cmpswap_b64 v[37:38], v16, v[31:34], s[2:3] offset:24 glc
	s_waitcnt vmcnt(0)
	buffer_gl1_inv
	buffer_gl0_inv
	v_cmp_eq_u64_e32 vcc_lo, v[37:38], v[33:34]
	s_or_b32 s5, vcc_lo, s5
	s_delay_alu instid0(SALU_CYCLE_1)
	s_and_not1_b32 exec_lo, exec_lo, s5
	s_cbranch_execnz .LBB26_90
; %bb.91:                               ;   in Loop: Header=BB26_31 Depth=1
	s_or_b32 exec_lo, exec_lo, s5
.LBB26_92:                              ;   in Loop: Header=BB26_31 Depth=1
	s_delay_alu instid0(SALU_CYCLE_1)
	s_or_b32 exec_lo, exec_lo, s4
.LBB26_93:                              ;   in Loop: Header=BB26_31 Depth=1
	s_delay_alu instid0(SALU_CYCLE_1)
	s_or_b32 exec_lo, exec_lo, s1
	s_clause 0x1
	global_load_b64 v[51:52], v16, s[2:3] offset:40
	global_load_b128 v[31:34], v16, s[2:3]
	v_readfirstlane_b32 s4, v37
	v_readfirstlane_b32 s5, v38
	s_mov_b32 s1, exec_lo
	s_waitcnt vmcnt(1)
	v_readfirstlane_b32 s6, v51
	v_readfirstlane_b32 s7, v52
	s_delay_alu instid0(VALU_DEP_1) | instskip(NEXT) | instid1(SALU_CYCLE_1)
	s_and_b64 s[6:7], s[4:5], s[6:7]
	s_mul_i32 s12, s7, 24
	s_mul_hi_u32 s13, s6, 24
	s_mul_i32 s14, s6, 24
	s_add_i32 s13, s13, s12
	s_waitcnt vmcnt(0)
	v_add_co_u32 v37, vcc_lo, v31, s14
	v_add_co_ci_u32_e32 v38, vcc_lo, s13, v32, vcc_lo
	s_and_saveexec_b32 s12, s0
	s_cbranch_execz .LBB26_95
; %bb.94:                               ;   in Loop: Header=BB26_31 Depth=1
	v_mov_b32_e32 v15, s1
	global_store_b128 v[37:38], v[15:18], off offset:8
.LBB26_95:                              ;   in Loop: Header=BB26_31 Depth=1
	s_or_b32 exec_lo, exec_lo, s12
	v_cmp_lt_u64_e32 vcc_lo, 56, v[0:1]
	v_or_b32_e32 v15, 0, v10
	v_or_b32_e32 v51, v9, v39
	v_lshl_add_u32 v52, v35, 2, 28
	s_lshl_b64 s[6:7], s[6:7], 12
	s_delay_alu instid0(SALU_CYCLE_1) | instskip(NEXT) | instid1(VALU_DEP_1)
	v_add_co_u32 v33, s1, v33, s6
	v_add_co_ci_u32_e64 v34, s1, s7, v34, s1
	s_delay_alu instid0(VALU_DEP_3) | instskip(SKIP_1) | instid1(VALU_DEP_4)
	v_dual_cndmask_b32 v10, v15, v10 :: v_dual_and_b32 v15, 0x1e0, v52
	v_cndmask_b32_e32 v9, v51, v9, vcc_lo
	v_readfirstlane_b32 s6, v33
	s_delay_alu instid0(VALU_DEP_4) | instskip(NEXT) | instid1(VALU_DEP_3)
	v_readfirstlane_b32 s7, v34
	v_and_or_b32 v9, 0xffffff1f, v9, v15
	s_clause 0x3
	global_store_b128 v48, v[9:12], s[6:7]
	global_store_b128 v48, v[19:22], s[6:7] offset:16
	global_store_b128 v48, v[23:26], s[6:7] offset:32
	;; [unrolled: 1-line block ×3, first 2 shown]
	s_and_saveexec_b32 s1, s0
	s_cbranch_execz .LBB26_103
; %bb.96:                               ;   in Loop: Header=BB26_31 Depth=1
	s_clause 0x1
	global_load_b64 v[23:24], v16, s[2:3] offset:32 glc
	global_load_b64 v[9:10], v16, s[2:3] offset:40
	v_dual_mov_b32 v21, s4 :: v_dual_mov_b32 v22, s5
	s_waitcnt vmcnt(0)
	v_readfirstlane_b32 s6, v9
	v_readfirstlane_b32 s7, v10
	s_delay_alu instid0(VALU_DEP_1) | instskip(NEXT) | instid1(SALU_CYCLE_1)
	s_and_b64 s[6:7], s[6:7], s[4:5]
	s_mul_i32 s7, s7, 24
	s_mul_hi_u32 s12, s6, 24
	s_mul_i32 s6, s6, 24
	s_add_i32 s12, s12, s7
	v_add_co_u32 v19, vcc_lo, v31, s6
	v_add_co_ci_u32_e32 v20, vcc_lo, s12, v32, vcc_lo
	s_mov_b32 s6, exec_lo
	global_store_b64 v[19:20], v[23:24], off
	s_waitcnt_vscnt null, 0x0
	global_atomic_cmpswap_b64 v[11:12], v16, v[21:24], s[2:3] offset:32 glc
	s_waitcnt vmcnt(0)
	v_cmpx_ne_u64_e64 v[11:12], v[23:24]
	s_cbranch_execz .LBB26_99
; %bb.97:                               ;   in Loop: Header=BB26_31 Depth=1
	s_mov_b32 s7, 0
.LBB26_98:                              ;   Parent Loop BB26_31 Depth=1
                                        ; =>  This Inner Loop Header: Depth=2
	v_dual_mov_b32 v9, s4 :: v_dual_mov_b32 v10, s5
	s_sleep 1
	global_store_b64 v[19:20], v[11:12], off
	s_waitcnt_vscnt null, 0x0
	global_atomic_cmpswap_b64 v[9:10], v16, v[9:12], s[2:3] offset:32 glc
	s_waitcnt vmcnt(0)
	v_cmp_eq_u64_e32 vcc_lo, v[9:10], v[11:12]
	v_dual_mov_b32 v12, v10 :: v_dual_mov_b32 v11, v9
	s_or_b32 s7, vcc_lo, s7
	s_delay_alu instid0(SALU_CYCLE_1)
	s_and_not1_b32 exec_lo, exec_lo, s7
	s_cbranch_execnz .LBB26_98
.LBB26_99:                              ;   in Loop: Header=BB26_31 Depth=1
	s_or_b32 exec_lo, exec_lo, s6
	global_load_b64 v[9:10], v16, s[2:3] offset:16
	s_mov_b32 s7, exec_lo
	s_mov_b32 s6, exec_lo
	v_mbcnt_lo_u32_b32 v11, s7, 0
	s_delay_alu instid0(VALU_DEP_1)
	v_cmpx_eq_u32_e32 0, v11
	s_cbranch_execz .LBB26_101
; %bb.100:                              ;   in Loop: Header=BB26_31 Depth=1
	s_bcnt1_i32_b32 s7, s7
	s_delay_alu instid0(SALU_CYCLE_1)
	v_mov_b32_e32 v15, s7
	s_waitcnt vmcnt(0)
	global_atomic_add_u64 v[9:10], v[15:16], off offset:8
.LBB26_101:                             ;   in Loop: Header=BB26_31 Depth=1
	s_or_b32 exec_lo, exec_lo, s6
	s_waitcnt vmcnt(0)
	global_load_b64 v[11:12], v[9:10], off offset:16
	s_waitcnt vmcnt(0)
	v_cmp_eq_u64_e32 vcc_lo, 0, v[11:12]
	s_cbranch_vccnz .LBB26_103
; %bb.102:                              ;   in Loop: Header=BB26_31 Depth=1
	global_load_b32 v15, v[9:10], off offset:24
	s_waitcnt vmcnt(0)
	v_and_b32_e32 v9, 0xffffff, v15
	s_waitcnt_vscnt null, 0x0
	global_store_b64 v[11:12], v[15:16], off
	v_readfirstlane_b32 m0, v9
	s_sendmsg sendmsg(MSG_INTERRUPT)
.LBB26_103:                             ;   in Loop: Header=BB26_31 Depth=1
	s_or_b32 exec_lo, exec_lo, s1
	v_add_co_u32 v9, vcc_lo, v33, v48
	v_add_co_ci_u32_e32 v10, vcc_lo, 0, v34, vcc_lo
	s_branch .LBB26_107
	.p2align	6
.LBB26_104:                             ;   in Loop: Header=BB26_107 Depth=2
	s_or_b32 exec_lo, exec_lo, s1
	s_delay_alu instid0(VALU_DEP_1) | instskip(NEXT) | instid1(VALU_DEP_1)
	v_readfirstlane_b32 s1, v11
	s_cmp_eq_u32 s1, 0
	s_cbranch_scc1 .LBB26_106
; %bb.105:                              ;   in Loop: Header=BB26_107 Depth=2
	s_sleep 1
	s_cbranch_execnz .LBB26_107
	s_branch .LBB26_109
	.p2align	6
.LBB26_106:                             ;   in Loop: Header=BB26_31 Depth=1
	s_branch .LBB26_109
.LBB26_107:                             ;   Parent Loop BB26_31 Depth=1
                                        ; =>  This Inner Loop Header: Depth=2
	v_mov_b32_e32 v11, 1
	s_and_saveexec_b32 s1, s0
	s_cbranch_execz .LBB26_104
; %bb.108:                              ;   in Loop: Header=BB26_107 Depth=2
	global_load_b32 v11, v[37:38], off offset:20 glc
	s_waitcnt vmcnt(0)
	buffer_gl1_inv
	buffer_gl0_inv
	v_and_b32_e32 v11, 1, v11
	s_branch .LBB26_104
.LBB26_109:                             ;   in Loop: Header=BB26_31 Depth=1
	global_load_b128 v[9:12], v[9:10], off
	s_and_saveexec_b32 s1, s0
	s_cbranch_execz .LBB26_30
; %bb.110:                              ;   in Loop: Header=BB26_31 Depth=1
	s_clause 0x2
	global_load_b64 v[11:12], v16, s[2:3] offset:40
	global_load_b64 v[23:24], v16, s[2:3] offset:24 glc
	global_load_b64 v[21:22], v16, s[2:3]
	s_waitcnt vmcnt(2)
	v_add_co_u32 v15, vcc_lo, v11, 1
	v_add_co_ci_u32_e32 v25, vcc_lo, 0, v12, vcc_lo
	s_delay_alu instid0(VALU_DEP_2) | instskip(NEXT) | instid1(VALU_DEP_2)
	v_add_co_u32 v19, vcc_lo, v15, s4
	v_add_co_ci_u32_e32 v20, vcc_lo, s5, v25, vcc_lo
	s_delay_alu instid0(VALU_DEP_1) | instskip(SKIP_1) | instid1(VALU_DEP_1)
	v_cmp_eq_u64_e32 vcc_lo, 0, v[19:20]
	v_dual_cndmask_b32 v20, v20, v25 :: v_dual_cndmask_b32 v19, v19, v15
	v_and_b32_e32 v12, v20, v12
	s_delay_alu instid0(VALU_DEP_2) | instskip(NEXT) | instid1(VALU_DEP_1)
	v_and_b32_e32 v11, v19, v11
	v_mul_hi_u32 v15, v11, 24
	v_mul_lo_u32 v11, v11, 24
	s_waitcnt vmcnt(0)
	s_delay_alu instid0(VALU_DEP_1) | instskip(SKIP_2) | instid1(VALU_DEP_1)
	v_add_co_u32 v11, vcc_lo, v21, v11
	v_mov_b32_e32 v21, v23
	v_mul_lo_u32 v12, v12, 24
	v_add_nc_u32_e32 v12, v15, v12
	s_delay_alu instid0(VALU_DEP_1)
	v_add_co_ci_u32_e32 v12, vcc_lo, v22, v12, vcc_lo
	v_mov_b32_e32 v22, v24
	global_store_b64 v[11:12], v[23:24], off
	s_waitcnt_vscnt null, 0x0
	global_atomic_cmpswap_b64 v[21:22], v16, v[19:22], s[2:3] offset:24 glc
	s_waitcnt vmcnt(0)
	v_cmp_ne_u64_e32 vcc_lo, v[21:22], v[23:24]
	s_and_b32 exec_lo, exec_lo, vcc_lo
	s_cbranch_execz .LBB26_30
; %bb.111:                              ;   in Loop: Header=BB26_31 Depth=1
	s_mov_b32 s0, 0
.LBB26_112:                             ;   Parent Loop BB26_31 Depth=1
                                        ; =>  This Inner Loop Header: Depth=2
	s_sleep 1
	global_store_b64 v[11:12], v[21:22], off
	s_waitcnt_vscnt null, 0x0
	global_atomic_cmpswap_b64 v[23:24], v16, v[19:22], s[2:3] offset:24 glc
	s_waitcnt vmcnt(0)
	v_cmp_eq_u64_e32 vcc_lo, v[23:24], v[21:22]
	v_dual_mov_b32 v21, v23 :: v_dual_mov_b32 v22, v24
	s_or_b32 s0, vcc_lo, s0
	s_delay_alu instid0(SALU_CYCLE_1)
	s_and_not1_b32 exec_lo, exec_lo, s0
	s_cbranch_execnz .LBB26_112
	s_branch .LBB26_30
.LBB26_113:
                                        ; implicit-def: $vgpr9_vgpr10
	s_cbranch_execnz .LBB26_115
	s_branch .LBB26_142
.LBB26_114:
	s_or_b32 exec_lo, exec_lo, s10
	s_branch .LBB26_142
.LBB26_115:
	v_readfirstlane_b32 s0, v49
	v_mov_b32_e32 v0, 0
	v_mov_b32_e32 v1, 0
	s_delay_alu instid0(VALU_DEP_3) | instskip(NEXT) | instid1(VALU_DEP_1)
	v_cmp_eq_u32_e64 s0, s0, v49
	s_and_saveexec_b32 s1, s0
	s_cbranch_execz .LBB26_121
; %bb.116:
	s_waitcnt vmcnt(0)
	v_mov_b32_e32 v9, 0
	s_mov_b32 s4, exec_lo
	global_load_b64 v[17:18], v9, s[2:3] offset:24 glc
	s_waitcnt vmcnt(0)
	buffer_gl1_inv
	buffer_gl0_inv
	s_clause 0x1
	global_load_b64 v[0:1], v9, s[2:3] offset:40
	global_load_b64 v[10:11], v9, s[2:3]
	s_waitcnt vmcnt(1)
	v_and_b32_e32 v0, v0, v17
	v_and_b32_e32 v1, v1, v18
	s_delay_alu instid0(VALU_DEP_2) | instskip(NEXT) | instid1(VALU_DEP_2)
	v_mul_hi_u32 v12, v0, 24
	v_mul_lo_u32 v1, v1, 24
	v_mul_lo_u32 v0, v0, 24
	s_delay_alu instid0(VALU_DEP_2) | instskip(SKIP_1) | instid1(VALU_DEP_2)
	v_add_nc_u32_e32 v1, v12, v1
	s_waitcnt vmcnt(0)
	v_add_co_u32 v0, vcc_lo, v10, v0
	s_delay_alu instid0(VALU_DEP_2)
	v_add_co_ci_u32_e32 v1, vcc_lo, v11, v1, vcc_lo
	global_load_b64 v[15:16], v[0:1], off glc
	s_waitcnt vmcnt(0)
	global_atomic_cmpswap_b64 v[0:1], v9, v[15:18], s[2:3] offset:24 glc
	s_waitcnt vmcnt(0)
	buffer_gl1_inv
	buffer_gl0_inv
	v_cmpx_ne_u64_e64 v[0:1], v[17:18]
	s_cbranch_execz .LBB26_120
; %bb.117:
	s_mov_b32 s5, 0
	.p2align	6
.LBB26_118:                             ; =>This Inner Loop Header: Depth=1
	s_sleep 1
	s_clause 0x1
	global_load_b64 v[10:11], v9, s[2:3] offset:40
	global_load_b64 v[15:16], v9, s[2:3]
	v_dual_mov_b32 v18, v1 :: v_dual_mov_b32 v17, v0
	s_waitcnt vmcnt(1)
	s_delay_alu instid0(VALU_DEP_1) | instskip(NEXT) | instid1(VALU_DEP_2)
	v_and_b32_e32 v10, v10, v17
	v_and_b32_e32 v12, v11, v18
	s_waitcnt vmcnt(0)
	s_delay_alu instid0(VALU_DEP_2) | instskip(NEXT) | instid1(VALU_DEP_1)
	v_mad_u64_u32 v[0:1], null, v10, 24, v[15:16]
	v_mad_u64_u32 v[10:11], null, v12, 24, v[1:2]
	s_delay_alu instid0(VALU_DEP_1)
	v_mov_b32_e32 v1, v10
	global_load_b64 v[15:16], v[0:1], off glc
	s_waitcnt vmcnt(0)
	global_atomic_cmpswap_b64 v[0:1], v9, v[15:18], s[2:3] offset:24 glc
	s_waitcnt vmcnt(0)
	buffer_gl1_inv
	buffer_gl0_inv
	v_cmp_eq_u64_e32 vcc_lo, v[0:1], v[17:18]
	s_or_b32 s5, vcc_lo, s5
	s_delay_alu instid0(SALU_CYCLE_1)
	s_and_not1_b32 exec_lo, exec_lo, s5
	s_cbranch_execnz .LBB26_118
; %bb.119:
	s_or_b32 exec_lo, exec_lo, s5
.LBB26_120:
	s_delay_alu instid0(SALU_CYCLE_1)
	s_or_b32 exec_lo, exec_lo, s4
.LBB26_121:
	s_delay_alu instid0(SALU_CYCLE_1)
	s_or_b32 exec_lo, exec_lo, s1
	v_mov_b32_e32 v15, 0
	v_readfirstlane_b32 s4, v0
	v_readfirstlane_b32 s5, v1
	s_mov_b32 s1, exec_lo
	s_clause 0x1
	global_load_b64 v[16:17], v15, s[2:3] offset:40
	global_load_b128 v[9:12], v15, s[2:3]
	s_waitcnt vmcnt(1)
	v_readfirstlane_b32 s6, v16
	v_readfirstlane_b32 s7, v17
	s_delay_alu instid0(VALU_DEP_1) | instskip(NEXT) | instid1(SALU_CYCLE_1)
	s_and_b64 s[6:7], s[4:5], s[6:7]
	s_mul_i32 s10, s7, 24
	s_mul_hi_u32 s11, s6, 24
	s_mul_i32 s12, s6, 24
	s_add_i32 s11, s11, s10
	s_waitcnt vmcnt(0)
	v_add_co_u32 v0, vcc_lo, v9, s12
	v_add_co_ci_u32_e32 v1, vcc_lo, s11, v10, vcc_lo
	s_and_saveexec_b32 s10, s0
	s_cbranch_execz .LBB26_123
; %bb.122:
	v_dual_mov_b32 v16, s1 :: v_dual_mov_b32 v17, v15
	v_dual_mov_b32 v18, 2 :: v_dual_mov_b32 v19, 1
	global_store_b128 v[0:1], v[16:19], off offset:8
.LBB26_123:
	s_or_b32 exec_lo, exec_lo, s10
	s_lshl_b64 s[6:7], s[6:7], 12
	s_mov_b32 s12, 0
	v_add_co_u32 v11, vcc_lo, v11, s6
	v_add_co_ci_u32_e32 v12, vcc_lo, s7, v12, vcc_lo
	s_mov_b32 s15, s12
	s_delay_alu instid0(VALU_DEP_2)
	v_add_co_u32 v17, vcc_lo, v11, v48
	s_mov_b32 s13, s12
	s_mov_b32 s14, s12
	v_and_or_b32 v13, 0xffffff1f, v13, 32
	v_mov_b32_e32 v16, v15
	v_readfirstlane_b32 s6, v11
	v_readfirstlane_b32 s7, v12
	v_dual_mov_b32 v22, s15 :: v_dual_mov_b32 v19, s12
	v_add_co_ci_u32_e32 v18, vcc_lo, 0, v12, vcc_lo
	v_dual_mov_b32 v21, s14 :: v_dual_mov_b32 v20, s13
	s_clause 0x3
	global_store_b128 v48, v[13:16], s[6:7]
	global_store_b128 v48, v[19:22], s[6:7] offset:16
	global_store_b128 v48, v[19:22], s[6:7] offset:32
	;; [unrolled: 1-line block ×3, first 2 shown]
	s_and_saveexec_b32 s1, s0
	s_cbranch_execz .LBB26_131
; %bb.124:
	v_dual_mov_b32 v15, 0 :: v_dual_mov_b32 v20, s5
	v_mov_b32_e32 v19, s4
	s_clause 0x1
	global_load_b64 v[21:22], v15, s[2:3] offset:32 glc
	global_load_b64 v[11:12], v15, s[2:3] offset:40
	s_waitcnt vmcnt(0)
	v_readfirstlane_b32 s6, v11
	v_readfirstlane_b32 s7, v12
	s_delay_alu instid0(VALU_DEP_1) | instskip(NEXT) | instid1(SALU_CYCLE_1)
	s_and_b64 s[6:7], s[6:7], s[4:5]
	s_mul_i32 s7, s7, 24
	s_mul_hi_u32 s10, s6, 24
	s_mul_i32 s6, s6, 24
	s_add_i32 s10, s10, s7
	v_add_co_u32 v13, vcc_lo, v9, s6
	v_add_co_ci_u32_e32 v14, vcc_lo, s10, v10, vcc_lo
	s_mov_b32 s6, exec_lo
	global_store_b64 v[13:14], v[21:22], off
	s_waitcnt_vscnt null, 0x0
	global_atomic_cmpswap_b64 v[11:12], v15, v[19:22], s[2:3] offset:32 glc
	s_waitcnt vmcnt(0)
	v_cmpx_ne_u64_e64 v[11:12], v[21:22]
	s_cbranch_execz .LBB26_127
; %bb.125:
	s_mov_b32 s7, 0
.LBB26_126:                             ; =>This Inner Loop Header: Depth=1
	v_dual_mov_b32 v9, s4 :: v_dual_mov_b32 v10, s5
	s_sleep 1
	global_store_b64 v[13:14], v[11:12], off
	s_waitcnt_vscnt null, 0x0
	global_atomic_cmpswap_b64 v[9:10], v15, v[9:12], s[2:3] offset:32 glc
	s_waitcnt vmcnt(0)
	v_cmp_eq_u64_e32 vcc_lo, v[9:10], v[11:12]
	v_dual_mov_b32 v12, v10 :: v_dual_mov_b32 v11, v9
	s_or_b32 s7, vcc_lo, s7
	s_delay_alu instid0(SALU_CYCLE_1)
	s_and_not1_b32 exec_lo, exec_lo, s7
	s_cbranch_execnz .LBB26_126
.LBB26_127:
	s_or_b32 exec_lo, exec_lo, s6
	v_mov_b32_e32 v12, 0
	s_mov_b32 s7, exec_lo
	s_mov_b32 s6, exec_lo
	v_mbcnt_lo_u32_b32 v11, s7, 0
	global_load_b64 v[9:10], v12, s[2:3] offset:16
	v_cmpx_eq_u32_e32 0, v11
	s_cbranch_execz .LBB26_129
; %bb.128:
	s_bcnt1_i32_b32 s7, s7
	s_delay_alu instid0(SALU_CYCLE_1)
	v_mov_b32_e32 v11, s7
	s_waitcnt vmcnt(0)
	global_atomic_add_u64 v[9:10], v[11:12], off offset:8
.LBB26_129:
	s_or_b32 exec_lo, exec_lo, s6
	s_waitcnt vmcnt(0)
	global_load_b64 v[11:12], v[9:10], off offset:16
	s_waitcnt vmcnt(0)
	v_cmp_eq_u64_e32 vcc_lo, 0, v[11:12]
	s_cbranch_vccnz .LBB26_131
; %bb.130:
	global_load_b32 v9, v[9:10], off offset:24
	s_waitcnt vmcnt(0)
	v_dual_mov_b32 v10, 0 :: v_dual_and_b32 v13, 0xffffff, v9
	s_waitcnt_vscnt null, 0x0
	global_store_b64 v[11:12], v[9:10], off
	v_readfirstlane_b32 m0, v13
	s_sendmsg sendmsg(MSG_INTERRUPT)
.LBB26_131:
	s_or_b32 exec_lo, exec_lo, s1
	s_branch .LBB26_135
	.p2align	6
.LBB26_132:                             ;   in Loop: Header=BB26_135 Depth=1
	s_or_b32 exec_lo, exec_lo, s1
	s_delay_alu instid0(VALU_DEP_1) | instskip(NEXT) | instid1(VALU_DEP_1)
	v_readfirstlane_b32 s1, v9
	s_cmp_eq_u32 s1, 0
	s_cbranch_scc1 .LBB26_134
; %bb.133:                              ;   in Loop: Header=BB26_135 Depth=1
	s_sleep 1
	s_cbranch_execnz .LBB26_135
	s_branch .LBB26_137
	.p2align	6
.LBB26_134:
	s_branch .LBB26_137
.LBB26_135:                             ; =>This Inner Loop Header: Depth=1
	v_mov_b32_e32 v9, 1
	s_and_saveexec_b32 s1, s0
	s_cbranch_execz .LBB26_132
; %bb.136:                              ;   in Loop: Header=BB26_135 Depth=1
	global_load_b32 v9, v[0:1], off offset:20 glc
	s_waitcnt vmcnt(0)
	buffer_gl1_inv
	buffer_gl0_inv
	v_and_b32_e32 v9, 1, v9
	s_branch .LBB26_132
.LBB26_137:
	global_load_b64 v[9:10], v[17:18], off
	s_and_saveexec_b32 s1, s0
	s_cbranch_execz .LBB26_141
; %bb.138:
	v_mov_b32_e32 v15, 0
	s_clause 0x2
	global_load_b64 v[0:1], v15, s[2:3] offset:40
	global_load_b64 v[16:17], v15, s[2:3] offset:24 glc
	global_load_b64 v[13:14], v15, s[2:3]
	s_waitcnt vmcnt(2)
	v_add_co_u32 v18, vcc_lo, v0, 1
	v_add_co_ci_u32_e32 v19, vcc_lo, 0, v1, vcc_lo
	s_delay_alu instid0(VALU_DEP_2) | instskip(NEXT) | instid1(VALU_DEP_2)
	v_add_co_u32 v11, vcc_lo, v18, s4
	v_add_co_ci_u32_e32 v12, vcc_lo, s5, v19, vcc_lo
	s_delay_alu instid0(VALU_DEP_1) | instskip(SKIP_1) | instid1(VALU_DEP_1)
	v_cmp_eq_u64_e32 vcc_lo, 0, v[11:12]
	v_dual_cndmask_b32 v12, v12, v19 :: v_dual_cndmask_b32 v11, v11, v18
	v_and_b32_e32 v1, v12, v1
	s_delay_alu instid0(VALU_DEP_2) | instskip(NEXT) | instid1(VALU_DEP_2)
	v_and_b32_e32 v0, v11, v0
	v_mul_lo_u32 v1, v1, 24
	s_delay_alu instid0(VALU_DEP_2) | instskip(SKIP_1) | instid1(VALU_DEP_2)
	v_mul_hi_u32 v18, v0, 24
	v_mul_lo_u32 v0, v0, 24
	v_add_nc_u32_e32 v1, v18, v1
	s_waitcnt vmcnt(0)
	s_delay_alu instid0(VALU_DEP_2) | instskip(SKIP_1) | instid1(VALU_DEP_3)
	v_add_co_u32 v0, vcc_lo, v13, v0
	v_mov_b32_e32 v13, v16
	v_add_co_ci_u32_e32 v1, vcc_lo, v14, v1, vcc_lo
	v_mov_b32_e32 v14, v17
	global_store_b64 v[0:1], v[16:17], off
	s_waitcnt_vscnt null, 0x0
	global_atomic_cmpswap_b64 v[13:14], v15, v[11:14], s[2:3] offset:24 glc
	s_waitcnt vmcnt(0)
	v_cmp_ne_u64_e32 vcc_lo, v[13:14], v[16:17]
	s_and_b32 exec_lo, exec_lo, vcc_lo
	s_cbranch_execz .LBB26_141
; %bb.139:
	s_mov_b32 s0, 0
.LBB26_140:                             ; =>This Inner Loop Header: Depth=1
	s_sleep 1
	global_store_b64 v[0:1], v[13:14], off
	s_waitcnt_vscnt null, 0x0
	global_atomic_cmpswap_b64 v[16:17], v15, v[11:14], s[2:3] offset:24 glc
	s_waitcnt vmcnt(0)
	v_cmp_eq_u64_e32 vcc_lo, v[16:17], v[13:14]
	v_dual_mov_b32 v13, v16 :: v_dual_mov_b32 v14, v17
	s_or_b32 s0, vcc_lo, s0
	s_delay_alu instid0(SALU_CYCLE_1)
	s_and_not1_b32 exec_lo, exec_lo, s0
	s_cbranch_execnz .LBB26_140
.LBB26_141:
	s_or_b32 exec_lo, exec_lo, s1
.LBB26_142:
	s_waitcnt vmcnt(0)
	v_dual_mov_b32 v12, v3 :: v_dual_mov_b32 v11, v2
	s_mov_b32 s0, 0
.LBB26_143:                             ; =>This Inner Loop Header: Depth=1
	flat_load_u8 v13, v[11:12]
	v_add_co_u32 v0, vcc_lo, v11, 1
	v_add_co_ci_u32_e32 v1, vcc_lo, 0, v12, vcc_lo
	s_delay_alu instid0(VALU_DEP_1) | instskip(SKIP_3) | instid1(SALU_CYCLE_1)
	v_dual_mov_b32 v12, v1 :: v_dual_mov_b32 v11, v0
	s_waitcnt vmcnt(0) lgkmcnt(0)
	v_cmp_eq_u16_e32 vcc_lo, 0, v13
	s_or_b32 s0, vcc_lo, s0
	s_and_not1_b32 exec_lo, exec_lo, s0
	s_cbranch_execnz .LBB26_143
; %bb.144:
	s_or_b32 exec_lo, exec_lo, s0
	s_delay_alu instid0(SALU_CYCLE_1)
	s_mov_b32 s0, exec_lo
	v_cmpx_ne_u64_e32 0, v[2:3]
	s_xor_b32 s10, exec_lo, s0
	s_cbranch_execz .LBB26_230
; %bb.145:
	v_sub_nc_u32_e32 v0, v0, v2
	v_dual_mov_b32 v13, 0 :: v_dual_and_b32 v50, 2, v9
	v_dual_mov_b32 v14, 2 :: v_dual_and_b32 v9, -3, v9
	s_delay_alu instid0(VALU_DEP_3)
	v_ashrrev_i32_e32 v1, 31, v0
	v_mov_b32_e32 v15, 1
	s_mov_b32 s12, 0
	s_mov_b32 s11, 0
	s_branch .LBB26_147
.LBB26_146:                             ;   in Loop: Header=BB26_147 Depth=1
	s_or_b32 exec_lo, exec_lo, s1
	v_sub_co_u32 v0, vcc_lo, v0, v36
	v_sub_co_ci_u32_e32 v1, vcc_lo, v1, v37, vcc_lo
	v_add_co_u32 v2, s0, v2, v36
	s_delay_alu instid0(VALU_DEP_1) | instskip(NEXT) | instid1(VALU_DEP_3)
	v_add_co_ci_u32_e64 v3, s0, v3, v37, s0
	v_cmp_eq_u64_e32 vcc_lo, 0, v[0:1]
	s_or_b32 s11, vcc_lo, s11
	s_delay_alu instid0(SALU_CYCLE_1)
	s_and_not1_b32 exec_lo, exec_lo, s11
	s_cbranch_execz .LBB26_229
.LBB26_147:                             ; =>This Loop Header: Depth=1
                                        ;     Child Loop BB26_150 Depth 2
                                        ;     Child Loop BB26_158 Depth 2
	;; [unrolled: 1-line block ×11, first 2 shown]
	v_cmp_gt_u64_e32 vcc_lo, 56, v[0:1]
	s_mov_b32 s1, exec_lo
                                        ; implicit-def: $vgpr18_vgpr19
                                        ; implicit-def: $sgpr4
	v_dual_cndmask_b32 v37, 0, v1 :: v_dual_cndmask_b32 v36, 56, v0
	v_cmpx_gt_u64_e32 8, v[0:1]
	s_xor_b32 s1, exec_lo, s1
	s_cbranch_execz .LBB26_153
; %bb.148:                              ;   in Loop: Header=BB26_147 Depth=1
	v_mov_b32_e32 v18, 0
	v_mov_b32_e32 v19, 0
	s_mov_b64 s[4:5], 0
	s_mov_b32 s6, exec_lo
	v_cmpx_ne_u64_e32 0, v[0:1]
	s_cbranch_execz .LBB26_152
; %bb.149:                              ;   in Loop: Header=BB26_147 Depth=1
	s_waitcnt vmcnt(0)
	v_lshlrev_b64 v[11:12], 3, v[36:37]
	v_dual_mov_b32 v18, 0 :: v_dual_mov_b32 v17, v3
	v_dual_mov_b32 v19, 0 :: v_dual_mov_b32 v16, v2
	s_mov_b32 s7, 0
	.p2align	6
.LBB26_150:                             ;   Parent Loop BB26_147 Depth=1
                                        ; =>  This Inner Loop Header: Depth=2
	flat_load_u8 v12, v[16:17]
	v_mov_b32_e32 v21, s12
	v_add_co_u32 v16, vcc_lo, v16, 1
	v_add_co_ci_u32_e32 v17, vcc_lo, 0, v17, vcc_lo
	s_waitcnt vmcnt(0) lgkmcnt(0)
	v_and_b32_e32 v20, 0xffff, v12
	s_delay_alu instid0(VALU_DEP_1) | instskip(SKIP_3) | instid1(VALU_DEP_2)
	v_lshlrev_b64 v[20:21], s4, v[20:21]
	s_add_u32 s4, s4, 8
	s_addc_u32 s5, s5, 0
	v_cmp_eq_u32_e64 s0, s4, v11
	v_or_b32_e32 v19, v21, v19
	s_delay_alu instid0(VALU_DEP_3) | instskip(NEXT) | instid1(VALU_DEP_3)
	v_or_b32_e32 v18, v20, v18
	s_or_b32 s7, s0, s7
	s_delay_alu instid0(SALU_CYCLE_1)
	s_and_not1_b32 exec_lo, exec_lo, s7
	s_cbranch_execnz .LBB26_150
; %bb.151:                              ;   in Loop: Header=BB26_147 Depth=1
	s_or_b32 exec_lo, exec_lo, s7
.LBB26_152:                             ;   in Loop: Header=BB26_147 Depth=1
	s_delay_alu instid0(SALU_CYCLE_1)
	s_or_b32 exec_lo, exec_lo, s6
	s_mov_b32 s4, 0
.LBB26_153:                             ;   in Loop: Header=BB26_147 Depth=1
	s_or_saveexec_b32 s0, s1
	s_waitcnt vmcnt(0)
	v_mov_b32_e32 v12, v3
	v_dual_mov_b32 v16, s4 :: v_dual_mov_b32 v11, v2
	s_xor_b32 exec_lo, exec_lo, s0
	s_cbranch_execz .LBB26_155
; %bb.154:                              ;   in Loop: Header=BB26_147 Depth=1
	flat_load_b64 v[11:12], v[2:3]
	s_waitcnt vmcnt(0) lgkmcnt(0)
	v_and_b32_e32 v16, 0xff, v12
	v_and_b32_e32 v17, 0xff00, v12
	;; [unrolled: 1-line block ×4, first 2 shown]
	v_or3_b32 v18, v11, 0, 0
	v_add_co_u32 v11, vcc_lo, v2, 8
	v_or_b32_e32 v17, v16, v17
	v_add_nc_u32_e32 v16, -8, v36
	s_delay_alu instid0(VALU_DEP_2)
	v_or3_b32 v19, v17, v19, v12
	v_add_co_ci_u32_e32 v12, vcc_lo, 0, v3, vcc_lo
.LBB26_155:                             ;   in Loop: Header=BB26_147 Depth=1
	s_or_b32 exec_lo, exec_lo, s0
                                        ; implicit-def: $vgpr20_vgpr21
                                        ; implicit-def: $sgpr1
	s_delay_alu instid0(SALU_CYCLE_1)
	s_mov_b32 s0, exec_lo
	v_cmpx_gt_u32_e32 8, v16
	s_xor_b32 s6, exec_lo, s0
	s_cbranch_execz .LBB26_161
; %bb.156:                              ;   in Loop: Header=BB26_147 Depth=1
	v_mov_b32_e32 v20, 0
	v_mov_b32_e32 v21, 0
	s_mov_b32 s7, exec_lo
	v_cmpx_ne_u32_e32 0, v16
	s_cbranch_execz .LBB26_160
; %bb.157:                              ;   in Loop: Header=BB26_147 Depth=1
	v_mov_b32_e32 v20, 0
	v_mov_b32_e32 v21, 0
	s_mov_b64 s[0:1], 0
	s_mov_b32 s13, 0
	s_mov_b64 s[4:5], 0
	.p2align	6
.LBB26_158:                             ;   Parent Loop BB26_147 Depth=1
                                        ; =>  This Inner Loop Header: Depth=2
	s_delay_alu instid0(SALU_CYCLE_1)
	v_add_co_u32 v22, vcc_lo, v11, s4
	v_add_co_ci_u32_e32 v23, vcc_lo, s5, v12, vcc_lo
	s_add_u32 s4, s4, 1
	s_addc_u32 s5, s5, 0
	v_cmp_eq_u32_e32 vcc_lo, s4, v16
	flat_load_u8 v17, v[22:23]
	s_waitcnt vmcnt(0) lgkmcnt(0)
	v_dual_mov_b32 v23, s12 :: v_dual_and_b32 v22, 0xffff, v17
	s_delay_alu instid0(VALU_DEP_1) | instskip(SKIP_3) | instid1(VALU_DEP_1)
	v_lshlrev_b64 v[22:23], s0, v[22:23]
	s_add_u32 s0, s0, 8
	s_addc_u32 s1, s1, 0
	s_or_b32 s13, vcc_lo, s13
	v_or_b32_e32 v21, v23, v21
	s_delay_alu instid0(VALU_DEP_2)
	v_or_b32_e32 v20, v22, v20
	s_and_not1_b32 exec_lo, exec_lo, s13
	s_cbranch_execnz .LBB26_158
; %bb.159:                              ;   in Loop: Header=BB26_147 Depth=1
	s_or_b32 exec_lo, exec_lo, s13
.LBB26_160:                             ;   in Loop: Header=BB26_147 Depth=1
	s_delay_alu instid0(SALU_CYCLE_1)
	s_or_b32 exec_lo, exec_lo, s7
	s_mov_b32 s1, 0
                                        ; implicit-def: $vgpr16
.LBB26_161:                             ;   in Loop: Header=BB26_147 Depth=1
	s_or_saveexec_b32 s0, s6
	v_mov_b32_e32 v17, s1
	s_xor_b32 exec_lo, exec_lo, s0
	s_cbranch_execz .LBB26_163
; %bb.162:                              ;   in Loop: Header=BB26_147 Depth=1
	flat_load_b64 v[20:21], v[11:12]
	v_add_co_u32 v11, vcc_lo, v11, 8
	v_add_co_ci_u32_e32 v12, vcc_lo, 0, v12, vcc_lo
	s_waitcnt vmcnt(0) lgkmcnt(0)
	v_and_b32_e32 v17, 0xff, v21
	v_and_b32_e32 v22, 0xff00, v21
	;; [unrolled: 1-line block ×4, first 2 shown]
	v_or3_b32 v20, v20, 0, 0
	s_delay_alu instid0(VALU_DEP_4) | instskip(SKIP_1) | instid1(VALU_DEP_2)
	v_or_b32_e32 v22, v17, v22
	v_add_nc_u32_e32 v17, -8, v16
	v_or3_b32 v21, v22, v23, v21
.LBB26_163:                             ;   in Loop: Header=BB26_147 Depth=1
	s_or_b32 exec_lo, exec_lo, s0
                                        ; implicit-def: $sgpr1
	s_delay_alu instid0(SALU_CYCLE_1) | instskip(NEXT) | instid1(VALU_DEP_1)
	s_mov_b32 s0, exec_lo
	v_cmpx_gt_u32_e32 8, v17
	s_xor_b32 s6, exec_lo, s0
	s_cbranch_execz .LBB26_169
; %bb.164:                              ;   in Loop: Header=BB26_147 Depth=1
	v_mov_b32_e32 v22, 0
	v_mov_b32_e32 v23, 0
	s_mov_b32 s7, exec_lo
	v_cmpx_ne_u32_e32 0, v17
	s_cbranch_execz .LBB26_168
; %bb.165:                              ;   in Loop: Header=BB26_147 Depth=1
	v_mov_b32_e32 v22, 0
	v_mov_b32_e32 v23, 0
	s_mov_b64 s[0:1], 0
	s_mov_b32 s13, 0
	s_mov_b64 s[4:5], 0
	.p2align	6
.LBB26_166:                             ;   Parent Loop BB26_147 Depth=1
                                        ; =>  This Inner Loop Header: Depth=2
	s_delay_alu instid0(SALU_CYCLE_1)
	v_add_co_u32 v24, vcc_lo, v11, s4
	v_add_co_ci_u32_e32 v25, vcc_lo, s5, v12, vcc_lo
	s_add_u32 s4, s4, 1
	s_addc_u32 s5, s5, 0
	v_cmp_eq_u32_e32 vcc_lo, s4, v17
	flat_load_u8 v16, v[24:25]
	s_waitcnt vmcnt(0) lgkmcnt(0)
	v_dual_mov_b32 v25, s12 :: v_dual_and_b32 v24, 0xffff, v16
	s_delay_alu instid0(VALU_DEP_1) | instskip(SKIP_3) | instid1(VALU_DEP_1)
	v_lshlrev_b64 v[24:25], s0, v[24:25]
	s_add_u32 s0, s0, 8
	s_addc_u32 s1, s1, 0
	s_or_b32 s13, vcc_lo, s13
	v_or_b32_e32 v23, v25, v23
	s_delay_alu instid0(VALU_DEP_2)
	v_or_b32_e32 v22, v24, v22
	s_and_not1_b32 exec_lo, exec_lo, s13
	s_cbranch_execnz .LBB26_166
; %bb.167:                              ;   in Loop: Header=BB26_147 Depth=1
	s_or_b32 exec_lo, exec_lo, s13
.LBB26_168:                             ;   in Loop: Header=BB26_147 Depth=1
	s_delay_alu instid0(SALU_CYCLE_1)
	s_or_b32 exec_lo, exec_lo, s7
	s_mov_b32 s1, 0
                                        ; implicit-def: $vgpr17
.LBB26_169:                             ;   in Loop: Header=BB26_147 Depth=1
	s_or_saveexec_b32 s0, s6
	v_mov_b32_e32 v16, s1
	s_xor_b32 exec_lo, exec_lo, s0
	s_cbranch_execz .LBB26_171
; %bb.170:                              ;   in Loop: Header=BB26_147 Depth=1
	flat_load_b64 v[22:23], v[11:12]
	v_add_co_u32 v11, vcc_lo, v11, 8
	v_add_co_ci_u32_e32 v12, vcc_lo, 0, v12, vcc_lo
	s_waitcnt vmcnt(0) lgkmcnt(0)
	v_and_b32_e32 v16, 0xff, v23
	v_and_b32_e32 v24, 0xff00, v23
	;; [unrolled: 1-line block ×4, first 2 shown]
	v_or3_b32 v22, v22, 0, 0
	s_delay_alu instid0(VALU_DEP_4) | instskip(SKIP_1) | instid1(VALU_DEP_2)
	v_or_b32_e32 v24, v16, v24
	v_add_nc_u32_e32 v16, -8, v17
	v_or3_b32 v23, v24, v25, v23
.LBB26_171:                             ;   in Loop: Header=BB26_147 Depth=1
	s_or_b32 exec_lo, exec_lo, s0
                                        ; implicit-def: $vgpr24_vgpr25
                                        ; implicit-def: $sgpr1
	s_delay_alu instid0(SALU_CYCLE_1) | instskip(NEXT) | instid1(VALU_DEP_1)
	s_mov_b32 s0, exec_lo
	v_cmpx_gt_u32_e32 8, v16
	s_xor_b32 s6, exec_lo, s0
	s_cbranch_execz .LBB26_177
; %bb.172:                              ;   in Loop: Header=BB26_147 Depth=1
	v_mov_b32_e32 v24, 0
	v_mov_b32_e32 v25, 0
	s_mov_b32 s7, exec_lo
	v_cmpx_ne_u32_e32 0, v16
	s_cbranch_execz .LBB26_176
; %bb.173:                              ;   in Loop: Header=BB26_147 Depth=1
	v_mov_b32_e32 v24, 0
	v_mov_b32_e32 v25, 0
	s_mov_b64 s[0:1], 0
	s_mov_b32 s13, 0
	s_mov_b64 s[4:5], 0
	.p2align	6
.LBB26_174:                             ;   Parent Loop BB26_147 Depth=1
                                        ; =>  This Inner Loop Header: Depth=2
	s_delay_alu instid0(SALU_CYCLE_1)
	v_add_co_u32 v26, vcc_lo, v11, s4
	v_add_co_ci_u32_e32 v27, vcc_lo, s5, v12, vcc_lo
	s_add_u32 s4, s4, 1
	s_addc_u32 s5, s5, 0
	v_cmp_eq_u32_e32 vcc_lo, s4, v16
	flat_load_u8 v17, v[26:27]
	s_waitcnt vmcnt(0) lgkmcnt(0)
	v_dual_mov_b32 v27, s12 :: v_dual_and_b32 v26, 0xffff, v17
	s_delay_alu instid0(VALU_DEP_1) | instskip(SKIP_3) | instid1(VALU_DEP_1)
	v_lshlrev_b64 v[26:27], s0, v[26:27]
	s_add_u32 s0, s0, 8
	s_addc_u32 s1, s1, 0
	s_or_b32 s13, vcc_lo, s13
	v_or_b32_e32 v25, v27, v25
	s_delay_alu instid0(VALU_DEP_2)
	v_or_b32_e32 v24, v26, v24
	s_and_not1_b32 exec_lo, exec_lo, s13
	s_cbranch_execnz .LBB26_174
; %bb.175:                              ;   in Loop: Header=BB26_147 Depth=1
	s_or_b32 exec_lo, exec_lo, s13
.LBB26_176:                             ;   in Loop: Header=BB26_147 Depth=1
	s_delay_alu instid0(SALU_CYCLE_1)
	s_or_b32 exec_lo, exec_lo, s7
	s_mov_b32 s1, 0
                                        ; implicit-def: $vgpr16
.LBB26_177:                             ;   in Loop: Header=BB26_147 Depth=1
	s_or_saveexec_b32 s0, s6
	v_mov_b32_e32 v17, s1
	s_xor_b32 exec_lo, exec_lo, s0
	s_cbranch_execz .LBB26_179
; %bb.178:                              ;   in Loop: Header=BB26_147 Depth=1
	flat_load_b64 v[24:25], v[11:12]
	v_add_co_u32 v11, vcc_lo, v11, 8
	v_add_co_ci_u32_e32 v12, vcc_lo, 0, v12, vcc_lo
	s_waitcnt vmcnt(0) lgkmcnt(0)
	v_and_b32_e32 v17, 0xff, v25
	v_and_b32_e32 v26, 0xff00, v25
	;; [unrolled: 1-line block ×4, first 2 shown]
	v_or3_b32 v24, v24, 0, 0
	s_delay_alu instid0(VALU_DEP_4) | instskip(SKIP_1) | instid1(VALU_DEP_2)
	v_or_b32_e32 v26, v17, v26
	v_add_nc_u32_e32 v17, -8, v16
	v_or3_b32 v25, v26, v27, v25
.LBB26_179:                             ;   in Loop: Header=BB26_147 Depth=1
	s_or_b32 exec_lo, exec_lo, s0
                                        ; implicit-def: $sgpr1
	s_delay_alu instid0(SALU_CYCLE_1) | instskip(NEXT) | instid1(VALU_DEP_1)
	s_mov_b32 s0, exec_lo
	v_cmpx_gt_u32_e32 8, v17
	s_xor_b32 s6, exec_lo, s0
	s_cbranch_execz .LBB26_185
; %bb.180:                              ;   in Loop: Header=BB26_147 Depth=1
	v_mov_b32_e32 v26, 0
	v_mov_b32_e32 v27, 0
	s_mov_b32 s7, exec_lo
	v_cmpx_ne_u32_e32 0, v17
	s_cbranch_execz .LBB26_184
; %bb.181:                              ;   in Loop: Header=BB26_147 Depth=1
	v_mov_b32_e32 v26, 0
	v_mov_b32_e32 v27, 0
	s_mov_b64 s[0:1], 0
	s_mov_b32 s13, 0
	s_mov_b64 s[4:5], 0
	.p2align	6
.LBB26_182:                             ;   Parent Loop BB26_147 Depth=1
                                        ; =>  This Inner Loop Header: Depth=2
	s_delay_alu instid0(SALU_CYCLE_1)
	v_add_co_u32 v28, vcc_lo, v11, s4
	v_add_co_ci_u32_e32 v29, vcc_lo, s5, v12, vcc_lo
	s_add_u32 s4, s4, 1
	s_addc_u32 s5, s5, 0
	v_cmp_eq_u32_e32 vcc_lo, s4, v17
	flat_load_u8 v16, v[28:29]
	s_waitcnt vmcnt(0) lgkmcnt(0)
	v_dual_mov_b32 v29, s12 :: v_dual_and_b32 v28, 0xffff, v16
	s_delay_alu instid0(VALU_DEP_1) | instskip(SKIP_3) | instid1(VALU_DEP_1)
	v_lshlrev_b64 v[28:29], s0, v[28:29]
	s_add_u32 s0, s0, 8
	s_addc_u32 s1, s1, 0
	s_or_b32 s13, vcc_lo, s13
	v_or_b32_e32 v27, v29, v27
	s_delay_alu instid0(VALU_DEP_2)
	v_or_b32_e32 v26, v28, v26
	s_and_not1_b32 exec_lo, exec_lo, s13
	s_cbranch_execnz .LBB26_182
; %bb.183:                              ;   in Loop: Header=BB26_147 Depth=1
	s_or_b32 exec_lo, exec_lo, s13
.LBB26_184:                             ;   in Loop: Header=BB26_147 Depth=1
	s_delay_alu instid0(SALU_CYCLE_1)
	s_or_b32 exec_lo, exec_lo, s7
	s_mov_b32 s1, 0
                                        ; implicit-def: $vgpr17
.LBB26_185:                             ;   in Loop: Header=BB26_147 Depth=1
	s_or_saveexec_b32 s0, s6
	v_mov_b32_e32 v16, s1
	s_xor_b32 exec_lo, exec_lo, s0
	s_cbranch_execz .LBB26_187
; %bb.186:                              ;   in Loop: Header=BB26_147 Depth=1
	flat_load_b64 v[26:27], v[11:12]
	v_add_co_u32 v11, vcc_lo, v11, 8
	v_add_co_ci_u32_e32 v12, vcc_lo, 0, v12, vcc_lo
	s_waitcnt vmcnt(0) lgkmcnt(0)
	v_and_b32_e32 v16, 0xff, v27
	v_and_b32_e32 v28, 0xff00, v27
	;; [unrolled: 1-line block ×4, first 2 shown]
	v_or3_b32 v26, v26, 0, 0
	s_delay_alu instid0(VALU_DEP_4) | instskip(SKIP_1) | instid1(VALU_DEP_2)
	v_or_b32_e32 v28, v16, v28
	v_add_nc_u32_e32 v16, -8, v17
	v_or3_b32 v27, v28, v29, v27
.LBB26_187:                             ;   in Loop: Header=BB26_147 Depth=1
	s_or_b32 exec_lo, exec_lo, s0
                                        ; implicit-def: $vgpr28_vgpr29
                                        ; implicit-def: $sgpr1
	s_delay_alu instid0(SALU_CYCLE_1) | instskip(NEXT) | instid1(VALU_DEP_1)
	s_mov_b32 s0, exec_lo
	v_cmpx_gt_u32_e32 8, v16
	s_xor_b32 s6, exec_lo, s0
	s_cbranch_execz .LBB26_193
; %bb.188:                              ;   in Loop: Header=BB26_147 Depth=1
	v_mov_b32_e32 v28, 0
	v_mov_b32_e32 v29, 0
	s_mov_b32 s7, exec_lo
	v_cmpx_ne_u32_e32 0, v16
	s_cbranch_execz .LBB26_192
; %bb.189:                              ;   in Loop: Header=BB26_147 Depth=1
	v_mov_b32_e32 v28, 0
	v_mov_b32_e32 v29, 0
	s_mov_b64 s[0:1], 0
	s_mov_b32 s13, 0
	s_mov_b64 s[4:5], 0
	.p2align	6
.LBB26_190:                             ;   Parent Loop BB26_147 Depth=1
                                        ; =>  This Inner Loop Header: Depth=2
	s_delay_alu instid0(SALU_CYCLE_1)
	v_add_co_u32 v30, vcc_lo, v11, s4
	v_add_co_ci_u32_e32 v31, vcc_lo, s5, v12, vcc_lo
	s_add_u32 s4, s4, 1
	s_addc_u32 s5, s5, 0
	v_cmp_eq_u32_e32 vcc_lo, s4, v16
	flat_load_u8 v17, v[30:31]
	s_waitcnt vmcnt(0) lgkmcnt(0)
	v_dual_mov_b32 v31, s12 :: v_dual_and_b32 v30, 0xffff, v17
	s_delay_alu instid0(VALU_DEP_1) | instskip(SKIP_3) | instid1(VALU_DEP_1)
	v_lshlrev_b64 v[30:31], s0, v[30:31]
	s_add_u32 s0, s0, 8
	s_addc_u32 s1, s1, 0
	s_or_b32 s13, vcc_lo, s13
	v_or_b32_e32 v29, v31, v29
	s_delay_alu instid0(VALU_DEP_2)
	v_or_b32_e32 v28, v30, v28
	s_and_not1_b32 exec_lo, exec_lo, s13
	s_cbranch_execnz .LBB26_190
; %bb.191:                              ;   in Loop: Header=BB26_147 Depth=1
	s_or_b32 exec_lo, exec_lo, s13
.LBB26_192:                             ;   in Loop: Header=BB26_147 Depth=1
	s_delay_alu instid0(SALU_CYCLE_1)
	s_or_b32 exec_lo, exec_lo, s7
	s_mov_b32 s1, 0
                                        ; implicit-def: $vgpr16
.LBB26_193:                             ;   in Loop: Header=BB26_147 Depth=1
	s_or_saveexec_b32 s0, s6
	v_mov_b32_e32 v17, s1
	s_xor_b32 exec_lo, exec_lo, s0
	s_cbranch_execz .LBB26_195
; %bb.194:                              ;   in Loop: Header=BB26_147 Depth=1
	flat_load_b64 v[28:29], v[11:12]
	v_add_co_u32 v11, vcc_lo, v11, 8
	v_add_co_ci_u32_e32 v12, vcc_lo, 0, v12, vcc_lo
	s_waitcnt vmcnt(0) lgkmcnt(0)
	v_and_b32_e32 v17, 0xff, v29
	v_and_b32_e32 v30, 0xff00, v29
	;; [unrolled: 1-line block ×4, first 2 shown]
	v_or3_b32 v28, v28, 0, 0
	s_delay_alu instid0(VALU_DEP_4) | instskip(SKIP_1) | instid1(VALU_DEP_2)
	v_or_b32_e32 v30, v17, v30
	v_add_nc_u32_e32 v17, -8, v16
	v_or3_b32 v29, v30, v31, v29
.LBB26_195:                             ;   in Loop: Header=BB26_147 Depth=1
	s_or_b32 exec_lo, exec_lo, s0
	s_delay_alu instid0(SALU_CYCLE_1) | instskip(NEXT) | instid1(VALU_DEP_1)
	s_mov_b32 s0, exec_lo
	v_cmpx_gt_u32_e32 8, v17
	s_xor_b32 s4, exec_lo, s0
	s_cbranch_execz .LBB26_201
; %bb.196:                              ;   in Loop: Header=BB26_147 Depth=1
	v_mov_b32_e32 v30, 0
	v_mov_b32_e32 v31, 0
	s_mov_b32 s5, exec_lo
	v_cmpx_ne_u32_e32 0, v17
	s_cbranch_execz .LBB26_200
; %bb.197:                              ;   in Loop: Header=BB26_147 Depth=1
	v_mov_b32_e32 v30, 0
	v_mov_b32_e32 v31, 0
	s_mov_b64 s[0:1], 0
	s_mov_b32 s6, 0
	.p2align	6
.LBB26_198:                             ;   Parent Loop BB26_147 Depth=1
                                        ; =>  This Inner Loop Header: Depth=2
	flat_load_u8 v16, v[11:12]
	v_mov_b32_e32 v33, s12
	v_add_nc_u32_e32 v17, -1, v17
	v_add_co_u32 v11, vcc_lo, v11, 1
	v_add_co_ci_u32_e32 v12, vcc_lo, 0, v12, vcc_lo
	s_delay_alu instid0(VALU_DEP_3) | instskip(SKIP_2) | instid1(VALU_DEP_1)
	v_cmp_eq_u32_e32 vcc_lo, 0, v17
	s_waitcnt vmcnt(0) lgkmcnt(0)
	v_and_b32_e32 v32, 0xffff, v16
	v_lshlrev_b64 v[32:33], s0, v[32:33]
	s_add_u32 s0, s0, 8
	s_addc_u32 s1, s1, 0
	s_or_b32 s6, vcc_lo, s6
	s_delay_alu instid0(VALU_DEP_1) | instskip(NEXT) | instid1(VALU_DEP_2)
	v_or_b32_e32 v31, v33, v31
	v_or_b32_e32 v30, v32, v30
	s_and_not1_b32 exec_lo, exec_lo, s6
	s_cbranch_execnz .LBB26_198
; %bb.199:                              ;   in Loop: Header=BB26_147 Depth=1
	s_or_b32 exec_lo, exec_lo, s6
.LBB26_200:                             ;   in Loop: Header=BB26_147 Depth=1
	s_delay_alu instid0(SALU_CYCLE_1)
	s_or_b32 exec_lo, exec_lo, s5
                                        ; implicit-def: $vgpr11_vgpr12
.LBB26_201:                             ;   in Loop: Header=BB26_147 Depth=1
	s_and_not1_saveexec_b32 s0, s4
	s_cbranch_execz .LBB26_203
; %bb.202:                              ;   in Loop: Header=BB26_147 Depth=1
	flat_load_b64 v[11:12], v[11:12]
	s_waitcnt vmcnt(0) lgkmcnt(0)
	v_and_b32_e32 v16, 0xff, v12
	v_and_b32_e32 v17, 0xff00, v12
	;; [unrolled: 1-line block ×4, first 2 shown]
	s_delay_alu instid0(VALU_DEP_3) | instskip(NEXT) | instid1(VALU_DEP_1)
	v_or_b32_e32 v16, v16, v17
	v_or3_b32 v31, v16, v30, v12
	v_or3_b32 v30, v11, 0, 0
.LBB26_203:                             ;   in Loop: Header=BB26_147 Depth=1
	s_or_b32 exec_lo, exec_lo, s0
	v_readfirstlane_b32 s0, v49
	v_mov_b32_e32 v11, 0
	v_mov_b32_e32 v12, 0
	s_delay_alu instid0(VALU_DEP_3) | instskip(NEXT) | instid1(VALU_DEP_1)
	v_cmp_eq_u32_e64 s0, s0, v49
	s_and_saveexec_b32 s1, s0
	s_cbranch_execz .LBB26_209
; %bb.204:                              ;   in Loop: Header=BB26_147 Depth=1
	global_load_b64 v[34:35], v13, s[2:3] offset:24 glc
	s_waitcnt vmcnt(0)
	buffer_gl1_inv
	buffer_gl0_inv
	s_clause 0x1
	global_load_b64 v[11:12], v13, s[2:3] offset:40
	global_load_b64 v[16:17], v13, s[2:3]
	s_mov_b32 s4, exec_lo
	s_waitcnt vmcnt(1)
	v_and_b32_e32 v12, v12, v35
	v_and_b32_e32 v11, v11, v34
	s_delay_alu instid0(VALU_DEP_2) | instskip(NEXT) | instid1(VALU_DEP_2)
	v_mul_lo_u32 v12, v12, 24
	v_mul_hi_u32 v32, v11, 24
	v_mul_lo_u32 v11, v11, 24
	s_delay_alu instid0(VALU_DEP_2) | instskip(SKIP_1) | instid1(VALU_DEP_2)
	v_add_nc_u32_e32 v12, v32, v12
	s_waitcnt vmcnt(0)
	v_add_co_u32 v11, vcc_lo, v16, v11
	s_delay_alu instid0(VALU_DEP_2)
	v_add_co_ci_u32_e32 v12, vcc_lo, v17, v12, vcc_lo
	global_load_b64 v[32:33], v[11:12], off glc
	s_waitcnt vmcnt(0)
	global_atomic_cmpswap_b64 v[11:12], v13, v[32:35], s[2:3] offset:24 glc
	s_waitcnt vmcnt(0)
	buffer_gl1_inv
	buffer_gl0_inv
	v_cmpx_ne_u64_e64 v[11:12], v[34:35]
	s_cbranch_execz .LBB26_208
; %bb.205:                              ;   in Loop: Header=BB26_147 Depth=1
	s_mov_b32 s5, 0
	.p2align	6
.LBB26_206:                             ;   Parent Loop BB26_147 Depth=1
                                        ; =>  This Inner Loop Header: Depth=2
	s_sleep 1
	s_clause 0x1
	global_load_b64 v[16:17], v13, s[2:3] offset:40
	global_load_b64 v[32:33], v13, s[2:3]
	v_dual_mov_b32 v35, v12 :: v_dual_mov_b32 v34, v11
	s_waitcnt vmcnt(1)
	s_delay_alu instid0(VALU_DEP_1) | instskip(SKIP_1) | instid1(VALU_DEP_1)
	v_and_b32_e32 v16, v16, v34
	s_waitcnt vmcnt(0)
	v_mad_u64_u32 v[11:12], null, v16, 24, v[32:33]
	v_and_b32_e32 v32, v17, v35
	s_delay_alu instid0(VALU_DEP_1) | instskip(NEXT) | instid1(VALU_DEP_1)
	v_mad_u64_u32 v[16:17], null, v32, 24, v[12:13]
	v_mov_b32_e32 v12, v16
	global_load_b64 v[32:33], v[11:12], off glc
	s_waitcnt vmcnt(0)
	global_atomic_cmpswap_b64 v[11:12], v13, v[32:35], s[2:3] offset:24 glc
	s_waitcnt vmcnt(0)
	buffer_gl1_inv
	buffer_gl0_inv
	v_cmp_eq_u64_e32 vcc_lo, v[11:12], v[34:35]
	s_or_b32 s5, vcc_lo, s5
	s_delay_alu instid0(SALU_CYCLE_1)
	s_and_not1_b32 exec_lo, exec_lo, s5
	s_cbranch_execnz .LBB26_206
; %bb.207:                              ;   in Loop: Header=BB26_147 Depth=1
	s_or_b32 exec_lo, exec_lo, s5
.LBB26_208:                             ;   in Loop: Header=BB26_147 Depth=1
	s_delay_alu instid0(SALU_CYCLE_1)
	s_or_b32 exec_lo, exec_lo, s4
.LBB26_209:                             ;   in Loop: Header=BB26_147 Depth=1
	s_delay_alu instid0(SALU_CYCLE_1)
	s_or_b32 exec_lo, exec_lo, s1
	s_clause 0x1
	global_load_b64 v[16:17], v13, s[2:3] offset:40
	global_load_b128 v[32:35], v13, s[2:3]
	v_readfirstlane_b32 s4, v11
	v_readfirstlane_b32 s5, v12
	s_mov_b32 s1, exec_lo
	s_waitcnt vmcnt(1)
	v_readfirstlane_b32 s6, v16
	v_readfirstlane_b32 s7, v17
	s_delay_alu instid0(VALU_DEP_1) | instskip(NEXT) | instid1(SALU_CYCLE_1)
	s_and_b64 s[6:7], s[4:5], s[6:7]
	s_mul_i32 s13, s7, 24
	s_mul_hi_u32 s14, s6, 24
	s_mul_i32 s15, s6, 24
	s_add_i32 s14, s14, s13
	s_waitcnt vmcnt(0)
	v_add_co_u32 v38, vcc_lo, v32, s15
	v_add_co_ci_u32_e32 v39, vcc_lo, s14, v33, vcc_lo
	s_and_saveexec_b32 s13, s0
	s_cbranch_execz .LBB26_211
; %bb.210:                              ;   in Loop: Header=BB26_147 Depth=1
	v_mov_b32_e32 v12, s1
	global_store_b128 v[38:39], v[12:15], off offset:8
.LBB26_211:                             ;   in Loop: Header=BB26_147 Depth=1
	s_or_b32 exec_lo, exec_lo, s13
	v_cmp_lt_u64_e32 vcc_lo, 56, v[0:1]
	v_or_b32_e32 v11, 0, v10
	v_or_b32_e32 v12, v9, v50
	v_lshl_add_u32 v16, v36, 2, 28
	s_lshl_b64 s[6:7], s[6:7], 12
	s_delay_alu instid0(SALU_CYCLE_1) | instskip(NEXT) | instid1(VALU_DEP_1)
	v_add_co_u32 v34, s1, v34, s6
	v_add_co_ci_u32_e64 v35, s1, s7, v35, s1
	s_delay_alu instid0(VALU_DEP_3) | instskip(SKIP_1) | instid1(VALU_DEP_4)
	v_dual_cndmask_b32 v17, v11, v10 :: v_dual_and_b32 v10, 0x1e0, v16
	v_cndmask_b32_e32 v9, v12, v9, vcc_lo
	v_readfirstlane_b32 s6, v34
	s_delay_alu instid0(VALU_DEP_4) | instskip(NEXT) | instid1(VALU_DEP_3)
	v_readfirstlane_b32 s7, v35
	v_and_or_b32 v16, 0xffffff1f, v9, v10
	s_clause 0x3
	global_store_b128 v48, v[16:19], s[6:7]
	global_store_b128 v48, v[20:23], s[6:7] offset:16
	global_store_b128 v48, v[24:27], s[6:7] offset:32
	global_store_b128 v48, v[28:31], s[6:7] offset:48
	s_and_saveexec_b32 s1, s0
	s_cbranch_execz .LBB26_219
; %bb.212:                              ;   in Loop: Header=BB26_147 Depth=1
	s_clause 0x1
	global_load_b64 v[20:21], v13, s[2:3] offset:32 glc
	global_load_b64 v[9:10], v13, s[2:3] offset:40
	v_dual_mov_b32 v18, s4 :: v_dual_mov_b32 v19, s5
	s_waitcnt vmcnt(0)
	v_readfirstlane_b32 s6, v9
	v_readfirstlane_b32 s7, v10
	s_delay_alu instid0(VALU_DEP_1) | instskip(NEXT) | instid1(SALU_CYCLE_1)
	s_and_b64 s[6:7], s[6:7], s[4:5]
	s_mul_i32 s7, s7, 24
	s_mul_hi_u32 s13, s6, 24
	s_mul_i32 s6, s6, 24
	s_add_i32 s13, s13, s7
	v_add_co_u32 v16, vcc_lo, v32, s6
	v_add_co_ci_u32_e32 v17, vcc_lo, s13, v33, vcc_lo
	s_mov_b32 s6, exec_lo
	global_store_b64 v[16:17], v[20:21], off
	s_waitcnt_vscnt null, 0x0
	global_atomic_cmpswap_b64 v[11:12], v13, v[18:21], s[2:3] offset:32 glc
	s_waitcnt vmcnt(0)
	v_cmpx_ne_u64_e64 v[11:12], v[20:21]
	s_cbranch_execz .LBB26_215
; %bb.213:                              ;   in Loop: Header=BB26_147 Depth=1
	s_mov_b32 s7, 0
.LBB26_214:                             ;   Parent Loop BB26_147 Depth=1
                                        ; =>  This Inner Loop Header: Depth=2
	v_dual_mov_b32 v9, s4 :: v_dual_mov_b32 v10, s5
	s_sleep 1
	global_store_b64 v[16:17], v[11:12], off
	s_waitcnt_vscnt null, 0x0
	global_atomic_cmpswap_b64 v[9:10], v13, v[9:12], s[2:3] offset:32 glc
	s_waitcnt vmcnt(0)
	v_cmp_eq_u64_e32 vcc_lo, v[9:10], v[11:12]
	v_dual_mov_b32 v12, v10 :: v_dual_mov_b32 v11, v9
	s_or_b32 s7, vcc_lo, s7
	s_delay_alu instid0(SALU_CYCLE_1)
	s_and_not1_b32 exec_lo, exec_lo, s7
	s_cbranch_execnz .LBB26_214
.LBB26_215:                             ;   in Loop: Header=BB26_147 Depth=1
	s_or_b32 exec_lo, exec_lo, s6
	global_load_b64 v[9:10], v13, s[2:3] offset:16
	s_mov_b32 s7, exec_lo
	s_mov_b32 s6, exec_lo
	v_mbcnt_lo_u32_b32 v11, s7, 0
	s_delay_alu instid0(VALU_DEP_1)
	v_cmpx_eq_u32_e32 0, v11
	s_cbranch_execz .LBB26_217
; %bb.216:                              ;   in Loop: Header=BB26_147 Depth=1
	s_bcnt1_i32_b32 s7, s7
	s_delay_alu instid0(SALU_CYCLE_1)
	v_mov_b32_e32 v12, s7
	s_waitcnt vmcnt(0)
	global_atomic_add_u64 v[9:10], v[12:13], off offset:8
.LBB26_217:                             ;   in Loop: Header=BB26_147 Depth=1
	s_or_b32 exec_lo, exec_lo, s6
	s_waitcnt vmcnt(0)
	global_load_b64 v[16:17], v[9:10], off offset:16
	s_waitcnt vmcnt(0)
	v_cmp_eq_u64_e32 vcc_lo, 0, v[16:17]
	s_cbranch_vccnz .LBB26_219
; %bb.218:                              ;   in Loop: Header=BB26_147 Depth=1
	global_load_b32 v12, v[9:10], off offset:24
	s_waitcnt vmcnt(0)
	v_and_b32_e32 v9, 0xffffff, v12
	s_waitcnt_vscnt null, 0x0
	global_store_b64 v[16:17], v[12:13], off
	v_readfirstlane_b32 m0, v9
	s_sendmsg sendmsg(MSG_INTERRUPT)
.LBB26_219:                             ;   in Loop: Header=BB26_147 Depth=1
	s_or_b32 exec_lo, exec_lo, s1
	v_add_co_u32 v9, vcc_lo, v34, v48
	v_add_co_ci_u32_e32 v10, vcc_lo, 0, v35, vcc_lo
	s_branch .LBB26_223
	.p2align	6
.LBB26_220:                             ;   in Loop: Header=BB26_223 Depth=2
	s_or_b32 exec_lo, exec_lo, s1
	s_delay_alu instid0(VALU_DEP_1) | instskip(NEXT) | instid1(VALU_DEP_1)
	v_readfirstlane_b32 s1, v11
	s_cmp_eq_u32 s1, 0
	s_cbranch_scc1 .LBB26_222
; %bb.221:                              ;   in Loop: Header=BB26_223 Depth=2
	s_sleep 1
	s_cbranch_execnz .LBB26_223
	s_branch .LBB26_225
	.p2align	6
.LBB26_222:                             ;   in Loop: Header=BB26_147 Depth=1
	s_branch .LBB26_225
.LBB26_223:                             ;   Parent Loop BB26_147 Depth=1
                                        ; =>  This Inner Loop Header: Depth=2
	v_mov_b32_e32 v11, 1
	s_and_saveexec_b32 s1, s0
	s_cbranch_execz .LBB26_220
; %bb.224:                              ;   in Loop: Header=BB26_223 Depth=2
	global_load_b32 v11, v[38:39], off offset:20 glc
	s_waitcnt vmcnt(0)
	buffer_gl1_inv
	buffer_gl0_inv
	v_and_b32_e32 v11, 1, v11
	s_branch .LBB26_220
.LBB26_225:                             ;   in Loop: Header=BB26_147 Depth=1
	global_load_b128 v[9:12], v[9:10], off
	s_and_saveexec_b32 s1, s0
	s_cbranch_execz .LBB26_146
; %bb.226:                              ;   in Loop: Header=BB26_147 Depth=1
	s_clause 0x2
	global_load_b64 v[11:12], v13, s[2:3] offset:40
	global_load_b64 v[20:21], v13, s[2:3] offset:24 glc
	global_load_b64 v[18:19], v13, s[2:3]
	s_waitcnt vmcnt(2)
	v_add_co_u32 v22, vcc_lo, v11, 1
	v_add_co_ci_u32_e32 v23, vcc_lo, 0, v12, vcc_lo
	s_delay_alu instid0(VALU_DEP_2) | instskip(NEXT) | instid1(VALU_DEP_2)
	v_add_co_u32 v16, vcc_lo, v22, s4
	v_add_co_ci_u32_e32 v17, vcc_lo, s5, v23, vcc_lo
	s_delay_alu instid0(VALU_DEP_1) | instskip(SKIP_1) | instid1(VALU_DEP_1)
	v_cmp_eq_u64_e32 vcc_lo, 0, v[16:17]
	v_dual_cndmask_b32 v17, v17, v23 :: v_dual_cndmask_b32 v16, v16, v22
	v_and_b32_e32 v12, v17, v12
	s_delay_alu instid0(VALU_DEP_2) | instskip(NEXT) | instid1(VALU_DEP_2)
	v_and_b32_e32 v11, v16, v11
	v_mul_lo_u32 v12, v12, 24
	s_delay_alu instid0(VALU_DEP_2) | instskip(SKIP_1) | instid1(VALU_DEP_2)
	v_mul_hi_u32 v22, v11, 24
	v_mul_lo_u32 v11, v11, 24
	v_add_nc_u32_e32 v12, v22, v12
	s_waitcnt vmcnt(0)
	s_delay_alu instid0(VALU_DEP_2) | instskip(SKIP_1) | instid1(VALU_DEP_3)
	v_add_co_u32 v11, vcc_lo, v18, v11
	v_mov_b32_e32 v18, v20
	v_add_co_ci_u32_e32 v12, vcc_lo, v19, v12, vcc_lo
	v_mov_b32_e32 v19, v21
	global_store_b64 v[11:12], v[20:21], off
	s_waitcnt_vscnt null, 0x0
	global_atomic_cmpswap_b64 v[18:19], v13, v[16:19], s[2:3] offset:24 glc
	s_waitcnt vmcnt(0)
	v_cmp_ne_u64_e32 vcc_lo, v[18:19], v[20:21]
	s_and_b32 exec_lo, exec_lo, vcc_lo
	s_cbranch_execz .LBB26_146
; %bb.227:                              ;   in Loop: Header=BB26_147 Depth=1
	s_mov_b32 s0, 0
.LBB26_228:                             ;   Parent Loop BB26_147 Depth=1
                                        ; =>  This Inner Loop Header: Depth=2
	s_sleep 1
	global_store_b64 v[11:12], v[18:19], off
	s_waitcnt_vscnt null, 0x0
	global_atomic_cmpswap_b64 v[20:21], v13, v[16:19], s[2:3] offset:24 glc
	s_waitcnt vmcnt(0)
	v_cmp_eq_u64_e32 vcc_lo, v[20:21], v[18:19]
	v_dual_mov_b32 v18, v20 :: v_dual_mov_b32 v19, v21
	s_or_b32 s0, vcc_lo, s0
	s_delay_alu instid0(SALU_CYCLE_1)
	s_and_not1_b32 exec_lo, exec_lo, s0
	s_cbranch_execnz .LBB26_228
	s_branch .LBB26_146
.LBB26_229:
	s_or_b32 exec_lo, exec_lo, s11
.LBB26_230:
	s_and_not1_saveexec_b32 s1, s10
	s_cbranch_execz .LBB26_258
; %bb.231:
	v_readfirstlane_b32 s0, v49
	s_waitcnt vmcnt(0)
	v_mov_b32_e32 v12, 0
	v_mov_b32_e32 v13, 0
	s_delay_alu instid0(VALU_DEP_3) | instskip(NEXT) | instid1(VALU_DEP_1)
	v_cmp_eq_u32_e64 s0, s0, v49
	s_and_saveexec_b32 s4, s0
	s_cbranch_execz .LBB26_237
; %bb.232:
	v_mov_b32_e32 v0, 0
	s_mov_b32 s5, exec_lo
	global_load_b64 v[14:15], v0, s[2:3] offset:24 glc
	s_waitcnt vmcnt(0)
	buffer_gl1_inv
	buffer_gl0_inv
	s_clause 0x1
	global_load_b64 v[1:2], v0, s[2:3] offset:40
	global_load_b64 v[11:12], v0, s[2:3]
	s_waitcnt vmcnt(1)
	v_and_b32_e32 v1, v1, v14
	v_and_b32_e32 v2, v2, v15
	s_delay_alu instid0(VALU_DEP_2) | instskip(NEXT) | instid1(VALU_DEP_2)
	v_mul_hi_u32 v3, v1, 24
	v_mul_lo_u32 v2, v2, 24
	v_mul_lo_u32 v1, v1, 24
	s_delay_alu instid0(VALU_DEP_2) | instskip(SKIP_1) | instid1(VALU_DEP_2)
	v_add_nc_u32_e32 v2, v3, v2
	s_waitcnt vmcnt(0)
	v_add_co_u32 v1, vcc_lo, v11, v1
	s_delay_alu instid0(VALU_DEP_2)
	v_add_co_ci_u32_e32 v2, vcc_lo, v12, v2, vcc_lo
	global_load_b64 v[12:13], v[1:2], off glc
	s_waitcnt vmcnt(0)
	global_atomic_cmpswap_b64 v[12:13], v0, v[12:15], s[2:3] offset:24 glc
	s_waitcnt vmcnt(0)
	buffer_gl1_inv
	buffer_gl0_inv
	v_cmpx_ne_u64_e64 v[12:13], v[14:15]
	s_cbranch_execz .LBB26_236
; %bb.233:
	s_mov_b32 s6, 0
	.p2align	6
.LBB26_234:                             ; =>This Inner Loop Header: Depth=1
	s_sleep 1
	s_clause 0x1
	global_load_b64 v[1:2], v0, s[2:3] offset:40
	global_load_b64 v[16:17], v0, s[2:3]
	v_dual_mov_b32 v15, v13 :: v_dual_mov_b32 v14, v12
	s_waitcnt vmcnt(1)
	s_delay_alu instid0(VALU_DEP_1) | instskip(NEXT) | instid1(VALU_DEP_2)
	v_and_b32_e32 v1, v1, v14
	v_and_b32_e32 v13, v2, v15
	s_waitcnt vmcnt(0)
	s_delay_alu instid0(VALU_DEP_2) | instskip(NEXT) | instid1(VALU_DEP_1)
	v_mad_u64_u32 v[11:12], null, v1, 24, v[16:17]
	v_mov_b32_e32 v1, v12
	s_delay_alu instid0(VALU_DEP_1) | instskip(NEXT) | instid1(VALU_DEP_1)
	v_mad_u64_u32 v[2:3], null, v13, 24, v[1:2]
	v_mov_b32_e32 v12, v2
	global_load_b64 v[12:13], v[11:12], off glc
	s_waitcnt vmcnt(0)
	global_atomic_cmpswap_b64 v[12:13], v0, v[12:15], s[2:3] offset:24 glc
	s_waitcnt vmcnt(0)
	buffer_gl1_inv
	buffer_gl0_inv
	v_cmp_eq_u64_e32 vcc_lo, v[12:13], v[14:15]
	s_or_b32 s6, vcc_lo, s6
	s_delay_alu instid0(SALU_CYCLE_1)
	s_and_not1_b32 exec_lo, exec_lo, s6
	s_cbranch_execnz .LBB26_234
; %bb.235:
	s_or_b32 exec_lo, exec_lo, s6
.LBB26_236:
	s_delay_alu instid0(SALU_CYCLE_1)
	s_or_b32 exec_lo, exec_lo, s5
.LBB26_237:
	s_delay_alu instid0(SALU_CYCLE_1)
	s_or_b32 exec_lo, exec_lo, s4
	v_mov_b32_e32 v11, 0
	v_readfirstlane_b32 s4, v12
	v_readfirstlane_b32 s5, v13
	s_mov_b32 s10, exec_lo
	s_clause 0x1
	global_load_b64 v[14:15], v11, s[2:3] offset:40
	global_load_b128 v[0:3], v11, s[2:3]
	s_waitcnt vmcnt(1)
	v_readfirstlane_b32 s6, v14
	v_readfirstlane_b32 s7, v15
	s_delay_alu instid0(VALU_DEP_1) | instskip(NEXT) | instid1(SALU_CYCLE_1)
	s_and_b64 s[6:7], s[4:5], s[6:7]
	s_mul_i32 s11, s7, 24
	s_mul_hi_u32 s12, s6, 24
	s_mul_i32 s13, s6, 24
	s_add_i32 s12, s12, s11
	s_waitcnt vmcnt(0)
	v_add_co_u32 v13, vcc_lo, v0, s13
	v_add_co_ci_u32_e32 v14, vcc_lo, s12, v1, vcc_lo
	s_and_saveexec_b32 s11, s0
	s_cbranch_execz .LBB26_239
; %bb.238:
	v_dual_mov_b32 v15, s10 :: v_dual_mov_b32 v16, v11
	v_dual_mov_b32 v17, 2 :: v_dual_mov_b32 v18, 1
	global_store_b128 v[13:14], v[15:18], off offset:8
.LBB26_239:
	s_or_b32 exec_lo, exec_lo, s11
	s_lshl_b64 s[6:7], s[6:7], 12
	s_mov_b32 s12, 0
	v_add_co_u32 v2, vcc_lo, v2, s6
	v_add_co_ci_u32_e32 v3, vcc_lo, s7, v3, vcc_lo
	s_mov_b32 s15, s12
	s_delay_alu instid0(VALU_DEP_2)
	v_add_co_u32 v15, vcc_lo, v2, v48
	s_mov_b32 s13, s12
	s_mov_b32 s14, s12
	v_and_or_b32 v9, 0xffffff1f, v9, 32
	v_mov_b32_e32 v12, v11
	v_readfirstlane_b32 s6, v2
	v_readfirstlane_b32 s7, v3
	v_dual_mov_b32 v20, s15 :: v_dual_mov_b32 v17, s12
	v_add_co_ci_u32_e32 v16, vcc_lo, 0, v3, vcc_lo
	v_dual_mov_b32 v19, s14 :: v_dual_mov_b32 v18, s13
	s_clause 0x3
	global_store_b128 v48, v[9:12], s[6:7]
	global_store_b128 v48, v[17:20], s[6:7] offset:16
	global_store_b128 v48, v[17:20], s[6:7] offset:32
	;; [unrolled: 1-line block ×3, first 2 shown]
	s_and_saveexec_b32 s6, s0
	s_cbranch_execz .LBB26_247
; %bb.240:
	v_dual_mov_b32 v11, 0 :: v_dual_mov_b32 v18, s5
	v_mov_b32_e32 v17, s4
	s_clause 0x1
	global_load_b64 v[19:20], v11, s[2:3] offset:32 glc
	global_load_b64 v[2:3], v11, s[2:3] offset:40
	s_waitcnt vmcnt(0)
	v_readfirstlane_b32 s10, v2
	v_readfirstlane_b32 s11, v3
	s_delay_alu instid0(VALU_DEP_1) | instskip(NEXT) | instid1(SALU_CYCLE_1)
	s_and_b64 s[10:11], s[10:11], s[4:5]
	s_mul_i32 s7, s11, 24
	s_mul_hi_u32 s11, s10, 24
	s_mul_i32 s10, s10, 24
	s_add_i32 s11, s11, s7
	v_add_co_u32 v9, vcc_lo, v0, s10
	v_add_co_ci_u32_e32 v10, vcc_lo, s11, v1, vcc_lo
	s_mov_b32 s7, exec_lo
	global_store_b64 v[9:10], v[19:20], off
	s_waitcnt_vscnt null, 0x0
	global_atomic_cmpswap_b64 v[2:3], v11, v[17:20], s[2:3] offset:32 glc
	s_waitcnt vmcnt(0)
	v_cmpx_ne_u64_e64 v[2:3], v[19:20]
	s_cbranch_execz .LBB26_243
; %bb.241:
	s_mov_b32 s10, 0
.LBB26_242:                             ; =>This Inner Loop Header: Depth=1
	v_dual_mov_b32 v0, s4 :: v_dual_mov_b32 v1, s5
	s_sleep 1
	global_store_b64 v[9:10], v[2:3], off
	s_waitcnt_vscnt null, 0x0
	global_atomic_cmpswap_b64 v[0:1], v11, v[0:3], s[2:3] offset:32 glc
	s_waitcnt vmcnt(0)
	v_cmp_eq_u64_e32 vcc_lo, v[0:1], v[2:3]
	v_dual_mov_b32 v3, v1 :: v_dual_mov_b32 v2, v0
	s_or_b32 s10, vcc_lo, s10
	s_delay_alu instid0(SALU_CYCLE_1)
	s_and_not1_b32 exec_lo, exec_lo, s10
	s_cbranch_execnz .LBB26_242
.LBB26_243:
	s_or_b32 exec_lo, exec_lo, s7
	v_mov_b32_e32 v3, 0
	s_mov_b32 s10, exec_lo
	s_mov_b32 s7, exec_lo
	v_mbcnt_lo_u32_b32 v2, s10, 0
	global_load_b64 v[0:1], v3, s[2:3] offset:16
	v_cmpx_eq_u32_e32 0, v2
	s_cbranch_execz .LBB26_245
; %bb.244:
	s_bcnt1_i32_b32 s10, s10
	s_delay_alu instid0(SALU_CYCLE_1)
	v_mov_b32_e32 v2, s10
	s_waitcnt vmcnt(0)
	global_atomic_add_u64 v[0:1], v[2:3], off offset:8
.LBB26_245:
	s_or_b32 exec_lo, exec_lo, s7
	s_waitcnt vmcnt(0)
	global_load_b64 v[2:3], v[0:1], off offset:16
	s_waitcnt vmcnt(0)
	v_cmp_eq_u64_e32 vcc_lo, 0, v[2:3]
	s_cbranch_vccnz .LBB26_247
; %bb.246:
	global_load_b32 v0, v[0:1], off offset:24
	v_mov_b32_e32 v1, 0
	s_waitcnt vmcnt(0)
	v_and_b32_e32 v9, 0xffffff, v0
	s_waitcnt_vscnt null, 0x0
	global_store_b64 v[2:3], v[0:1], off
	v_readfirstlane_b32 m0, v9
	s_sendmsg sendmsg(MSG_INTERRUPT)
.LBB26_247:
	s_or_b32 exec_lo, exec_lo, s6
	s_branch .LBB26_251
	.p2align	6
.LBB26_248:                             ;   in Loop: Header=BB26_251 Depth=1
	s_or_b32 exec_lo, exec_lo, s6
	s_delay_alu instid0(VALU_DEP_1) | instskip(NEXT) | instid1(VALU_DEP_1)
	v_readfirstlane_b32 s6, v0
	s_cmp_eq_u32 s6, 0
	s_cbranch_scc1 .LBB26_250
; %bb.249:                              ;   in Loop: Header=BB26_251 Depth=1
	s_sleep 1
	s_cbranch_execnz .LBB26_251
	s_branch .LBB26_253
	.p2align	6
.LBB26_250:
	s_branch .LBB26_253
.LBB26_251:                             ; =>This Inner Loop Header: Depth=1
	v_mov_b32_e32 v0, 1
	s_and_saveexec_b32 s6, s0
	s_cbranch_execz .LBB26_248
; %bb.252:                              ;   in Loop: Header=BB26_251 Depth=1
	global_load_b32 v0, v[13:14], off offset:20 glc
	s_waitcnt vmcnt(0)
	buffer_gl1_inv
	buffer_gl0_inv
	v_and_b32_e32 v0, 1, v0
	s_branch .LBB26_248
.LBB26_253:
	global_load_b64 v[9:10], v[15:16], off
	s_and_saveexec_b32 s6, s0
	s_cbranch_execz .LBB26_257
; %bb.254:
	v_mov_b32_e32 v13, 0
	s_clause 0x2
	global_load_b64 v[2:3], v13, s[2:3] offset:40
	global_load_b64 v[14:15], v13, s[2:3] offset:24 glc
	global_load_b64 v[11:12], v13, s[2:3]
	s_waitcnt vmcnt(2)
	v_add_co_u32 v16, vcc_lo, v2, 1
	v_add_co_ci_u32_e32 v17, vcc_lo, 0, v3, vcc_lo
	s_delay_alu instid0(VALU_DEP_2) | instskip(NEXT) | instid1(VALU_DEP_2)
	v_add_co_u32 v0, vcc_lo, v16, s4
	v_add_co_ci_u32_e32 v1, vcc_lo, s5, v17, vcc_lo
	s_delay_alu instid0(VALU_DEP_1) | instskip(SKIP_1) | instid1(VALU_DEP_1)
	v_cmp_eq_u64_e32 vcc_lo, 0, v[0:1]
	v_dual_cndmask_b32 v0, v0, v16 :: v_dual_cndmask_b32 v1, v1, v17
	v_and_b32_e32 v2, v0, v2
	s_delay_alu instid0(VALU_DEP_2) | instskip(NEXT) | instid1(VALU_DEP_2)
	v_and_b32_e32 v3, v1, v3
	v_mul_hi_u32 v16, v2, 24
	v_mul_lo_u32 v2, v2, 24
	s_waitcnt vmcnt(0)
	s_delay_alu instid0(VALU_DEP_1) | instskip(SKIP_2) | instid1(VALU_DEP_1)
	v_add_co_u32 v11, vcc_lo, v11, v2
	v_mov_b32_e32 v2, v14
	v_mul_lo_u32 v3, v3, 24
	v_add_nc_u32_e32 v3, v16, v3
	s_delay_alu instid0(VALU_DEP_1)
	v_add_co_ci_u32_e32 v12, vcc_lo, v12, v3, vcc_lo
	v_mov_b32_e32 v3, v15
	global_store_b64 v[11:12], v[14:15], off
	s_waitcnt_vscnt null, 0x0
	global_atomic_cmpswap_b64 v[2:3], v13, v[0:3], s[2:3] offset:24 glc
	s_waitcnt vmcnt(0)
	v_cmp_ne_u64_e32 vcc_lo, v[2:3], v[14:15]
	s_and_b32 exec_lo, exec_lo, vcc_lo
	s_cbranch_execz .LBB26_257
; %bb.255:
	s_mov_b32 s0, 0
.LBB26_256:                             ; =>This Inner Loop Header: Depth=1
	s_sleep 1
	global_store_b64 v[11:12], v[2:3], off
	s_waitcnt_vscnt null, 0x0
	global_atomic_cmpswap_b64 v[14:15], v13, v[0:3], s[2:3] offset:24 glc
	s_waitcnt vmcnt(0)
	v_cmp_eq_u64_e32 vcc_lo, v[14:15], v[2:3]
	v_dual_mov_b32 v2, v14 :: v_dual_mov_b32 v3, v15
	s_or_b32 s0, vcc_lo, s0
	s_delay_alu instid0(SALU_CYCLE_1)
	s_and_not1_b32 exec_lo, exec_lo, s0
	s_cbranch_execnz .LBB26_256
.LBB26_257:
	s_or_b32 exec_lo, exec_lo, s6
.LBB26_258:
	s_delay_alu instid0(SALU_CYCLE_1) | instskip(SKIP_3) | instid1(VALU_DEP_3)
	s_or_b32 exec_lo, exec_lo, s1
	v_readfirstlane_b32 s0, v49
	v_mov_b32_e32 v13, 0
	v_mov_b32_e32 v14, 0
	v_cmp_eq_u32_e64 s0, s0, v49
	s_delay_alu instid0(VALU_DEP_1)
	s_and_saveexec_b32 s1, s0
	s_cbranch_execz .LBB26_264
; %bb.259:
	v_mov_b32_e32 v0, 0
	s_mov_b32 s4, exec_lo
	global_load_b64 v[15:16], v0, s[2:3] offset:24 glc
	s_waitcnt vmcnt(0)
	buffer_gl1_inv
	buffer_gl0_inv
	s_clause 0x1
	global_load_b64 v[1:2], v0, s[2:3] offset:40
	global_load_b64 v[11:12], v0, s[2:3]
	s_waitcnt vmcnt(1)
	v_and_b32_e32 v1, v1, v15
	v_and_b32_e32 v2, v2, v16
	s_delay_alu instid0(VALU_DEP_2) | instskip(NEXT) | instid1(VALU_DEP_2)
	v_mul_hi_u32 v3, v1, 24
	v_mul_lo_u32 v2, v2, 24
	v_mul_lo_u32 v1, v1, 24
	s_delay_alu instid0(VALU_DEP_2) | instskip(SKIP_1) | instid1(VALU_DEP_2)
	v_add_nc_u32_e32 v2, v3, v2
	s_waitcnt vmcnt(0)
	v_add_co_u32 v1, vcc_lo, v11, v1
	s_delay_alu instid0(VALU_DEP_2)
	v_add_co_ci_u32_e32 v2, vcc_lo, v12, v2, vcc_lo
	global_load_b64 v[13:14], v[1:2], off glc
	s_waitcnt vmcnt(0)
	global_atomic_cmpswap_b64 v[13:14], v0, v[13:16], s[2:3] offset:24 glc
	s_waitcnt vmcnt(0)
	buffer_gl1_inv
	buffer_gl0_inv
	v_cmpx_ne_u64_e64 v[13:14], v[15:16]
	s_cbranch_execz .LBB26_263
; %bb.260:
	s_mov_b32 s5, 0
	.p2align	6
.LBB26_261:                             ; =>This Inner Loop Header: Depth=1
	s_sleep 1
	s_clause 0x1
	global_load_b64 v[1:2], v0, s[2:3] offset:40
	global_load_b64 v[11:12], v0, s[2:3]
	v_dual_mov_b32 v16, v14 :: v_dual_mov_b32 v15, v13
	s_waitcnt vmcnt(1)
	s_delay_alu instid0(VALU_DEP_1) | instskip(SKIP_1) | instid1(VALU_DEP_1)
	v_and_b32_e32 v1, v1, v15
	s_waitcnt vmcnt(0)
	v_mad_u64_u32 v[13:14], null, v1, 24, v[11:12]
	v_and_b32_e32 v11, v2, v16
	s_delay_alu instid0(VALU_DEP_2) | instskip(NEXT) | instid1(VALU_DEP_1)
	v_mov_b32_e32 v1, v14
	v_mad_u64_u32 v[2:3], null, v11, 24, v[1:2]
	s_delay_alu instid0(VALU_DEP_1)
	v_mov_b32_e32 v14, v2
	global_load_b64 v[13:14], v[13:14], off glc
	s_waitcnt vmcnt(0)
	global_atomic_cmpswap_b64 v[13:14], v0, v[13:16], s[2:3] offset:24 glc
	s_waitcnt vmcnt(0)
	buffer_gl1_inv
	buffer_gl0_inv
	v_cmp_eq_u64_e32 vcc_lo, v[13:14], v[15:16]
	s_or_b32 s5, vcc_lo, s5
	s_delay_alu instid0(SALU_CYCLE_1)
	s_and_not1_b32 exec_lo, exec_lo, s5
	s_cbranch_execnz .LBB26_261
; %bb.262:
	s_or_b32 exec_lo, exec_lo, s5
.LBB26_263:
	s_delay_alu instid0(SALU_CYCLE_1)
	s_or_b32 exec_lo, exec_lo, s4
.LBB26_264:
	s_delay_alu instid0(SALU_CYCLE_1)
	s_or_b32 exec_lo, exec_lo, s1
	s_waitcnt vmcnt(0)
	v_mov_b32_e32 v12, 0
	v_readfirstlane_b32 s4, v13
	v_readfirstlane_b32 s5, v14
	s_mov_b32 s1, exec_lo
	s_clause 0x1
	global_load_b64 v[15:16], v12, s[2:3] offset:40
	global_load_b128 v[0:3], v12, s[2:3]
	s_waitcnt vmcnt(1)
	v_readfirstlane_b32 s6, v15
	v_readfirstlane_b32 s7, v16
	s_delay_alu instid0(VALU_DEP_1) | instskip(NEXT) | instid1(SALU_CYCLE_1)
	s_and_b64 s[6:7], s[4:5], s[6:7]
	s_mul_i32 s10, s7, 24
	s_mul_hi_u32 s11, s6, 24
	s_mul_i32 s12, s6, 24
	s_add_i32 s11, s11, s10
	s_waitcnt vmcnt(0)
	v_add_co_u32 v13, vcc_lo, v0, s12
	v_add_co_ci_u32_e32 v14, vcc_lo, s11, v1, vcc_lo
	s_and_saveexec_b32 s10, s0
	s_cbranch_execz .LBB26_266
; %bb.265:
	v_dual_mov_b32 v11, s1 :: v_dual_mov_b32 v18, 1
	v_dual_mov_b32 v17, 2 :: v_dual_mov_b32 v16, v12
	s_delay_alu instid0(VALU_DEP_2)
	v_mov_b32_e32 v15, v11
	global_store_b128 v[13:14], v[15:18], off offset:8
.LBB26_266:
	s_or_b32 exec_lo, exec_lo, s10
	s_lshl_b64 s[6:7], s[6:7], 12
	s_mov_b32 s12, 0
	v_add_co_u32 v2, vcc_lo, v2, s6
	v_add_co_ci_u32_e32 v3, vcc_lo, s7, v3, vcc_lo
	s_mov_b32 s15, s12
	s_delay_alu instid0(VALU_DEP_2)
	v_add_co_u32 v15, vcc_lo, v2, v48
	s_mov_b32 s13, s12
	s_mov_b32 s14, s12
	v_and_or_b32 v9, 0xffffff1f, v9, 32
	v_dual_mov_b32 v11, v4 :: v_dual_mov_b32 v20, s15
	v_readfirstlane_b32 s6, v2
	v_readfirstlane_b32 s7, v3
	v_add_co_ci_u32_e32 v16, vcc_lo, 0, v3, vcc_lo
	v_dual_mov_b32 v19, s14 :: v_dual_mov_b32 v18, s13
	v_mov_b32_e32 v17, s12
	s_clause 0x3
	global_store_b128 v48, v[9:12], s[6:7]
	global_store_b128 v48, v[17:20], s[6:7] offset:16
	global_store_b128 v48, v[17:20], s[6:7] offset:32
	;; [unrolled: 1-line block ×3, first 2 shown]
	s_and_saveexec_b32 s1, s0
	s_cbranch_execz .LBB26_274
; %bb.267:
	v_dual_mov_b32 v4, 0 :: v_dual_mov_b32 v17, s4
	v_mov_b32_e32 v18, s5
	s_clause 0x1
	global_load_b64 v[19:20], v4, s[2:3] offset:32 glc
	global_load_b64 v[2:3], v4, s[2:3] offset:40
	s_waitcnt vmcnt(0)
	v_readfirstlane_b32 s6, v2
	v_readfirstlane_b32 s7, v3
	s_delay_alu instid0(VALU_DEP_1) | instskip(NEXT) | instid1(SALU_CYCLE_1)
	s_and_b64 s[6:7], s[6:7], s[4:5]
	s_mul_i32 s7, s7, 24
	s_mul_hi_u32 s10, s6, 24
	s_mul_i32 s6, s6, 24
	s_add_i32 s10, s10, s7
	v_add_co_u32 v9, vcc_lo, v0, s6
	v_add_co_ci_u32_e32 v10, vcc_lo, s10, v1, vcc_lo
	s_mov_b32 s6, exec_lo
	global_store_b64 v[9:10], v[19:20], off
	s_waitcnt_vscnt null, 0x0
	global_atomic_cmpswap_b64 v[2:3], v4, v[17:20], s[2:3] offset:32 glc
	s_waitcnt vmcnt(0)
	v_cmpx_ne_u64_e64 v[2:3], v[19:20]
	s_cbranch_execz .LBB26_270
; %bb.268:
	s_mov_b32 s7, 0
.LBB26_269:                             ; =>This Inner Loop Header: Depth=1
	v_dual_mov_b32 v0, s4 :: v_dual_mov_b32 v1, s5
	s_sleep 1
	global_store_b64 v[9:10], v[2:3], off
	s_waitcnt_vscnt null, 0x0
	global_atomic_cmpswap_b64 v[0:1], v4, v[0:3], s[2:3] offset:32 glc
	s_waitcnt vmcnt(0)
	v_cmp_eq_u64_e32 vcc_lo, v[0:1], v[2:3]
	v_dual_mov_b32 v3, v1 :: v_dual_mov_b32 v2, v0
	s_or_b32 s7, vcc_lo, s7
	s_delay_alu instid0(SALU_CYCLE_1)
	s_and_not1_b32 exec_lo, exec_lo, s7
	s_cbranch_execnz .LBB26_269
.LBB26_270:
	s_or_b32 exec_lo, exec_lo, s6
	v_mov_b32_e32 v3, 0
	s_mov_b32 s7, exec_lo
	s_mov_b32 s6, exec_lo
	v_mbcnt_lo_u32_b32 v2, s7, 0
	global_load_b64 v[0:1], v3, s[2:3] offset:16
	v_cmpx_eq_u32_e32 0, v2
	s_cbranch_execz .LBB26_272
; %bb.271:
	s_bcnt1_i32_b32 s7, s7
	s_delay_alu instid0(SALU_CYCLE_1)
	v_mov_b32_e32 v2, s7
	s_waitcnt vmcnt(0)
	global_atomic_add_u64 v[0:1], v[2:3], off offset:8
.LBB26_272:
	s_or_b32 exec_lo, exec_lo, s6
	s_waitcnt vmcnt(0)
	global_load_b64 v[2:3], v[0:1], off offset:16
	s_waitcnt vmcnt(0)
	v_cmp_eq_u64_e32 vcc_lo, 0, v[2:3]
	s_cbranch_vccnz .LBB26_274
; %bb.273:
	global_load_b32 v0, v[0:1], off offset:24
	s_waitcnt vmcnt(0)
	v_dual_mov_b32 v1, 0 :: v_dual_and_b32 v4, 0xffffff, v0
	s_waitcnt_vscnt null, 0x0
	global_store_b64 v[2:3], v[0:1], off
	v_readfirstlane_b32 m0, v4
	s_sendmsg sendmsg(MSG_INTERRUPT)
.LBB26_274:
	s_or_b32 exec_lo, exec_lo, s1
	s_branch .LBB26_278
	.p2align	6
.LBB26_275:                             ;   in Loop: Header=BB26_278 Depth=1
	s_or_b32 exec_lo, exec_lo, s1
	s_delay_alu instid0(VALU_DEP_1) | instskip(NEXT) | instid1(VALU_DEP_1)
	v_readfirstlane_b32 s1, v0
	s_cmp_eq_u32 s1, 0
	s_cbranch_scc1 .LBB26_277
; %bb.276:                              ;   in Loop: Header=BB26_278 Depth=1
	s_sleep 1
	s_cbranch_execnz .LBB26_278
	s_branch .LBB26_280
	.p2align	6
.LBB26_277:
	s_branch .LBB26_280
.LBB26_278:                             ; =>This Inner Loop Header: Depth=1
	v_mov_b32_e32 v0, 1
	s_and_saveexec_b32 s1, s0
	s_cbranch_execz .LBB26_275
; %bb.279:                              ;   in Loop: Header=BB26_278 Depth=1
	global_load_b32 v0, v[13:14], off offset:20 glc
	s_waitcnt vmcnt(0)
	buffer_gl1_inv
	buffer_gl0_inv
	v_and_b32_e32 v0, 1, v0
	s_branch .LBB26_275
.LBB26_280:
	global_load_b64 v[0:1], v[15:16], off
	s_and_saveexec_b32 s1, s0
	s_cbranch_execz .LBB26_284
; %bb.281:
	v_mov_b32_e32 v4, 0
	s_clause 0x2
	global_load_b64 v[2:3], v4, s[2:3] offset:40
	global_load_b64 v[13:14], v4, s[2:3] offset:24 glc
	global_load_b64 v[11:12], v4, s[2:3]
	s_waitcnt vmcnt(2)
	v_add_co_u32 v15, vcc_lo, v2, 1
	v_add_co_ci_u32_e32 v16, vcc_lo, 0, v3, vcc_lo
	s_delay_alu instid0(VALU_DEP_2) | instskip(NEXT) | instid1(VALU_DEP_2)
	v_add_co_u32 v9, vcc_lo, v15, s4
	v_add_co_ci_u32_e32 v10, vcc_lo, s5, v16, vcc_lo
	s_delay_alu instid0(VALU_DEP_1) | instskip(SKIP_1) | instid1(VALU_DEP_1)
	v_cmp_eq_u64_e32 vcc_lo, 0, v[9:10]
	v_cndmask_b32_e32 v9, v9, v15, vcc_lo
	v_and_b32_e32 v2, v9, v2
	s_delay_alu instid0(VALU_DEP_1) | instskip(SKIP_2) | instid1(VALU_DEP_2)
	v_mul_hi_u32 v15, v2, 24
	v_cndmask_b32_e32 v10, v10, v16, vcc_lo
	v_mul_lo_u32 v2, v2, 24
	v_and_b32_e32 v3, v10, v3
	s_waitcnt vmcnt(0)
	s_delay_alu instid0(VALU_DEP_2) | instskip(NEXT) | instid1(VALU_DEP_2)
	v_add_co_u32 v2, vcc_lo, v11, v2
	v_mul_lo_u32 v3, v3, 24
	v_mov_b32_e32 v11, v13
	s_delay_alu instid0(VALU_DEP_2) | instskip(NEXT) | instid1(VALU_DEP_1)
	v_add_nc_u32_e32 v3, v15, v3
	v_add_co_ci_u32_e32 v3, vcc_lo, v12, v3, vcc_lo
	v_mov_b32_e32 v12, v14
	global_store_b64 v[2:3], v[13:14], off
	s_waitcnt_vscnt null, 0x0
	global_atomic_cmpswap_b64 v[11:12], v4, v[9:12], s[2:3] offset:24 glc
	s_waitcnt vmcnt(0)
	v_cmp_ne_u64_e32 vcc_lo, v[11:12], v[13:14]
	s_and_b32 exec_lo, exec_lo, vcc_lo
	s_cbranch_execz .LBB26_284
; %bb.282:
	s_mov_b32 s0, 0
.LBB26_283:                             ; =>This Inner Loop Header: Depth=1
	s_sleep 1
	global_store_b64 v[2:3], v[11:12], off
	s_waitcnt_vscnt null, 0x0
	global_atomic_cmpswap_b64 v[13:14], v4, v[9:12], s[2:3] offset:24 glc
	s_waitcnt vmcnt(0)
	v_cmp_eq_u64_e32 vcc_lo, v[13:14], v[11:12]
	v_dual_mov_b32 v11, v13 :: v_dual_mov_b32 v12, v14
	s_or_b32 s0, vcc_lo, s0
	s_delay_alu instid0(SALU_CYCLE_1)
	s_and_not1_b32 exec_lo, exec_lo, s0
	s_cbranch_execnz .LBB26_283
.LBB26_284:
	s_or_b32 exec_lo, exec_lo, s1
	v_dual_mov_b32 v3, v5 :: v_dual_mov_b32 v4, v6
	s_mov_b32 s0, 0
.LBB26_285:                             ; =>This Inner Loop Header: Depth=1
	flat_load_u8 v9, v[3:4]
	v_add_co_u32 v2, vcc_lo, v3, 1
	v_add_co_ci_u32_e32 v3, vcc_lo, 0, v4, vcc_lo
	s_delay_alu instid0(VALU_DEP_1) | instskip(NEXT) | instid1(VALU_DEP_3)
	v_mov_b32_e32 v4, v3
	v_mov_b32_e32 v3, v2
	s_waitcnt vmcnt(0) lgkmcnt(0)
	v_cmp_eq_u16_e32 vcc_lo, 0, v9
	s_or_b32 s0, vcc_lo, s0
	s_delay_alu instid0(SALU_CYCLE_1)
	s_and_not1_b32 exec_lo, exec_lo, s0
	s_cbranch_execnz .LBB26_285
; %bb.286:
	s_or_b32 exec_lo, exec_lo, s0
	s_delay_alu instid0(SALU_CYCLE_1)
	s_mov_b32 s0, exec_lo
	v_cmpx_ne_u64_e32 0, v[5:6]
	s_xor_b32 s10, exec_lo, s0
	s_cbranch_execz .LBB26_372
; %bb.287:
	v_sub_nc_u32_e32 v29, v2, v5
	v_dual_mov_b32 v11, 2 :: v_dual_and_b32 v4, 2, v0
	v_mov_b32_e32 v10, 0
	v_and_b32_e32 v0, -3, v0
	s_delay_alu instid0(VALU_DEP_4)
	v_ashrrev_i32_e32 v30, 31, v29
	v_mov_b32_e32 v12, 1
	s_mov_b32 s12, 0
	s_mov_b32 s11, 0
	s_branch .LBB26_289
.LBB26_288:                             ;   in Loop: Header=BB26_289 Depth=1
	s_or_b32 exec_lo, exec_lo, s1
	v_sub_co_u32 v29, vcc_lo, v29, v31
	v_sub_co_ci_u32_e32 v30, vcc_lo, v30, v32, vcc_lo
	v_add_co_u32 v5, s0, v5, v31
	s_delay_alu instid0(VALU_DEP_1) | instskip(NEXT) | instid1(VALU_DEP_3)
	v_add_co_ci_u32_e64 v6, s0, v6, v32, s0
	v_cmp_eq_u64_e32 vcc_lo, 0, v[29:30]
	s_or_b32 s11, vcc_lo, s11
	s_delay_alu instid0(SALU_CYCLE_1)
	s_and_not1_b32 exec_lo, exec_lo, s11
	s_cbranch_execz .LBB26_371
.LBB26_289:                             ; =>This Loop Header: Depth=1
                                        ;     Child Loop BB26_292 Depth 2
                                        ;     Child Loop BB26_300 Depth 2
	;; [unrolled: 1-line block ×11, first 2 shown]
	v_cmp_gt_u64_e32 vcc_lo, 56, v[29:30]
	s_mov_b32 s1, exec_lo
                                        ; implicit-def: $vgpr2_vgpr3
                                        ; implicit-def: $sgpr4
	v_dual_cndmask_b32 v32, 0, v30 :: v_dual_cndmask_b32 v31, 56, v29
	v_cmpx_gt_u64_e32 8, v[29:30]
	s_xor_b32 s1, exec_lo, s1
	s_cbranch_execz .LBB26_295
; %bb.290:                              ;   in Loop: Header=BB26_289 Depth=1
	s_waitcnt vmcnt(0)
	v_mov_b32_e32 v2, 0
	v_mov_b32_e32 v3, 0
	s_mov_b64 s[4:5], 0
	s_mov_b32 s6, exec_lo
	v_cmpx_ne_u64_e32 0, v[29:30]
	s_cbranch_execz .LBB26_294
; %bb.291:                              ;   in Loop: Header=BB26_289 Depth=1
	v_lshlrev_b64 v[13:14], 3, v[31:32]
	v_dual_mov_b32 v2, 0 :: v_dual_mov_b32 v15, v6
	v_dual_mov_b32 v3, 0 :: v_dual_mov_b32 v14, v5
	s_mov_b32 s7, 0
	.p2align	6
.LBB26_292:                             ;   Parent Loop BB26_289 Depth=1
                                        ; =>  This Inner Loop Header: Depth=2
	flat_load_u8 v9, v[14:15]
	v_mov_b32_e32 v17, s12
	v_add_co_u32 v14, vcc_lo, v14, 1
	v_add_co_ci_u32_e32 v15, vcc_lo, 0, v15, vcc_lo
	s_waitcnt vmcnt(0) lgkmcnt(0)
	v_and_b32_e32 v16, 0xffff, v9
	s_delay_alu instid0(VALU_DEP_1) | instskip(SKIP_3) | instid1(VALU_DEP_2)
	v_lshlrev_b64 v[16:17], s4, v[16:17]
	s_add_u32 s4, s4, 8
	s_addc_u32 s5, s5, 0
	v_cmp_eq_u32_e64 s0, s4, v13
	v_or_b32_e32 v3, v17, v3
	s_delay_alu instid0(VALU_DEP_3) | instskip(NEXT) | instid1(VALU_DEP_3)
	v_or_b32_e32 v2, v16, v2
	s_or_b32 s7, s0, s7
	s_delay_alu instid0(SALU_CYCLE_1)
	s_and_not1_b32 exec_lo, exec_lo, s7
	s_cbranch_execnz .LBB26_292
; %bb.293:                              ;   in Loop: Header=BB26_289 Depth=1
	s_or_b32 exec_lo, exec_lo, s7
.LBB26_294:                             ;   in Loop: Header=BB26_289 Depth=1
	s_delay_alu instid0(SALU_CYCLE_1)
	s_or_b32 exec_lo, exec_lo, s6
	s_mov_b32 s4, 0
.LBB26_295:                             ;   in Loop: Header=BB26_289 Depth=1
	s_or_saveexec_b32 s0, s1
	v_dual_mov_b32 v9, s4 :: v_dual_mov_b32 v26, v6
	v_mov_b32_e32 v25, v5
	s_xor_b32 exec_lo, exec_lo, s0
	s_cbranch_execz .LBB26_297
; %bb.296:                              ;   in Loop: Header=BB26_289 Depth=1
	s_waitcnt vmcnt(0)
	flat_load_b64 v[2:3], v[5:6]
	v_add_co_u32 v25, vcc_lo, v5, 8
	v_add_co_ci_u32_e32 v26, vcc_lo, 0, v6, vcc_lo
	s_waitcnt vmcnt(0) lgkmcnt(0)
	v_and_b32_e32 v9, 0xff, v3
	v_and_b32_e32 v13, 0xff00, v3
	;; [unrolled: 1-line block ×4, first 2 shown]
	v_or3_b32 v2, v2, 0, 0
	s_delay_alu instid0(VALU_DEP_4) | instskip(SKIP_1) | instid1(VALU_DEP_2)
	v_or_b32_e32 v13, v9, v13
	v_add_nc_u32_e32 v9, -8, v31
	v_or3_b32 v3, v13, v14, v3
.LBB26_297:                             ;   in Loop: Header=BB26_289 Depth=1
	s_or_b32 exec_lo, exec_lo, s0
                                        ; implicit-def: $vgpr13_vgpr14
                                        ; implicit-def: $sgpr1
	s_delay_alu instid0(SALU_CYCLE_1) | instskip(NEXT) | instid1(VALU_DEP_2)
	s_mov_b32 s0, exec_lo
	v_cmpx_gt_u32_e32 8, v9
	s_xor_b32 s6, exec_lo, s0
	s_cbranch_execz .LBB26_303
; %bb.298:                              ;   in Loop: Header=BB26_289 Depth=1
	v_mov_b32_e32 v13, 0
	v_mov_b32_e32 v14, 0
	s_mov_b32 s7, exec_lo
	v_cmpx_ne_u32_e32 0, v9
	s_cbranch_execz .LBB26_302
; %bb.299:                              ;   in Loop: Header=BB26_289 Depth=1
	v_mov_b32_e32 v13, 0
	v_mov_b32_e32 v14, 0
	s_mov_b64 s[0:1], 0
	s_mov_b32 s13, 0
	s_mov_b64 s[4:5], 0
	.p2align	6
.LBB26_300:                             ;   Parent Loop BB26_289 Depth=1
                                        ; =>  This Inner Loop Header: Depth=2
	s_delay_alu instid0(SALU_CYCLE_1)
	v_add_co_u32 v15, vcc_lo, v25, s4
	v_add_co_ci_u32_e32 v16, vcc_lo, s5, v26, vcc_lo
	s_add_u32 s4, s4, 1
	s_addc_u32 s5, s5, 0
	v_cmp_eq_u32_e32 vcc_lo, s4, v9
	flat_load_u8 v15, v[15:16]
	s_waitcnt vmcnt(0) lgkmcnt(0)
	v_dual_mov_b32 v16, s12 :: v_dual_and_b32 v15, 0xffff, v15
	s_delay_alu instid0(VALU_DEP_1) | instskip(SKIP_3) | instid1(VALU_DEP_1)
	v_lshlrev_b64 v[15:16], s0, v[15:16]
	s_add_u32 s0, s0, 8
	s_addc_u32 s1, s1, 0
	s_or_b32 s13, vcc_lo, s13
	v_or_b32_e32 v14, v16, v14
	s_delay_alu instid0(VALU_DEP_2)
	v_or_b32_e32 v13, v15, v13
	s_and_not1_b32 exec_lo, exec_lo, s13
	s_cbranch_execnz .LBB26_300
; %bb.301:                              ;   in Loop: Header=BB26_289 Depth=1
	s_or_b32 exec_lo, exec_lo, s13
.LBB26_302:                             ;   in Loop: Header=BB26_289 Depth=1
	s_delay_alu instid0(SALU_CYCLE_1)
	s_or_b32 exec_lo, exec_lo, s7
	s_mov_b32 s1, 0
                                        ; implicit-def: $vgpr9
.LBB26_303:                             ;   in Loop: Header=BB26_289 Depth=1
	s_or_saveexec_b32 s0, s6
	v_mov_b32_e32 v17, s1
	s_xor_b32 exec_lo, exec_lo, s0
	s_cbranch_execz .LBB26_305
; %bb.304:                              ;   in Loop: Header=BB26_289 Depth=1
	flat_load_b64 v[13:14], v[25:26]
	v_add_co_u32 v25, vcc_lo, v25, 8
	v_add_nc_u32_e32 v17, -8, v9
	v_add_co_ci_u32_e32 v26, vcc_lo, 0, v26, vcc_lo
	s_waitcnt vmcnt(0) lgkmcnt(0)
	v_and_b32_e32 v15, 0xff, v14
	v_and_b32_e32 v16, 0xff00, v14
	;; [unrolled: 1-line block ×4, first 2 shown]
	v_or3_b32 v13, v13, 0, 0
	s_delay_alu instid0(VALU_DEP_4) | instskip(NEXT) | instid1(VALU_DEP_1)
	v_or_b32_e32 v15, v15, v16
	v_or3_b32 v14, v15, v18, v14
.LBB26_305:                             ;   in Loop: Header=BB26_289 Depth=1
	s_or_b32 exec_lo, exec_lo, s0
                                        ; implicit-def: $sgpr1
	s_delay_alu instid0(SALU_CYCLE_1)
	s_mov_b32 s0, exec_lo
	v_cmpx_gt_u32_e32 8, v17
	s_xor_b32 s6, exec_lo, s0
	s_cbranch_execz .LBB26_311
; %bb.306:                              ;   in Loop: Header=BB26_289 Depth=1
	v_mov_b32_e32 v15, 0
	v_mov_b32_e32 v16, 0
	s_mov_b32 s7, exec_lo
	v_cmpx_ne_u32_e32 0, v17
	s_cbranch_execz .LBB26_310
; %bb.307:                              ;   in Loop: Header=BB26_289 Depth=1
	v_mov_b32_e32 v15, 0
	v_mov_b32_e32 v16, 0
	s_mov_b64 s[0:1], 0
	s_mov_b32 s13, 0
	s_mov_b64 s[4:5], 0
	.p2align	6
.LBB26_308:                             ;   Parent Loop BB26_289 Depth=1
                                        ; =>  This Inner Loop Header: Depth=2
	s_delay_alu instid0(SALU_CYCLE_1)
	v_add_co_u32 v18, vcc_lo, v25, s4
	v_add_co_ci_u32_e32 v19, vcc_lo, s5, v26, vcc_lo
	s_add_u32 s4, s4, 1
	s_addc_u32 s5, s5, 0
	v_cmp_eq_u32_e32 vcc_lo, s4, v17
	flat_load_u8 v9, v[18:19]
	s_waitcnt vmcnt(0) lgkmcnt(0)
	v_dual_mov_b32 v19, s12 :: v_dual_and_b32 v18, 0xffff, v9
	s_delay_alu instid0(VALU_DEP_1) | instskip(SKIP_3) | instid1(VALU_DEP_1)
	v_lshlrev_b64 v[18:19], s0, v[18:19]
	s_add_u32 s0, s0, 8
	s_addc_u32 s1, s1, 0
	s_or_b32 s13, vcc_lo, s13
	v_or_b32_e32 v16, v19, v16
	s_delay_alu instid0(VALU_DEP_2)
	v_or_b32_e32 v15, v18, v15
	s_and_not1_b32 exec_lo, exec_lo, s13
	s_cbranch_execnz .LBB26_308
; %bb.309:                              ;   in Loop: Header=BB26_289 Depth=1
	s_or_b32 exec_lo, exec_lo, s13
.LBB26_310:                             ;   in Loop: Header=BB26_289 Depth=1
	s_delay_alu instid0(SALU_CYCLE_1)
	s_or_b32 exec_lo, exec_lo, s7
	s_mov_b32 s1, 0
                                        ; implicit-def: $vgpr17
.LBB26_311:                             ;   in Loop: Header=BB26_289 Depth=1
	s_or_saveexec_b32 s0, s6
	v_mov_b32_e32 v9, s1
	s_xor_b32 exec_lo, exec_lo, s0
	s_cbranch_execz .LBB26_313
; %bb.312:                              ;   in Loop: Header=BB26_289 Depth=1
	flat_load_b64 v[15:16], v[25:26]
	v_add_co_u32 v25, vcc_lo, v25, 8
	v_add_co_ci_u32_e32 v26, vcc_lo, 0, v26, vcc_lo
	s_waitcnt vmcnt(0) lgkmcnt(0)
	v_and_b32_e32 v9, 0xff, v16
	v_and_b32_e32 v18, 0xff00, v16
	;; [unrolled: 1-line block ×4, first 2 shown]
	v_or3_b32 v15, v15, 0, 0
	s_delay_alu instid0(VALU_DEP_4) | instskip(SKIP_1) | instid1(VALU_DEP_2)
	v_or_b32_e32 v18, v9, v18
	v_add_nc_u32_e32 v9, -8, v17
	v_or3_b32 v16, v18, v19, v16
.LBB26_313:                             ;   in Loop: Header=BB26_289 Depth=1
	s_or_b32 exec_lo, exec_lo, s0
                                        ; implicit-def: $vgpr17_vgpr18
                                        ; implicit-def: $sgpr1
	s_delay_alu instid0(SALU_CYCLE_1) | instskip(NEXT) | instid1(VALU_DEP_1)
	s_mov_b32 s0, exec_lo
	v_cmpx_gt_u32_e32 8, v9
	s_xor_b32 s6, exec_lo, s0
	s_cbranch_execz .LBB26_319
; %bb.314:                              ;   in Loop: Header=BB26_289 Depth=1
	v_mov_b32_e32 v17, 0
	v_mov_b32_e32 v18, 0
	s_mov_b32 s7, exec_lo
	v_cmpx_ne_u32_e32 0, v9
	s_cbranch_execz .LBB26_318
; %bb.315:                              ;   in Loop: Header=BB26_289 Depth=1
	v_mov_b32_e32 v17, 0
	v_mov_b32_e32 v18, 0
	s_mov_b64 s[0:1], 0
	s_mov_b32 s13, 0
	s_mov_b64 s[4:5], 0
	.p2align	6
.LBB26_316:                             ;   Parent Loop BB26_289 Depth=1
                                        ; =>  This Inner Loop Header: Depth=2
	s_delay_alu instid0(SALU_CYCLE_1)
	v_add_co_u32 v19, vcc_lo, v25, s4
	v_add_co_ci_u32_e32 v20, vcc_lo, s5, v26, vcc_lo
	s_add_u32 s4, s4, 1
	s_addc_u32 s5, s5, 0
	v_cmp_eq_u32_e32 vcc_lo, s4, v9
	flat_load_u8 v19, v[19:20]
	s_waitcnt vmcnt(0) lgkmcnt(0)
	v_dual_mov_b32 v20, s12 :: v_dual_and_b32 v19, 0xffff, v19
	s_delay_alu instid0(VALU_DEP_1) | instskip(SKIP_3) | instid1(VALU_DEP_1)
	v_lshlrev_b64 v[19:20], s0, v[19:20]
	s_add_u32 s0, s0, 8
	s_addc_u32 s1, s1, 0
	s_or_b32 s13, vcc_lo, s13
	v_or_b32_e32 v18, v20, v18
	s_delay_alu instid0(VALU_DEP_2)
	v_or_b32_e32 v17, v19, v17
	s_and_not1_b32 exec_lo, exec_lo, s13
	s_cbranch_execnz .LBB26_316
; %bb.317:                              ;   in Loop: Header=BB26_289 Depth=1
	s_or_b32 exec_lo, exec_lo, s13
.LBB26_318:                             ;   in Loop: Header=BB26_289 Depth=1
	s_delay_alu instid0(SALU_CYCLE_1)
	s_or_b32 exec_lo, exec_lo, s7
	s_mov_b32 s1, 0
                                        ; implicit-def: $vgpr9
.LBB26_319:                             ;   in Loop: Header=BB26_289 Depth=1
	s_or_saveexec_b32 s0, s6
	v_mov_b32_e32 v21, s1
	s_xor_b32 exec_lo, exec_lo, s0
	s_cbranch_execz .LBB26_321
; %bb.320:                              ;   in Loop: Header=BB26_289 Depth=1
	flat_load_b64 v[17:18], v[25:26]
	v_add_co_u32 v25, vcc_lo, v25, 8
	v_add_nc_u32_e32 v21, -8, v9
	v_add_co_ci_u32_e32 v26, vcc_lo, 0, v26, vcc_lo
	s_waitcnt vmcnt(0) lgkmcnt(0)
	v_and_b32_e32 v19, 0xff, v18
	v_and_b32_e32 v20, 0xff00, v18
	;; [unrolled: 1-line block ×4, first 2 shown]
	v_or3_b32 v17, v17, 0, 0
	s_delay_alu instid0(VALU_DEP_4) | instskip(NEXT) | instid1(VALU_DEP_1)
	v_or_b32_e32 v19, v19, v20
	v_or3_b32 v18, v19, v22, v18
.LBB26_321:                             ;   in Loop: Header=BB26_289 Depth=1
	s_or_b32 exec_lo, exec_lo, s0
                                        ; implicit-def: $sgpr1
	s_delay_alu instid0(SALU_CYCLE_1)
	s_mov_b32 s0, exec_lo
	v_cmpx_gt_u32_e32 8, v21
	s_xor_b32 s6, exec_lo, s0
	s_cbranch_execz .LBB26_327
; %bb.322:                              ;   in Loop: Header=BB26_289 Depth=1
	v_mov_b32_e32 v19, 0
	v_mov_b32_e32 v20, 0
	s_mov_b32 s7, exec_lo
	v_cmpx_ne_u32_e32 0, v21
	s_cbranch_execz .LBB26_326
; %bb.323:                              ;   in Loop: Header=BB26_289 Depth=1
	v_mov_b32_e32 v19, 0
	v_mov_b32_e32 v20, 0
	s_mov_b64 s[0:1], 0
	s_mov_b32 s13, 0
	s_mov_b64 s[4:5], 0
	.p2align	6
.LBB26_324:                             ;   Parent Loop BB26_289 Depth=1
                                        ; =>  This Inner Loop Header: Depth=2
	s_delay_alu instid0(SALU_CYCLE_1)
	v_add_co_u32 v22, vcc_lo, v25, s4
	v_add_co_ci_u32_e32 v23, vcc_lo, s5, v26, vcc_lo
	s_add_u32 s4, s4, 1
	s_addc_u32 s5, s5, 0
	v_cmp_eq_u32_e32 vcc_lo, s4, v21
	flat_load_u8 v9, v[22:23]
	s_waitcnt vmcnt(0) lgkmcnt(0)
	v_dual_mov_b32 v23, s12 :: v_dual_and_b32 v22, 0xffff, v9
	s_delay_alu instid0(VALU_DEP_1) | instskip(SKIP_3) | instid1(VALU_DEP_1)
	v_lshlrev_b64 v[22:23], s0, v[22:23]
	s_add_u32 s0, s0, 8
	s_addc_u32 s1, s1, 0
	s_or_b32 s13, vcc_lo, s13
	v_or_b32_e32 v20, v23, v20
	s_delay_alu instid0(VALU_DEP_2)
	v_or_b32_e32 v19, v22, v19
	s_and_not1_b32 exec_lo, exec_lo, s13
	s_cbranch_execnz .LBB26_324
; %bb.325:                              ;   in Loop: Header=BB26_289 Depth=1
	s_or_b32 exec_lo, exec_lo, s13
.LBB26_326:                             ;   in Loop: Header=BB26_289 Depth=1
	s_delay_alu instid0(SALU_CYCLE_1)
	s_or_b32 exec_lo, exec_lo, s7
	s_mov_b32 s1, 0
                                        ; implicit-def: $vgpr21
.LBB26_327:                             ;   in Loop: Header=BB26_289 Depth=1
	s_or_saveexec_b32 s0, s6
	v_mov_b32_e32 v9, s1
	s_xor_b32 exec_lo, exec_lo, s0
	s_cbranch_execz .LBB26_329
; %bb.328:                              ;   in Loop: Header=BB26_289 Depth=1
	flat_load_b64 v[19:20], v[25:26]
	v_add_co_u32 v25, vcc_lo, v25, 8
	v_add_co_ci_u32_e32 v26, vcc_lo, 0, v26, vcc_lo
	s_waitcnt vmcnt(0) lgkmcnt(0)
	v_and_b32_e32 v9, 0xff, v20
	v_and_b32_e32 v22, 0xff00, v20
	;; [unrolled: 1-line block ×4, first 2 shown]
	v_or3_b32 v19, v19, 0, 0
	s_delay_alu instid0(VALU_DEP_4) | instskip(SKIP_1) | instid1(VALU_DEP_2)
	v_or_b32_e32 v22, v9, v22
	v_add_nc_u32_e32 v9, -8, v21
	v_or3_b32 v20, v22, v23, v20
.LBB26_329:                             ;   in Loop: Header=BB26_289 Depth=1
	s_or_b32 exec_lo, exec_lo, s0
                                        ; implicit-def: $vgpr21_vgpr22
                                        ; implicit-def: $sgpr1
	s_delay_alu instid0(SALU_CYCLE_1) | instskip(NEXT) | instid1(VALU_DEP_1)
	s_mov_b32 s0, exec_lo
	v_cmpx_gt_u32_e32 8, v9
	s_xor_b32 s6, exec_lo, s0
	s_cbranch_execz .LBB26_335
; %bb.330:                              ;   in Loop: Header=BB26_289 Depth=1
	v_mov_b32_e32 v21, 0
	v_mov_b32_e32 v22, 0
	s_mov_b32 s7, exec_lo
	v_cmpx_ne_u32_e32 0, v9
	s_cbranch_execz .LBB26_334
; %bb.331:                              ;   in Loop: Header=BB26_289 Depth=1
	v_mov_b32_e32 v21, 0
	v_mov_b32_e32 v22, 0
	s_mov_b64 s[0:1], 0
	s_mov_b32 s13, 0
	s_mov_b64 s[4:5], 0
	.p2align	6
.LBB26_332:                             ;   Parent Loop BB26_289 Depth=1
                                        ; =>  This Inner Loop Header: Depth=2
	s_delay_alu instid0(SALU_CYCLE_1)
	v_add_co_u32 v23, vcc_lo, v25, s4
	v_add_co_ci_u32_e32 v24, vcc_lo, s5, v26, vcc_lo
	s_add_u32 s4, s4, 1
	s_addc_u32 s5, s5, 0
	v_cmp_eq_u32_e32 vcc_lo, s4, v9
	flat_load_u8 v23, v[23:24]
	s_waitcnt vmcnt(0) lgkmcnt(0)
	v_dual_mov_b32 v24, s12 :: v_dual_and_b32 v23, 0xffff, v23
	s_delay_alu instid0(VALU_DEP_1) | instskip(SKIP_3) | instid1(VALU_DEP_1)
	v_lshlrev_b64 v[23:24], s0, v[23:24]
	s_add_u32 s0, s0, 8
	s_addc_u32 s1, s1, 0
	s_or_b32 s13, vcc_lo, s13
	v_or_b32_e32 v22, v24, v22
	s_delay_alu instid0(VALU_DEP_2)
	v_or_b32_e32 v21, v23, v21
	s_and_not1_b32 exec_lo, exec_lo, s13
	s_cbranch_execnz .LBB26_332
; %bb.333:                              ;   in Loop: Header=BB26_289 Depth=1
	s_or_b32 exec_lo, exec_lo, s13
.LBB26_334:                             ;   in Loop: Header=BB26_289 Depth=1
	s_delay_alu instid0(SALU_CYCLE_1)
	s_or_b32 exec_lo, exec_lo, s7
	s_mov_b32 s1, 0
                                        ; implicit-def: $vgpr9
.LBB26_335:                             ;   in Loop: Header=BB26_289 Depth=1
	s_or_saveexec_b32 s0, s6
	v_mov_b32_e32 v27, s1
	s_xor_b32 exec_lo, exec_lo, s0
	s_cbranch_execz .LBB26_337
; %bb.336:                              ;   in Loop: Header=BB26_289 Depth=1
	flat_load_b64 v[21:22], v[25:26]
	v_add_co_u32 v25, vcc_lo, v25, 8
	v_add_nc_u32_e32 v27, -8, v9
	v_add_co_ci_u32_e32 v26, vcc_lo, 0, v26, vcc_lo
	s_waitcnt vmcnt(0) lgkmcnt(0)
	v_and_b32_e32 v23, 0xff, v22
	v_and_b32_e32 v24, 0xff00, v22
	;; [unrolled: 1-line block ×4, first 2 shown]
	v_or3_b32 v21, v21, 0, 0
	s_delay_alu instid0(VALU_DEP_4) | instskip(NEXT) | instid1(VALU_DEP_1)
	v_or_b32_e32 v23, v23, v24
	v_or3_b32 v22, v23, v28, v22
.LBB26_337:                             ;   in Loop: Header=BB26_289 Depth=1
	s_or_b32 exec_lo, exec_lo, s0
	s_delay_alu instid0(SALU_CYCLE_1)
	s_mov_b32 s0, exec_lo
	v_cmpx_gt_u32_e32 8, v27
	s_xor_b32 s4, exec_lo, s0
	s_cbranch_execz .LBB26_343
; %bb.338:                              ;   in Loop: Header=BB26_289 Depth=1
	v_mov_b32_e32 v23, 0
	v_mov_b32_e32 v24, 0
	s_mov_b32 s5, exec_lo
	v_cmpx_ne_u32_e32 0, v27
	s_cbranch_execz .LBB26_342
; %bb.339:                              ;   in Loop: Header=BB26_289 Depth=1
	v_mov_b32_e32 v23, 0
	v_mov_b32_e32 v24, 0
	s_mov_b64 s[0:1], 0
	s_mov_b32 s6, 0
	.p2align	6
.LBB26_340:                             ;   Parent Loop BB26_289 Depth=1
                                        ; =>  This Inner Loop Header: Depth=2
	flat_load_u8 v9, v[25:26]
	v_dual_mov_b32 v34, s12 :: v_dual_add_nc_u32 v27, -1, v27
	v_add_co_u32 v25, vcc_lo, v25, 1
	v_add_co_ci_u32_e32 v26, vcc_lo, 0, v26, vcc_lo
	s_delay_alu instid0(VALU_DEP_3) | instskip(SKIP_2) | instid1(VALU_DEP_1)
	v_cmp_eq_u32_e32 vcc_lo, 0, v27
	s_waitcnt vmcnt(0) lgkmcnt(0)
	v_and_b32_e32 v33, 0xffff, v9
	v_lshlrev_b64 v[33:34], s0, v[33:34]
	s_add_u32 s0, s0, 8
	s_addc_u32 s1, s1, 0
	s_or_b32 s6, vcc_lo, s6
	s_delay_alu instid0(VALU_DEP_1) | instskip(NEXT) | instid1(VALU_DEP_2)
	v_or_b32_e32 v24, v34, v24
	v_or_b32_e32 v23, v33, v23
	s_and_not1_b32 exec_lo, exec_lo, s6
	s_cbranch_execnz .LBB26_340
; %bb.341:                              ;   in Loop: Header=BB26_289 Depth=1
	s_or_b32 exec_lo, exec_lo, s6
.LBB26_342:                             ;   in Loop: Header=BB26_289 Depth=1
	s_delay_alu instid0(SALU_CYCLE_1)
	s_or_b32 exec_lo, exec_lo, s5
                                        ; implicit-def: $vgpr25_vgpr26
.LBB26_343:                             ;   in Loop: Header=BB26_289 Depth=1
	s_and_not1_saveexec_b32 s0, s4
	s_cbranch_execz .LBB26_345
; %bb.344:                              ;   in Loop: Header=BB26_289 Depth=1
	flat_load_b64 v[23:24], v[25:26]
	s_waitcnt vmcnt(0) lgkmcnt(0)
	v_and_b32_e32 v9, 0xff, v24
	v_and_b32_e32 v25, 0xff00, v24
	;; [unrolled: 1-line block ×4, first 2 shown]
	v_or3_b32 v23, v23, 0, 0
	s_delay_alu instid0(VALU_DEP_4) | instskip(NEXT) | instid1(VALU_DEP_1)
	v_or_b32_e32 v9, v9, v25
	v_or3_b32 v24, v9, v26, v24
.LBB26_345:                             ;   in Loop: Header=BB26_289 Depth=1
	s_or_b32 exec_lo, exec_lo, s0
	v_readfirstlane_b32 s0, v49
	v_mov_b32_e32 v33, 0
	v_mov_b32_e32 v34, 0
	s_delay_alu instid0(VALU_DEP_3) | instskip(NEXT) | instid1(VALU_DEP_1)
	v_cmp_eq_u32_e64 s0, s0, v49
	s_and_saveexec_b32 s1, s0
	s_cbranch_execz .LBB26_351
; %bb.346:                              ;   in Loop: Header=BB26_289 Depth=1
	global_load_b64 v[27:28], v10, s[2:3] offset:24 glc
	s_waitcnt vmcnt(0)
	buffer_gl1_inv
	buffer_gl0_inv
	s_clause 0x1
	global_load_b64 v[25:26], v10, s[2:3] offset:40
	global_load_b64 v[33:34], v10, s[2:3]
	s_mov_b32 s4, exec_lo
	s_waitcnt vmcnt(1)
	v_and_b32_e32 v9, v26, v28
	v_and_b32_e32 v25, v25, v27
	s_delay_alu instid0(VALU_DEP_2) | instskip(NEXT) | instid1(VALU_DEP_2)
	v_mul_lo_u32 v9, v9, 24
	v_mul_hi_u32 v26, v25, 24
	v_mul_lo_u32 v25, v25, 24
	s_delay_alu instid0(VALU_DEP_2) | instskip(SKIP_1) | instid1(VALU_DEP_2)
	v_add_nc_u32_e32 v9, v26, v9
	s_waitcnt vmcnt(0)
	v_add_co_u32 v25, vcc_lo, v33, v25
	s_delay_alu instid0(VALU_DEP_2)
	v_add_co_ci_u32_e32 v26, vcc_lo, v34, v9, vcc_lo
	global_load_b64 v[25:26], v[25:26], off glc
	s_waitcnt vmcnt(0)
	global_atomic_cmpswap_b64 v[33:34], v10, v[25:28], s[2:3] offset:24 glc
	s_waitcnt vmcnt(0)
	buffer_gl1_inv
	buffer_gl0_inv
	v_cmpx_ne_u64_e64 v[33:34], v[27:28]
	s_cbranch_execz .LBB26_350
; %bb.347:                              ;   in Loop: Header=BB26_289 Depth=1
	s_mov_b32 s5, 0
	.p2align	6
.LBB26_348:                             ;   Parent Loop BB26_289 Depth=1
                                        ; =>  This Inner Loop Header: Depth=2
	s_sleep 1
	s_clause 0x1
	global_load_b64 v[25:26], v10, s[2:3] offset:40
	global_load_b64 v[35:36], v10, s[2:3]
	v_dual_mov_b32 v27, v33 :: v_dual_mov_b32 v28, v34
	s_waitcnt vmcnt(1)
	s_delay_alu instid0(VALU_DEP_1) | instskip(SKIP_1) | instid1(VALU_DEP_1)
	v_and_b32_e32 v9, v25, v27
	s_waitcnt vmcnt(0)
	v_mad_u64_u32 v[33:34], null, v9, 24, v[35:36]
	v_and_b32_e32 v35, v26, v28
	s_delay_alu instid0(VALU_DEP_2) | instskip(NEXT) | instid1(VALU_DEP_1)
	v_mov_b32_e32 v9, v34
	v_mad_u64_u32 v[25:26], null, v35, 24, v[9:10]
	s_delay_alu instid0(VALU_DEP_1)
	v_mov_b32_e32 v34, v25
	global_load_b64 v[25:26], v[33:34], off glc
	s_waitcnt vmcnt(0)
	global_atomic_cmpswap_b64 v[33:34], v10, v[25:28], s[2:3] offset:24 glc
	s_waitcnt vmcnt(0)
	buffer_gl1_inv
	buffer_gl0_inv
	v_cmp_eq_u64_e32 vcc_lo, v[33:34], v[27:28]
	s_or_b32 s5, vcc_lo, s5
	s_delay_alu instid0(SALU_CYCLE_1)
	s_and_not1_b32 exec_lo, exec_lo, s5
	s_cbranch_execnz .LBB26_348
; %bb.349:                              ;   in Loop: Header=BB26_289 Depth=1
	s_or_b32 exec_lo, exec_lo, s5
.LBB26_350:                             ;   in Loop: Header=BB26_289 Depth=1
	s_delay_alu instid0(SALU_CYCLE_1)
	s_or_b32 exec_lo, exec_lo, s4
.LBB26_351:                             ;   in Loop: Header=BB26_289 Depth=1
	s_delay_alu instid0(SALU_CYCLE_1)
	s_or_b32 exec_lo, exec_lo, s1
	s_clause 0x1
	global_load_b64 v[35:36], v10, s[2:3] offset:40
	global_load_b128 v[25:28], v10, s[2:3]
	v_readfirstlane_b32 s4, v33
	v_readfirstlane_b32 s5, v34
	s_mov_b32 s1, exec_lo
	s_waitcnt vmcnt(1)
	v_readfirstlane_b32 s6, v35
	v_readfirstlane_b32 s7, v36
	s_delay_alu instid0(VALU_DEP_1) | instskip(NEXT) | instid1(SALU_CYCLE_1)
	s_and_b64 s[6:7], s[4:5], s[6:7]
	s_mul_i32 s13, s7, 24
	s_mul_hi_u32 s14, s6, 24
	s_mul_i32 s15, s6, 24
	s_add_i32 s14, s14, s13
	s_waitcnt vmcnt(0)
	v_add_co_u32 v33, vcc_lo, v25, s15
	v_add_co_ci_u32_e32 v34, vcc_lo, s14, v26, vcc_lo
	s_and_saveexec_b32 s13, s0
	s_cbranch_execz .LBB26_353
; %bb.352:                              ;   in Loop: Header=BB26_289 Depth=1
	v_mov_b32_e32 v9, s1
	global_store_b128 v[33:34], v[9:12], off offset:8
.LBB26_353:                             ;   in Loop: Header=BB26_289 Depth=1
	s_or_b32 exec_lo, exec_lo, s13
	v_cmp_lt_u64_e32 vcc_lo, 56, v[29:30]
	v_or_b32_e32 v9, 0, v1
	v_or_b32_e32 v35, v0, v4
	v_lshl_add_u32 v36, v31, 2, 28
	s_lshl_b64 s[6:7], s[6:7], 12
	s_delay_alu instid0(SALU_CYCLE_1) | instskip(NEXT) | instid1(VALU_DEP_1)
	v_add_co_u32 v27, s1, v27, s6
	v_add_co_ci_u32_e64 v28, s1, s7, v28, s1
	v_dual_cndmask_b32 v1, v9, v1 :: v_dual_cndmask_b32 v0, v35, v0
	v_and_b32_e32 v9, 0x1e0, v36
	s_delay_alu instid0(VALU_DEP_4) | instskip(NEXT) | instid1(VALU_DEP_4)
	v_readfirstlane_b32 s6, v27
	v_readfirstlane_b32 s7, v28
	s_delay_alu instid0(VALU_DEP_3)
	v_and_or_b32 v0, 0xffffff1f, v0, v9
	s_clause 0x3
	global_store_b128 v48, v[0:3], s[6:7]
	global_store_b128 v48, v[13:16], s[6:7] offset:16
	global_store_b128 v48, v[17:20], s[6:7] offset:32
	;; [unrolled: 1-line block ×3, first 2 shown]
	s_and_saveexec_b32 s1, s0
	s_cbranch_execz .LBB26_361
; %bb.354:                              ;   in Loop: Header=BB26_289 Depth=1
	s_clause 0x1
	global_load_b64 v[17:18], v10, s[2:3] offset:32 glc
	global_load_b64 v[0:1], v10, s[2:3] offset:40
	v_dual_mov_b32 v15, s4 :: v_dual_mov_b32 v16, s5
	s_waitcnt vmcnt(0)
	v_readfirstlane_b32 s6, v0
	v_readfirstlane_b32 s7, v1
	s_delay_alu instid0(VALU_DEP_1) | instskip(NEXT) | instid1(SALU_CYCLE_1)
	s_and_b64 s[6:7], s[6:7], s[4:5]
	s_mul_i32 s7, s7, 24
	s_mul_hi_u32 s13, s6, 24
	s_mul_i32 s6, s6, 24
	s_add_i32 s13, s13, s7
	v_add_co_u32 v13, vcc_lo, v25, s6
	v_add_co_ci_u32_e32 v14, vcc_lo, s13, v26, vcc_lo
	s_mov_b32 s6, exec_lo
	global_store_b64 v[13:14], v[17:18], off
	s_waitcnt_vscnt null, 0x0
	global_atomic_cmpswap_b64 v[2:3], v10, v[15:18], s[2:3] offset:32 glc
	s_waitcnt vmcnt(0)
	v_cmpx_ne_u64_e64 v[2:3], v[17:18]
	s_cbranch_execz .LBB26_357
; %bb.355:                              ;   in Loop: Header=BB26_289 Depth=1
	s_mov_b32 s7, 0
.LBB26_356:                             ;   Parent Loop BB26_289 Depth=1
                                        ; =>  This Inner Loop Header: Depth=2
	v_dual_mov_b32 v0, s4 :: v_dual_mov_b32 v1, s5
	s_sleep 1
	global_store_b64 v[13:14], v[2:3], off
	s_waitcnt_vscnt null, 0x0
	global_atomic_cmpswap_b64 v[0:1], v10, v[0:3], s[2:3] offset:32 glc
	s_waitcnt vmcnt(0)
	v_cmp_eq_u64_e32 vcc_lo, v[0:1], v[2:3]
	v_dual_mov_b32 v3, v1 :: v_dual_mov_b32 v2, v0
	s_or_b32 s7, vcc_lo, s7
	s_delay_alu instid0(SALU_CYCLE_1)
	s_and_not1_b32 exec_lo, exec_lo, s7
	s_cbranch_execnz .LBB26_356
.LBB26_357:                             ;   in Loop: Header=BB26_289 Depth=1
	s_or_b32 exec_lo, exec_lo, s6
	global_load_b64 v[0:1], v10, s[2:3] offset:16
	s_mov_b32 s7, exec_lo
	s_mov_b32 s6, exec_lo
	v_mbcnt_lo_u32_b32 v2, s7, 0
	s_delay_alu instid0(VALU_DEP_1)
	v_cmpx_eq_u32_e32 0, v2
	s_cbranch_execz .LBB26_359
; %bb.358:                              ;   in Loop: Header=BB26_289 Depth=1
	s_bcnt1_i32_b32 s7, s7
	s_delay_alu instid0(SALU_CYCLE_1)
	v_mov_b32_e32 v9, s7
	s_waitcnt vmcnt(0)
	global_atomic_add_u64 v[0:1], v[9:10], off offset:8
.LBB26_359:                             ;   in Loop: Header=BB26_289 Depth=1
	s_or_b32 exec_lo, exec_lo, s6
	s_waitcnt vmcnt(0)
	global_load_b64 v[2:3], v[0:1], off offset:16
	s_waitcnt vmcnt(0)
	v_cmp_eq_u64_e32 vcc_lo, 0, v[2:3]
	s_cbranch_vccnz .LBB26_361
; %bb.360:                              ;   in Loop: Header=BB26_289 Depth=1
	global_load_b32 v9, v[0:1], off offset:24
	s_waitcnt vmcnt(0)
	v_and_b32_e32 v0, 0xffffff, v9
	s_waitcnt_vscnt null, 0x0
	global_store_b64 v[2:3], v[9:10], off
	v_readfirstlane_b32 m0, v0
	s_sendmsg sendmsg(MSG_INTERRUPT)
.LBB26_361:                             ;   in Loop: Header=BB26_289 Depth=1
	s_or_b32 exec_lo, exec_lo, s1
	v_add_co_u32 v0, vcc_lo, v27, v48
	v_add_co_ci_u32_e32 v1, vcc_lo, 0, v28, vcc_lo
	s_branch .LBB26_365
	.p2align	6
.LBB26_362:                             ;   in Loop: Header=BB26_365 Depth=2
	s_or_b32 exec_lo, exec_lo, s1
	s_delay_alu instid0(VALU_DEP_1) | instskip(NEXT) | instid1(VALU_DEP_1)
	v_readfirstlane_b32 s1, v2
	s_cmp_eq_u32 s1, 0
	s_cbranch_scc1 .LBB26_364
; %bb.363:                              ;   in Loop: Header=BB26_365 Depth=2
	s_sleep 1
	s_cbranch_execnz .LBB26_365
	s_branch .LBB26_367
	.p2align	6
.LBB26_364:                             ;   in Loop: Header=BB26_289 Depth=1
	s_branch .LBB26_367
.LBB26_365:                             ;   Parent Loop BB26_289 Depth=1
                                        ; =>  This Inner Loop Header: Depth=2
	v_mov_b32_e32 v2, 1
	s_and_saveexec_b32 s1, s0
	s_cbranch_execz .LBB26_362
; %bb.366:                              ;   in Loop: Header=BB26_365 Depth=2
	global_load_b32 v2, v[33:34], off offset:20 glc
	s_waitcnt vmcnt(0)
	buffer_gl1_inv
	buffer_gl0_inv
	v_and_b32_e32 v2, 1, v2
	s_branch .LBB26_362
.LBB26_367:                             ;   in Loop: Header=BB26_289 Depth=1
	global_load_b128 v[0:3], v[0:1], off
	s_and_saveexec_b32 s1, s0
	s_cbranch_execz .LBB26_288
; %bb.368:                              ;   in Loop: Header=BB26_289 Depth=1
	s_clause 0x2
	global_load_b64 v[2:3], v10, s[2:3] offset:40
	global_load_b64 v[17:18], v10, s[2:3] offset:24 glc
	global_load_b64 v[15:16], v10, s[2:3]
	s_waitcnt vmcnt(2)
	v_add_co_u32 v9, vcc_lo, v2, 1
	v_add_co_ci_u32_e32 v19, vcc_lo, 0, v3, vcc_lo
	s_delay_alu instid0(VALU_DEP_2) | instskip(NEXT) | instid1(VALU_DEP_2)
	v_add_co_u32 v13, vcc_lo, v9, s4
	v_add_co_ci_u32_e32 v14, vcc_lo, s5, v19, vcc_lo
	s_delay_alu instid0(VALU_DEP_1) | instskip(SKIP_1) | instid1(VALU_DEP_1)
	v_cmp_eq_u64_e32 vcc_lo, 0, v[13:14]
	v_dual_cndmask_b32 v14, v14, v19 :: v_dual_cndmask_b32 v13, v13, v9
	v_and_b32_e32 v3, v14, v3
	s_delay_alu instid0(VALU_DEP_2) | instskip(NEXT) | instid1(VALU_DEP_2)
	v_and_b32_e32 v2, v13, v2
	v_mul_lo_u32 v3, v3, 24
	s_delay_alu instid0(VALU_DEP_2) | instskip(SKIP_1) | instid1(VALU_DEP_2)
	v_mul_hi_u32 v9, v2, 24
	v_mul_lo_u32 v2, v2, 24
	v_add_nc_u32_e32 v3, v9, v3
	s_waitcnt vmcnt(0)
	s_delay_alu instid0(VALU_DEP_2) | instskip(SKIP_1) | instid1(VALU_DEP_3)
	v_add_co_u32 v2, vcc_lo, v15, v2
	v_mov_b32_e32 v15, v17
	v_add_co_ci_u32_e32 v3, vcc_lo, v16, v3, vcc_lo
	v_mov_b32_e32 v16, v18
	global_store_b64 v[2:3], v[17:18], off
	s_waitcnt_vscnt null, 0x0
	global_atomic_cmpswap_b64 v[15:16], v10, v[13:16], s[2:3] offset:24 glc
	s_waitcnt vmcnt(0)
	v_cmp_ne_u64_e32 vcc_lo, v[15:16], v[17:18]
	s_and_b32 exec_lo, exec_lo, vcc_lo
	s_cbranch_execz .LBB26_288
; %bb.369:                              ;   in Loop: Header=BB26_289 Depth=1
	s_mov_b32 s0, 0
.LBB26_370:                             ;   Parent Loop BB26_289 Depth=1
                                        ; =>  This Inner Loop Header: Depth=2
	s_sleep 1
	global_store_b64 v[2:3], v[15:16], off
	s_waitcnt_vscnt null, 0x0
	global_atomic_cmpswap_b64 v[17:18], v10, v[13:16], s[2:3] offset:24 glc
	s_waitcnt vmcnt(0)
	v_cmp_eq_u64_e32 vcc_lo, v[17:18], v[15:16]
	v_dual_mov_b32 v15, v17 :: v_dual_mov_b32 v16, v18
	s_or_b32 s0, vcc_lo, s0
	s_delay_alu instid0(SALU_CYCLE_1)
	s_and_not1_b32 exec_lo, exec_lo, s0
	s_cbranch_execnz .LBB26_370
	s_branch .LBB26_288
.LBB26_371:
	s_or_b32 exec_lo, exec_lo, s11
                                        ; implicit-def: $vgpr48
                                        ; implicit-def: $vgpr49
.LBB26_372:
	s_and_not1_saveexec_b32 s1, s10
	s_cbranch_execz .LBB26_400
; %bb.373:
	v_readfirstlane_b32 s0, v49
	s_waitcnt vmcnt(0)
	v_mov_b32_e32 v3, 0
	v_mov_b32_e32 v4, 0
	s_delay_alu instid0(VALU_DEP_3) | instskip(NEXT) | instid1(VALU_DEP_1)
	v_cmp_eq_u32_e64 s0, s0, v49
	s_and_saveexec_b32 s4, s0
	s_cbranch_execz .LBB26_379
; %bb.374:
	v_mov_b32_e32 v2, 0
	s_mov_b32 s5, exec_lo
	global_load_b64 v[5:6], v2, s[2:3] offset:24 glc
	s_waitcnt vmcnt(0)
	buffer_gl1_inv
	buffer_gl0_inv
	s_clause 0x1
	global_load_b64 v[3:4], v2, s[2:3] offset:40
	global_load_b64 v[9:10], v2, s[2:3]
	s_waitcnt vmcnt(1)
	v_and_b32_e32 v3, v3, v5
	v_and_b32_e32 v4, v4, v6
	s_delay_alu instid0(VALU_DEP_2) | instskip(NEXT) | instid1(VALU_DEP_2)
	v_mul_hi_u32 v11, v3, 24
	v_mul_lo_u32 v4, v4, 24
	v_mul_lo_u32 v3, v3, 24
	s_delay_alu instid0(VALU_DEP_2) | instskip(SKIP_1) | instid1(VALU_DEP_2)
	v_add_nc_u32_e32 v4, v11, v4
	s_waitcnt vmcnt(0)
	v_add_co_u32 v3, vcc_lo, v9, v3
	s_delay_alu instid0(VALU_DEP_2)
	v_add_co_ci_u32_e32 v4, vcc_lo, v10, v4, vcc_lo
	global_load_b64 v[3:4], v[3:4], off glc
	s_waitcnt vmcnt(0)
	global_atomic_cmpswap_b64 v[3:4], v2, v[3:6], s[2:3] offset:24 glc
	s_waitcnt vmcnt(0)
	buffer_gl1_inv
	buffer_gl0_inv
	v_cmpx_ne_u64_e64 v[3:4], v[5:6]
	s_cbranch_execz .LBB26_378
; %bb.375:
	s_mov_b32 s6, 0
	.p2align	6
.LBB26_376:                             ; =>This Inner Loop Header: Depth=1
	s_sleep 1
	s_clause 0x1
	global_load_b64 v[9:10], v2, s[2:3] offset:40
	global_load_b64 v[11:12], v2, s[2:3]
	v_dual_mov_b32 v6, v4 :: v_dual_mov_b32 v5, v3
	s_waitcnt vmcnt(1)
	s_delay_alu instid0(VALU_DEP_1) | instskip(SKIP_1) | instid1(VALU_DEP_1)
	v_and_b32_e32 v9, v9, v5
	s_waitcnt vmcnt(0)
	v_mad_u64_u32 v[3:4], null, v9, 24, v[11:12]
	v_and_b32_e32 v11, v10, v6
	s_delay_alu instid0(VALU_DEP_1) | instskip(NEXT) | instid1(VALU_DEP_1)
	v_mad_u64_u32 v[9:10], null, v11, 24, v[4:5]
	v_mov_b32_e32 v4, v9
	global_load_b64 v[3:4], v[3:4], off glc
	s_waitcnt vmcnt(0)
	global_atomic_cmpswap_b64 v[3:4], v2, v[3:6], s[2:3] offset:24 glc
	s_waitcnt vmcnt(0)
	buffer_gl1_inv
	buffer_gl0_inv
	v_cmp_eq_u64_e32 vcc_lo, v[3:4], v[5:6]
	s_or_b32 s6, vcc_lo, s6
	s_delay_alu instid0(SALU_CYCLE_1)
	s_and_not1_b32 exec_lo, exec_lo, s6
	s_cbranch_execnz .LBB26_376
; %bb.377:
	s_or_b32 exec_lo, exec_lo, s6
.LBB26_378:
	s_delay_alu instid0(SALU_CYCLE_1)
	s_or_b32 exec_lo, exec_lo, s5
.LBB26_379:
	s_delay_alu instid0(SALU_CYCLE_1)
	s_or_b32 exec_lo, exec_lo, s4
	v_mov_b32_e32 v2, 0
	v_readfirstlane_b32 s4, v3
	v_readfirstlane_b32 s5, v4
	s_mov_b32 s10, exec_lo
	s_clause 0x1
	global_load_b64 v[5:6], v2, s[2:3] offset:40
	global_load_b128 v[9:12], v2, s[2:3]
	s_waitcnt vmcnt(1)
	v_readfirstlane_b32 s6, v5
	v_readfirstlane_b32 s7, v6
	s_delay_alu instid0(VALU_DEP_1) | instskip(NEXT) | instid1(SALU_CYCLE_1)
	s_and_b64 s[6:7], s[4:5], s[6:7]
	s_mul_i32 s11, s7, 24
	s_mul_hi_u32 s12, s6, 24
	s_mul_i32 s13, s6, 24
	s_add_i32 s12, s12, s11
	s_waitcnt vmcnt(0)
	v_add_co_u32 v4, vcc_lo, v9, s13
	v_add_co_ci_u32_e32 v5, vcc_lo, s12, v10, vcc_lo
	s_and_saveexec_b32 s11, s0
	s_cbranch_execz .LBB26_381
; %bb.380:
	v_dual_mov_b32 v13, s10 :: v_dual_mov_b32 v14, v2
	v_dual_mov_b32 v15, 2 :: v_dual_mov_b32 v16, 1
	global_store_b128 v[4:5], v[13:16], off offset:8
.LBB26_381:
	s_or_b32 exec_lo, exec_lo, s11
	s_lshl_b64 s[6:7], s[6:7], 12
	s_mov_b32 s12, 0
	v_add_co_u32 v6, vcc_lo, v11, s6
	v_add_co_ci_u32_e32 v12, vcc_lo, s7, v12, vcc_lo
	s_mov_b32 s15, s12
	s_delay_alu instid0(VALU_DEP_2)
	v_add_co_u32 v11, vcc_lo, v6, v48
	s_mov_b32 s13, s12
	s_mov_b32 s14, s12
	v_and_or_b32 v0, 0xffffff1f, v0, 32
	v_dual_mov_b32 v3, v2 :: v_dual_mov_b32 v16, s15
	v_readfirstlane_b32 s6, v6
	v_readfirstlane_b32 s7, v12
	v_add_co_ci_u32_e32 v12, vcc_lo, 0, v12, vcc_lo
	v_dual_mov_b32 v15, s14 :: v_dual_mov_b32 v14, s13
	v_mov_b32_e32 v13, s12
	s_clause 0x3
	global_store_b128 v48, v[0:3], s[6:7]
	global_store_b128 v48, v[13:16], s[6:7] offset:16
	global_store_b128 v48, v[13:16], s[6:7] offset:32
	;; [unrolled: 1-line block ×3, first 2 shown]
	s_and_saveexec_b32 s6, s0
	s_cbranch_execz .LBB26_389
; %bb.382:
	v_dual_mov_b32 v6, 0 :: v_dual_mov_b32 v13, s4
	v_mov_b32_e32 v14, s5
	s_clause 0x1
	global_load_b64 v[15:16], v6, s[2:3] offset:32 glc
	global_load_b64 v[0:1], v6, s[2:3] offset:40
	s_waitcnt vmcnt(0)
	v_readfirstlane_b32 s10, v0
	v_readfirstlane_b32 s11, v1
	s_delay_alu instid0(VALU_DEP_1) | instskip(NEXT) | instid1(SALU_CYCLE_1)
	s_and_b64 s[10:11], s[10:11], s[4:5]
	s_mul_i32 s7, s11, 24
	s_mul_hi_u32 s11, s10, 24
	s_mul_i32 s10, s10, 24
	s_add_i32 s11, s11, s7
	v_add_co_u32 v9, vcc_lo, v9, s10
	v_add_co_ci_u32_e32 v10, vcc_lo, s11, v10, vcc_lo
	s_mov_b32 s7, exec_lo
	global_store_b64 v[9:10], v[15:16], off
	s_waitcnt_vscnt null, 0x0
	global_atomic_cmpswap_b64 v[2:3], v6, v[13:16], s[2:3] offset:32 glc
	s_waitcnt vmcnt(0)
	v_cmpx_ne_u64_e64 v[2:3], v[15:16]
	s_cbranch_execz .LBB26_385
; %bb.383:
	s_mov_b32 s10, 0
.LBB26_384:                             ; =>This Inner Loop Header: Depth=1
	v_dual_mov_b32 v0, s4 :: v_dual_mov_b32 v1, s5
	s_sleep 1
	global_store_b64 v[9:10], v[2:3], off
	s_waitcnt_vscnt null, 0x0
	global_atomic_cmpswap_b64 v[0:1], v6, v[0:3], s[2:3] offset:32 glc
	s_waitcnt vmcnt(0)
	v_cmp_eq_u64_e32 vcc_lo, v[0:1], v[2:3]
	v_dual_mov_b32 v3, v1 :: v_dual_mov_b32 v2, v0
	s_or_b32 s10, vcc_lo, s10
	s_delay_alu instid0(SALU_CYCLE_1)
	s_and_not1_b32 exec_lo, exec_lo, s10
	s_cbranch_execnz .LBB26_384
.LBB26_385:
	s_or_b32 exec_lo, exec_lo, s7
	v_mov_b32_e32 v3, 0
	s_mov_b32 s10, exec_lo
	s_mov_b32 s7, exec_lo
	v_mbcnt_lo_u32_b32 v2, s10, 0
	global_load_b64 v[0:1], v3, s[2:3] offset:16
	v_cmpx_eq_u32_e32 0, v2
	s_cbranch_execz .LBB26_387
; %bb.386:
	s_bcnt1_i32_b32 s10, s10
	s_delay_alu instid0(SALU_CYCLE_1)
	v_mov_b32_e32 v2, s10
	s_waitcnt vmcnt(0)
	global_atomic_add_u64 v[0:1], v[2:3], off offset:8
.LBB26_387:
	s_or_b32 exec_lo, exec_lo, s7
	s_waitcnt vmcnt(0)
	global_load_b64 v[2:3], v[0:1], off offset:16
	s_waitcnt vmcnt(0)
	v_cmp_eq_u64_e32 vcc_lo, 0, v[2:3]
	s_cbranch_vccnz .LBB26_389
; %bb.388:
	global_load_b32 v0, v[0:1], off offset:24
	s_waitcnt vmcnt(0)
	v_dual_mov_b32 v1, 0 :: v_dual_and_b32 v6, 0xffffff, v0
	s_waitcnt_vscnt null, 0x0
	global_store_b64 v[2:3], v[0:1], off
	v_readfirstlane_b32 m0, v6
	s_sendmsg sendmsg(MSG_INTERRUPT)
.LBB26_389:
	s_or_b32 exec_lo, exec_lo, s6
	s_branch .LBB26_393
	.p2align	6
.LBB26_390:                             ;   in Loop: Header=BB26_393 Depth=1
	s_or_b32 exec_lo, exec_lo, s6
	s_delay_alu instid0(VALU_DEP_1) | instskip(NEXT) | instid1(VALU_DEP_1)
	v_readfirstlane_b32 s6, v0
	s_cmp_eq_u32 s6, 0
	s_cbranch_scc1 .LBB26_392
; %bb.391:                              ;   in Loop: Header=BB26_393 Depth=1
	s_sleep 1
	s_cbranch_execnz .LBB26_393
	s_branch .LBB26_395
	.p2align	6
.LBB26_392:
	s_branch .LBB26_395
.LBB26_393:                             ; =>This Inner Loop Header: Depth=1
	v_mov_b32_e32 v0, 1
	s_and_saveexec_b32 s6, s0
	s_cbranch_execz .LBB26_390
; %bb.394:                              ;   in Loop: Header=BB26_393 Depth=1
	global_load_b32 v0, v[4:5], off offset:20 glc
	s_waitcnt vmcnt(0)
	buffer_gl1_inv
	buffer_gl0_inv
	v_and_b32_e32 v0, 1, v0
	s_branch .LBB26_390
.LBB26_395:
	global_load_b64 v[0:1], v[11:12], off
	s_and_saveexec_b32 s6, s0
	s_cbranch_execz .LBB26_399
; %bb.396:
	v_mov_b32_e32 v6, 0
	s_clause 0x2
	global_load_b64 v[4:5], v6, s[2:3] offset:40
	global_load_b64 v[11:12], v6, s[2:3] offset:24 glc
	global_load_b64 v[9:10], v6, s[2:3]
	s_waitcnt vmcnt(2)
	v_add_co_u32 v13, vcc_lo, v4, 1
	v_add_co_ci_u32_e32 v14, vcc_lo, 0, v5, vcc_lo
	s_delay_alu instid0(VALU_DEP_2) | instskip(NEXT) | instid1(VALU_DEP_2)
	v_add_co_u32 v2, vcc_lo, v13, s4
	v_add_co_ci_u32_e32 v3, vcc_lo, s5, v14, vcc_lo
	s_delay_alu instid0(VALU_DEP_1) | instskip(SKIP_1) | instid1(VALU_DEP_1)
	v_cmp_eq_u64_e32 vcc_lo, 0, v[2:3]
	v_dual_cndmask_b32 v3, v3, v14 :: v_dual_cndmask_b32 v2, v2, v13
	v_and_b32_e32 v5, v3, v5
	s_delay_alu instid0(VALU_DEP_2) | instskip(NEXT) | instid1(VALU_DEP_2)
	v_and_b32_e32 v4, v2, v4
	v_mul_lo_u32 v5, v5, 24
	s_delay_alu instid0(VALU_DEP_2) | instskip(SKIP_1) | instid1(VALU_DEP_2)
	v_mul_hi_u32 v13, v4, 24
	v_mul_lo_u32 v4, v4, 24
	v_add_nc_u32_e32 v5, v13, v5
	s_waitcnt vmcnt(0)
	s_delay_alu instid0(VALU_DEP_2) | instskip(SKIP_1) | instid1(VALU_DEP_3)
	v_add_co_u32 v9, vcc_lo, v9, v4
	v_mov_b32_e32 v4, v11
	v_add_co_ci_u32_e32 v10, vcc_lo, v10, v5, vcc_lo
	v_mov_b32_e32 v5, v12
	global_store_b64 v[9:10], v[11:12], off
	s_waitcnt_vscnt null, 0x0
	global_atomic_cmpswap_b64 v[4:5], v6, v[2:5], s[2:3] offset:24 glc
	s_waitcnt vmcnt(0)
	v_cmp_ne_u64_e32 vcc_lo, v[4:5], v[11:12]
	s_and_b32 exec_lo, exec_lo, vcc_lo
	s_cbranch_execz .LBB26_399
; %bb.397:
	s_mov_b32 s0, 0
.LBB26_398:                             ; =>This Inner Loop Header: Depth=1
	s_sleep 1
	global_store_b64 v[9:10], v[4:5], off
	s_waitcnt_vscnt null, 0x0
	global_atomic_cmpswap_b64 v[11:12], v6, v[2:5], s[2:3] offset:24 glc
	s_waitcnt vmcnt(0)
	v_cmp_eq_u64_e32 vcc_lo, v[11:12], v[4:5]
	v_dual_mov_b32 v4, v11 :: v_dual_mov_b32 v5, v12
	s_or_b32 s0, vcc_lo, s0
	s_delay_alu instid0(SALU_CYCLE_1)
	s_and_not1_b32 exec_lo, exec_lo, s0
	s_cbranch_execnz .LBB26_398
.LBB26_399:
	s_or_b32 exec_lo, exec_lo, s6
.LBB26_400:
	s_delay_alu instid0(SALU_CYCLE_1)
	s_or_b32 exec_lo, exec_lo, s1
	s_waitcnt vmcnt(0)
	v_dual_mov_b32 v2, v7 :: v_dual_mov_b32 v3, v8
	s_mov_b32 s0, 0
.LBB26_401:                             ; =>This Inner Loop Header: Depth=1
	flat_load_u8 v6, v[2:3]
	v_add_co_u32 v4, vcc_lo, v2, 1
	v_add_co_ci_u32_e32 v5, vcc_lo, 0, v3, vcc_lo
	s_delay_alu instid0(VALU_DEP_1) | instskip(SKIP_3) | instid1(SALU_CYCLE_1)
	v_dual_mov_b32 v2, v4 :: v_dual_mov_b32 v3, v5
	s_waitcnt vmcnt(0) lgkmcnt(0)
	v_cmp_eq_u16_e32 vcc_lo, 0, v6
	s_or_b32 s0, vcc_lo, s0
	s_and_not1_b32 exec_lo, exec_lo, s0
	s_cbranch_execnz .LBB26_401
; %bb.402:
	s_or_b32 exec_lo, exec_lo, s0
	v_sub_nc_u32_e32 v4, v4, v7
	v_dual_mov_b32 v2, v7 :: v_dual_mov_b32 v3, v8
	v_mov_b32_e32 v6, 1
	s_getpc_b64 s[0:1]
	s_add_u32 s0, s0, __ockl_fprintf_append_string_n@rel32@lo+4
	s_addc_u32 s1, s1, __ockl_fprintf_append_string_n@rel32@hi+12
	v_ashrrev_i32_e32 v5, 31, v4
	s_swappc_b64 s[30:31], s[0:1]
	s_trap 2
	s_sendmsg_rtn_b32 s0, sendmsg(MSG_RTN_GET_DOORBELL)
	s_mov_b32 ttmp2, m0
	s_waitcnt lgkmcnt(0)
	s_and_b32 s0, s0, 0x3ff
	s_delay_alu instid0(SALU_CYCLE_1) | instskip(NEXT) | instid1(SALU_CYCLE_1)
	s_bitset1_b32 s0, 10
	s_mov_b32 m0, s0
	s_sendmsg sendmsg(MSG_INTERRUPT)
	s_mov_b32 m0, ttmp2
.LBB26_403:                             ; =>This Inner Loop Header: Depth=1
	s_sethalt 5
	s_branch .LBB26_403
.Lfunc_end26:
	.size	__assert_fail, .Lfunc_end26-__assert_fail
                                        ; -- End function
	.section	.AMDGPU.csdata,"",@progbits
; Function info:
; codeLenInByte = 17116
; NumSgprs: 36
; NumVgprs: 53
; ScratchSize: 64
; MemoryBound: 0
	.section	.text._ZN4vllm18convert_fp8_kernelIhfLNS_18Fp8KVCacheDataTypeE0EEEvPKT0_PT_fl,"axG",@progbits,_ZN4vllm18convert_fp8_kernelIhfLNS_18Fp8KVCacheDataTypeE0EEEvPKT0_PT_fl,comdat
	.protected	_ZN4vllm18convert_fp8_kernelIhfLNS_18Fp8KVCacheDataTypeE0EEEvPKT0_PT_fl ; -- Begin function _ZN4vllm18convert_fp8_kernelIhfLNS_18Fp8KVCacheDataTypeE0EEEvPKT0_PT_fl
	.globl	_ZN4vllm18convert_fp8_kernelIhfLNS_18Fp8KVCacheDataTypeE0EEEvPKT0_PT_fl
	.p2align	8
	.type	_ZN4vllm18convert_fp8_kernelIhfLNS_18Fp8KVCacheDataTypeE0EEEvPKT0_PT_fl,@function
_ZN4vllm18convert_fp8_kernelIhfLNS_18Fp8KVCacheDataTypeE0EEEvPKT0_PT_fl: ; @_ZN4vllm18convert_fp8_kernelIhfLNS_18Fp8KVCacheDataTypeE0EEEvPKT0_PT_fl
; %bb.0:
	s_load_b64 s[2:3], s[0:1], 0x18
	v_mov_b32_e32 v1, 0
	s_mov_b32 s32, 0
	s_waitcnt lgkmcnt(0)
	s_delay_alu instid0(VALU_DEP_1)
	v_cmp_gt_i64_e32 vcc_lo, s[2:3], v[0:1]
	s_and_saveexec_b32 s2, vcc_lo
	s_cbranch_execz .LBB27_2
; %bb.1:
	s_add_u32 s8, s0, 32
	s_addc_u32 s9, s1, 0
	s_getpc_b64 s[0:1]
	s_add_u32 s0, s0, .str@rel32@lo+4
	s_addc_u32 s1, s1, .str@rel32@hi+12
	s_getpc_b64 s[2:3]
	s_add_u32 s2, s2, .str.1@rel32@lo+4
	s_addc_u32 s3, s3, .str.1@rel32@hi+12
	s_getpc_b64 s[4:5]
	s_add_u32 s4, s4, __PRETTY_FUNCTION__._ZN4vllm3fp814scaled_convertIhfLNS_18Fp8KVCacheDataTypeE0EEET_RKT0_f@rel32@lo+4
	s_addc_u32 s5, s5, __PRETTY_FUNCTION__._ZN4vllm3fp814scaled_convertIhfLNS_18Fp8KVCacheDataTypeE0EEET_RKT0_f@rel32@hi+12
	v_dual_mov_b32 v0, s0 :: v_dual_mov_b32 v1, s1
	v_dual_mov_b32 v2, s2 :: v_dual_mov_b32 v3, s3
	v_dual_mov_b32 v4, 0x27b :: v_dual_mov_b32 v5, s4
	v_mov_b32_e32 v6, s5
	s_getpc_b64 s[6:7]
	s_add_u32 s6, s6, __assert_fail@rel32@lo+4
	s_addc_u32 s7, s7, __assert_fail@rel32@hi+12
	s_delay_alu instid0(SALU_CYCLE_1)
	s_swappc_b64 s[30:31], s[6:7]
	; divergent unreachable
.LBB27_2:
	s_endpgm
	.section	.rodata,"a",@progbits
	.p2align	6, 0x0
	.amdhsa_kernel _ZN4vllm18convert_fp8_kernelIhfLNS_18Fp8KVCacheDataTypeE0EEEvPKT0_PT_fl
		.amdhsa_group_segment_fixed_size 0
		.amdhsa_private_segment_fixed_size 64
		.amdhsa_kernarg_size 288
		.amdhsa_user_sgpr_count 15
		.amdhsa_user_sgpr_dispatch_ptr 0
		.amdhsa_user_sgpr_queue_ptr 0
		.amdhsa_user_sgpr_kernarg_segment_ptr 1
		.amdhsa_user_sgpr_dispatch_id 0
		.amdhsa_user_sgpr_private_segment_size 0
		.amdhsa_wavefront_size32 1
		.amdhsa_uses_dynamic_stack 0
		.amdhsa_enable_private_segment 1
		.amdhsa_system_sgpr_workgroup_id_x 1
		.amdhsa_system_sgpr_workgroup_id_y 0
		.amdhsa_system_sgpr_workgroup_id_z 0
		.amdhsa_system_sgpr_workgroup_info 0
		.amdhsa_system_vgpr_workitem_id 0
		.amdhsa_next_free_vgpr 53
		.amdhsa_next_free_sgpr 34
		.amdhsa_reserve_vcc 1
		.amdhsa_float_round_mode_32 0
		.amdhsa_float_round_mode_16_64 0
		.amdhsa_float_denorm_mode_32 3
		.amdhsa_float_denorm_mode_16_64 3
		.amdhsa_dx10_clamp 1
		.amdhsa_ieee_mode 1
		.amdhsa_fp16_overflow 0
		.amdhsa_workgroup_processor_mode 1
		.amdhsa_memory_ordered 1
		.amdhsa_forward_progress 0
		.amdhsa_shared_vgpr_count 0
		.amdhsa_exception_fp_ieee_invalid_op 0
		.amdhsa_exception_fp_denorm_src 0
		.amdhsa_exception_fp_ieee_div_zero 0
		.amdhsa_exception_fp_ieee_overflow 0
		.amdhsa_exception_fp_ieee_underflow 0
		.amdhsa_exception_fp_ieee_inexact 0
		.amdhsa_exception_int_div_zero 0
	.end_amdhsa_kernel
	.section	.text._ZN4vllm18convert_fp8_kernelIhfLNS_18Fp8KVCacheDataTypeE0EEEvPKT0_PT_fl,"axG",@progbits,_ZN4vllm18convert_fp8_kernelIhfLNS_18Fp8KVCacheDataTypeE0EEEvPKT0_PT_fl,comdat
.Lfunc_end27:
	.size	_ZN4vllm18convert_fp8_kernelIhfLNS_18Fp8KVCacheDataTypeE0EEEvPKT0_PT_fl, .Lfunc_end27-_ZN4vllm18convert_fp8_kernelIhfLNS_18Fp8KVCacheDataTypeE0EEEvPKT0_PT_fl
                                        ; -- End function
	.section	.AMDGPU.csdata,"",@progbits
; Kernel info:
; codeLenInByte = 168
; NumSgprs: 36
; NumVgprs: 53
; ScratchSize: 64
; MemoryBound: 0
; FloatMode: 240
; IeeeMode: 1
; LDSByteSize: 0 bytes/workgroup (compile time only)
; SGPRBlocks: 4
; VGPRBlocks: 6
; NumSGPRsForWavesPerEU: 36
; NumVGPRsForWavesPerEU: 53
; Occupancy: 16
; WaveLimiterHint : 1
; COMPUTE_PGM_RSRC2:SCRATCH_EN: 1
; COMPUTE_PGM_RSRC2:USER_SGPR: 15
; COMPUTE_PGM_RSRC2:TRAP_HANDLER: 0
; COMPUTE_PGM_RSRC2:TGID_X_EN: 1
; COMPUTE_PGM_RSRC2:TGID_Y_EN: 0
; COMPUTE_PGM_RSRC2:TGID_Z_EN: 0
; COMPUTE_PGM_RSRC2:TIDIG_COMP_CNT: 0
	.section	.text._ZN4vllm18convert_fp8_kernelIhtLNS_18Fp8KVCacheDataTypeE0EEEvPKT0_PT_fl,"axG",@progbits,_ZN4vllm18convert_fp8_kernelIhtLNS_18Fp8KVCacheDataTypeE0EEEvPKT0_PT_fl,comdat
	.protected	_ZN4vllm18convert_fp8_kernelIhtLNS_18Fp8KVCacheDataTypeE0EEEvPKT0_PT_fl ; -- Begin function _ZN4vllm18convert_fp8_kernelIhtLNS_18Fp8KVCacheDataTypeE0EEEvPKT0_PT_fl
	.globl	_ZN4vllm18convert_fp8_kernelIhtLNS_18Fp8KVCacheDataTypeE0EEEvPKT0_PT_fl
	.p2align	8
	.type	_ZN4vllm18convert_fp8_kernelIhtLNS_18Fp8KVCacheDataTypeE0EEEvPKT0_PT_fl,@function
_ZN4vllm18convert_fp8_kernelIhtLNS_18Fp8KVCacheDataTypeE0EEEvPKT0_PT_fl: ; @_ZN4vllm18convert_fp8_kernelIhtLNS_18Fp8KVCacheDataTypeE0EEEvPKT0_PT_fl
; %bb.0:
	s_load_b64 s[2:3], s[0:1], 0x18
	v_mov_b32_e32 v1, 0
	s_mov_b32 s32, 0
	s_waitcnt lgkmcnt(0)
	s_delay_alu instid0(VALU_DEP_1)
	v_cmp_gt_i64_e32 vcc_lo, s[2:3], v[0:1]
	s_and_saveexec_b32 s2, vcc_lo
	s_cbranch_execz .LBB28_2
; %bb.1:
	s_add_u32 s8, s0, 32
	s_addc_u32 s9, s1, 0
	s_getpc_b64 s[0:1]
	s_add_u32 s0, s0, .str@rel32@lo+4
	s_addc_u32 s1, s1, .str@rel32@hi+12
	s_getpc_b64 s[2:3]
	s_add_u32 s2, s2, .str.1@rel32@lo+4
	s_addc_u32 s3, s3, .str.1@rel32@hi+12
	s_getpc_b64 s[4:5]
	s_add_u32 s4, s4, __PRETTY_FUNCTION__._ZN4vllm3fp814scaled_convertIhtLNS_18Fp8KVCacheDataTypeE0EEET_RKT0_f@rel32@lo+4
	s_addc_u32 s5, s5, __PRETTY_FUNCTION__._ZN4vllm3fp814scaled_convertIhtLNS_18Fp8KVCacheDataTypeE0EEET_RKT0_f@rel32@hi+12
	v_dual_mov_b32 v0, s0 :: v_dual_mov_b32 v1, s1
	v_dual_mov_b32 v2, s2 :: v_dual_mov_b32 v3, s3
	;; [unrolled: 1-line block ×3, first 2 shown]
	v_mov_b32_e32 v6, s5
	s_getpc_b64 s[6:7]
	s_add_u32 s6, s6, __assert_fail@rel32@lo+4
	s_addc_u32 s7, s7, __assert_fail@rel32@hi+12
	s_delay_alu instid0(SALU_CYCLE_1)
	s_swappc_b64 s[30:31], s[6:7]
	; divergent unreachable
.LBB28_2:
	s_endpgm
	.section	.rodata,"a",@progbits
	.p2align	6, 0x0
	.amdhsa_kernel _ZN4vllm18convert_fp8_kernelIhtLNS_18Fp8KVCacheDataTypeE0EEEvPKT0_PT_fl
		.amdhsa_group_segment_fixed_size 0
		.amdhsa_private_segment_fixed_size 64
		.amdhsa_kernarg_size 288
		.amdhsa_user_sgpr_count 15
		.amdhsa_user_sgpr_dispatch_ptr 0
		.amdhsa_user_sgpr_queue_ptr 0
		.amdhsa_user_sgpr_kernarg_segment_ptr 1
		.amdhsa_user_sgpr_dispatch_id 0
		.amdhsa_user_sgpr_private_segment_size 0
		.amdhsa_wavefront_size32 1
		.amdhsa_uses_dynamic_stack 0
		.amdhsa_enable_private_segment 1
		.amdhsa_system_sgpr_workgroup_id_x 1
		.amdhsa_system_sgpr_workgroup_id_y 0
		.amdhsa_system_sgpr_workgroup_id_z 0
		.amdhsa_system_sgpr_workgroup_info 0
		.amdhsa_system_vgpr_workitem_id 0
		.amdhsa_next_free_vgpr 53
		.amdhsa_next_free_sgpr 34
		.amdhsa_reserve_vcc 1
		.amdhsa_float_round_mode_32 0
		.amdhsa_float_round_mode_16_64 0
		.amdhsa_float_denorm_mode_32 3
		.amdhsa_float_denorm_mode_16_64 3
		.amdhsa_dx10_clamp 1
		.amdhsa_ieee_mode 1
		.amdhsa_fp16_overflow 0
		.amdhsa_workgroup_processor_mode 1
		.amdhsa_memory_ordered 1
		.amdhsa_forward_progress 0
		.amdhsa_shared_vgpr_count 0
		.amdhsa_exception_fp_ieee_invalid_op 0
		.amdhsa_exception_fp_denorm_src 0
		.amdhsa_exception_fp_ieee_div_zero 0
		.amdhsa_exception_fp_ieee_overflow 0
		.amdhsa_exception_fp_ieee_underflow 0
		.amdhsa_exception_fp_ieee_inexact 0
		.amdhsa_exception_int_div_zero 0
	.end_amdhsa_kernel
	.section	.text._ZN4vllm18convert_fp8_kernelIhtLNS_18Fp8KVCacheDataTypeE0EEEvPKT0_PT_fl,"axG",@progbits,_ZN4vllm18convert_fp8_kernelIhtLNS_18Fp8KVCacheDataTypeE0EEEvPKT0_PT_fl,comdat
.Lfunc_end28:
	.size	_ZN4vllm18convert_fp8_kernelIhtLNS_18Fp8KVCacheDataTypeE0EEEvPKT0_PT_fl, .Lfunc_end28-_ZN4vllm18convert_fp8_kernelIhtLNS_18Fp8KVCacheDataTypeE0EEEvPKT0_PT_fl
                                        ; -- End function
	.section	.AMDGPU.csdata,"",@progbits
; Kernel info:
; codeLenInByte = 168
; NumSgprs: 36
; NumVgprs: 53
; ScratchSize: 64
; MemoryBound: 0
; FloatMode: 240
; IeeeMode: 1
; LDSByteSize: 0 bytes/workgroup (compile time only)
; SGPRBlocks: 4
; VGPRBlocks: 6
; NumSGPRsForWavesPerEU: 36
; NumVGPRsForWavesPerEU: 53
; Occupancy: 16
; WaveLimiterHint : 1
; COMPUTE_PGM_RSRC2:SCRATCH_EN: 1
; COMPUTE_PGM_RSRC2:USER_SGPR: 15
; COMPUTE_PGM_RSRC2:TRAP_HANDLER: 0
; COMPUTE_PGM_RSRC2:TGID_X_EN: 1
; COMPUTE_PGM_RSRC2:TGID_Y_EN: 0
; COMPUTE_PGM_RSRC2:TGID_Z_EN: 0
; COMPUTE_PGM_RSRC2:TIDIG_COMP_CNT: 0
	.section	.text._ZN4vllm18convert_fp8_kernelIh14__hip_bfloat16LNS_18Fp8KVCacheDataTypeE0EEEvPKT0_PT_fl,"axG",@progbits,_ZN4vllm18convert_fp8_kernelIh14__hip_bfloat16LNS_18Fp8KVCacheDataTypeE0EEEvPKT0_PT_fl,comdat
	.protected	_ZN4vllm18convert_fp8_kernelIh14__hip_bfloat16LNS_18Fp8KVCacheDataTypeE0EEEvPKT0_PT_fl ; -- Begin function _ZN4vllm18convert_fp8_kernelIh14__hip_bfloat16LNS_18Fp8KVCacheDataTypeE0EEEvPKT0_PT_fl
	.globl	_ZN4vllm18convert_fp8_kernelIh14__hip_bfloat16LNS_18Fp8KVCacheDataTypeE0EEEvPKT0_PT_fl
	.p2align	8
	.type	_ZN4vllm18convert_fp8_kernelIh14__hip_bfloat16LNS_18Fp8KVCacheDataTypeE0EEEvPKT0_PT_fl,@function
_ZN4vllm18convert_fp8_kernelIh14__hip_bfloat16LNS_18Fp8KVCacheDataTypeE0EEEvPKT0_PT_fl: ; @_ZN4vllm18convert_fp8_kernelIh14__hip_bfloat16LNS_18Fp8KVCacheDataTypeE0EEEvPKT0_PT_fl
; %bb.0:
	s_load_b64 s[2:3], s[0:1], 0x18
	v_mov_b32_e32 v1, 0
	s_mov_b32 s32, 0
	s_waitcnt lgkmcnt(0)
	s_delay_alu instid0(VALU_DEP_1)
	v_cmp_gt_i64_e32 vcc_lo, s[2:3], v[0:1]
	s_and_saveexec_b32 s2, vcc_lo
	s_cbranch_execz .LBB29_2
; %bb.1:
	s_add_u32 s8, s0, 32
	s_addc_u32 s9, s1, 0
	s_getpc_b64 s[0:1]
	s_add_u32 s0, s0, .str@rel32@lo+4
	s_addc_u32 s1, s1, .str@rel32@hi+12
	s_getpc_b64 s[2:3]
	s_add_u32 s2, s2, .str.1@rel32@lo+4
	s_addc_u32 s3, s3, .str.1@rel32@hi+12
	s_getpc_b64 s[4:5]
	s_add_u32 s4, s4, __PRETTY_FUNCTION__._ZN4vllm3fp814scaled_convertIh14__hip_bfloat16LNS_18Fp8KVCacheDataTypeE0EEET_RKT0_f@rel32@lo+4
	s_addc_u32 s5, s5, __PRETTY_FUNCTION__._ZN4vllm3fp814scaled_convertIh14__hip_bfloat16LNS_18Fp8KVCacheDataTypeE0EEET_RKT0_f@rel32@hi+12
	v_dual_mov_b32 v0, s0 :: v_dual_mov_b32 v1, s1
	v_dual_mov_b32 v2, s2 :: v_dual_mov_b32 v3, s3
	;; [unrolled: 1-line block ×3, first 2 shown]
	v_mov_b32_e32 v6, s5
	s_getpc_b64 s[6:7]
	s_add_u32 s6, s6, __assert_fail@rel32@lo+4
	s_addc_u32 s7, s7, __assert_fail@rel32@hi+12
	s_delay_alu instid0(SALU_CYCLE_1)
	s_swappc_b64 s[30:31], s[6:7]
	; divergent unreachable
.LBB29_2:
	s_endpgm
	.section	.rodata,"a",@progbits
	.p2align	6, 0x0
	.amdhsa_kernel _ZN4vllm18convert_fp8_kernelIh14__hip_bfloat16LNS_18Fp8KVCacheDataTypeE0EEEvPKT0_PT_fl
		.amdhsa_group_segment_fixed_size 0
		.amdhsa_private_segment_fixed_size 64
		.amdhsa_kernarg_size 288
		.amdhsa_user_sgpr_count 15
		.amdhsa_user_sgpr_dispatch_ptr 0
		.amdhsa_user_sgpr_queue_ptr 0
		.amdhsa_user_sgpr_kernarg_segment_ptr 1
		.amdhsa_user_sgpr_dispatch_id 0
		.amdhsa_user_sgpr_private_segment_size 0
		.amdhsa_wavefront_size32 1
		.amdhsa_uses_dynamic_stack 0
		.amdhsa_enable_private_segment 1
		.amdhsa_system_sgpr_workgroup_id_x 1
		.amdhsa_system_sgpr_workgroup_id_y 0
		.amdhsa_system_sgpr_workgroup_id_z 0
		.amdhsa_system_sgpr_workgroup_info 0
		.amdhsa_system_vgpr_workitem_id 0
		.amdhsa_next_free_vgpr 53
		.amdhsa_next_free_sgpr 34
		.amdhsa_reserve_vcc 1
		.amdhsa_float_round_mode_32 0
		.amdhsa_float_round_mode_16_64 0
		.amdhsa_float_denorm_mode_32 3
		.amdhsa_float_denorm_mode_16_64 3
		.amdhsa_dx10_clamp 1
		.amdhsa_ieee_mode 1
		.amdhsa_fp16_overflow 0
		.amdhsa_workgroup_processor_mode 1
		.amdhsa_memory_ordered 1
		.amdhsa_forward_progress 0
		.amdhsa_shared_vgpr_count 0
		.amdhsa_exception_fp_ieee_invalid_op 0
		.amdhsa_exception_fp_denorm_src 0
		.amdhsa_exception_fp_ieee_div_zero 0
		.amdhsa_exception_fp_ieee_overflow 0
		.amdhsa_exception_fp_ieee_underflow 0
		.amdhsa_exception_fp_ieee_inexact 0
		.amdhsa_exception_int_div_zero 0
	.end_amdhsa_kernel
	.section	.text._ZN4vllm18convert_fp8_kernelIh14__hip_bfloat16LNS_18Fp8KVCacheDataTypeE0EEEvPKT0_PT_fl,"axG",@progbits,_ZN4vllm18convert_fp8_kernelIh14__hip_bfloat16LNS_18Fp8KVCacheDataTypeE0EEEvPKT0_PT_fl,comdat
.Lfunc_end29:
	.size	_ZN4vllm18convert_fp8_kernelIh14__hip_bfloat16LNS_18Fp8KVCacheDataTypeE0EEEvPKT0_PT_fl, .Lfunc_end29-_ZN4vllm18convert_fp8_kernelIh14__hip_bfloat16LNS_18Fp8KVCacheDataTypeE0EEEvPKT0_PT_fl
                                        ; -- End function
	.section	.AMDGPU.csdata,"",@progbits
; Kernel info:
; codeLenInByte = 168
; NumSgprs: 36
; NumVgprs: 53
; ScratchSize: 64
; MemoryBound: 0
; FloatMode: 240
; IeeeMode: 1
; LDSByteSize: 0 bytes/workgroup (compile time only)
; SGPRBlocks: 4
; VGPRBlocks: 6
; NumSGPRsForWavesPerEU: 36
; NumVGPRsForWavesPerEU: 53
; Occupancy: 16
; WaveLimiterHint : 1
; COMPUTE_PGM_RSRC2:SCRATCH_EN: 1
; COMPUTE_PGM_RSRC2:USER_SGPR: 15
; COMPUTE_PGM_RSRC2:TRAP_HANDLER: 0
; COMPUTE_PGM_RSRC2:TGID_X_EN: 1
; COMPUTE_PGM_RSRC2:TGID_Y_EN: 0
; COMPUTE_PGM_RSRC2:TGID_Z_EN: 0
; COMPUTE_PGM_RSRC2:TIDIG_COMP_CNT: 0
	.section	.text._ZN4vllm18convert_fp8_kernelIfhLNS_18Fp8KVCacheDataTypeE0EEEvPKT0_PT_fl,"axG",@progbits,_ZN4vllm18convert_fp8_kernelIfhLNS_18Fp8KVCacheDataTypeE0EEEvPKT0_PT_fl,comdat
	.protected	_ZN4vllm18convert_fp8_kernelIfhLNS_18Fp8KVCacheDataTypeE0EEEvPKT0_PT_fl ; -- Begin function _ZN4vllm18convert_fp8_kernelIfhLNS_18Fp8KVCacheDataTypeE0EEEvPKT0_PT_fl
	.globl	_ZN4vllm18convert_fp8_kernelIfhLNS_18Fp8KVCacheDataTypeE0EEEvPKT0_PT_fl
	.p2align	8
	.type	_ZN4vllm18convert_fp8_kernelIfhLNS_18Fp8KVCacheDataTypeE0EEEvPKT0_PT_fl,@function
_ZN4vllm18convert_fp8_kernelIfhLNS_18Fp8KVCacheDataTypeE0EEEvPKT0_PT_fl: ; @_ZN4vllm18convert_fp8_kernelIfhLNS_18Fp8KVCacheDataTypeE0EEEvPKT0_PT_fl
; %bb.0:
	s_load_b64 s[2:3], s[0:1], 0x18
	v_mov_b32_e32 v1, 0
	s_mov_b32 s32, 0
	s_waitcnt lgkmcnt(0)
	s_delay_alu instid0(VALU_DEP_1)
	v_cmp_gt_i64_e32 vcc_lo, s[2:3], v[0:1]
	s_and_saveexec_b32 s2, vcc_lo
	s_cbranch_execz .LBB30_2
; %bb.1:
	s_add_u32 s8, s0, 32
	s_addc_u32 s9, s1, 0
	s_getpc_b64 s[0:1]
	s_add_u32 s0, s0, .str@rel32@lo+4
	s_addc_u32 s1, s1, .str@rel32@hi+12
	s_getpc_b64 s[2:3]
	s_add_u32 s2, s2, .str.1@rel32@lo+4
	s_addc_u32 s3, s3, .str.1@rel32@hi+12
	s_getpc_b64 s[4:5]
	s_add_u32 s4, s4, __PRETTY_FUNCTION__._ZN4vllm3fp814scaled_convertIfhLNS_18Fp8KVCacheDataTypeE0EEET_RKT0_f@rel32@lo+4
	s_addc_u32 s5, s5, __PRETTY_FUNCTION__._ZN4vllm3fp814scaled_convertIfhLNS_18Fp8KVCacheDataTypeE0EEET_RKT0_f@rel32@hi+12
	v_dual_mov_b32 v0, s0 :: v_dual_mov_b32 v1, s1
	v_dual_mov_b32 v2, s2 :: v_dual_mov_b32 v3, s3
	;; [unrolled: 1-line block ×3, first 2 shown]
	v_mov_b32_e32 v6, s5
	s_getpc_b64 s[6:7]
	s_add_u32 s6, s6, __assert_fail@rel32@lo+4
	s_addc_u32 s7, s7, __assert_fail@rel32@hi+12
	s_delay_alu instid0(SALU_CYCLE_1)
	s_swappc_b64 s[30:31], s[6:7]
	; divergent unreachable
.LBB30_2:
	s_endpgm
	.section	.rodata,"a",@progbits
	.p2align	6, 0x0
	.amdhsa_kernel _ZN4vllm18convert_fp8_kernelIfhLNS_18Fp8KVCacheDataTypeE0EEEvPKT0_PT_fl
		.amdhsa_group_segment_fixed_size 0
		.amdhsa_private_segment_fixed_size 64
		.amdhsa_kernarg_size 288
		.amdhsa_user_sgpr_count 15
		.amdhsa_user_sgpr_dispatch_ptr 0
		.amdhsa_user_sgpr_queue_ptr 0
		.amdhsa_user_sgpr_kernarg_segment_ptr 1
		.amdhsa_user_sgpr_dispatch_id 0
		.amdhsa_user_sgpr_private_segment_size 0
		.amdhsa_wavefront_size32 1
		.amdhsa_uses_dynamic_stack 0
		.amdhsa_enable_private_segment 1
		.amdhsa_system_sgpr_workgroup_id_x 1
		.amdhsa_system_sgpr_workgroup_id_y 0
		.amdhsa_system_sgpr_workgroup_id_z 0
		.amdhsa_system_sgpr_workgroup_info 0
		.amdhsa_system_vgpr_workitem_id 0
		.amdhsa_next_free_vgpr 53
		.amdhsa_next_free_sgpr 34
		.amdhsa_reserve_vcc 1
		.amdhsa_float_round_mode_32 0
		.amdhsa_float_round_mode_16_64 0
		.amdhsa_float_denorm_mode_32 3
		.amdhsa_float_denorm_mode_16_64 3
		.amdhsa_dx10_clamp 1
		.amdhsa_ieee_mode 1
		.amdhsa_fp16_overflow 0
		.amdhsa_workgroup_processor_mode 1
		.amdhsa_memory_ordered 1
		.amdhsa_forward_progress 0
		.amdhsa_shared_vgpr_count 0
		.amdhsa_exception_fp_ieee_invalid_op 0
		.amdhsa_exception_fp_denorm_src 0
		.amdhsa_exception_fp_ieee_div_zero 0
		.amdhsa_exception_fp_ieee_overflow 0
		.amdhsa_exception_fp_ieee_underflow 0
		.amdhsa_exception_fp_ieee_inexact 0
		.amdhsa_exception_int_div_zero 0
	.end_amdhsa_kernel
	.section	.text._ZN4vllm18convert_fp8_kernelIfhLNS_18Fp8KVCacheDataTypeE0EEEvPKT0_PT_fl,"axG",@progbits,_ZN4vllm18convert_fp8_kernelIfhLNS_18Fp8KVCacheDataTypeE0EEEvPKT0_PT_fl,comdat
.Lfunc_end30:
	.size	_ZN4vllm18convert_fp8_kernelIfhLNS_18Fp8KVCacheDataTypeE0EEEvPKT0_PT_fl, .Lfunc_end30-_ZN4vllm18convert_fp8_kernelIfhLNS_18Fp8KVCacheDataTypeE0EEEvPKT0_PT_fl
                                        ; -- End function
	.section	.AMDGPU.csdata,"",@progbits
; Kernel info:
; codeLenInByte = 168
; NumSgprs: 36
; NumVgprs: 53
; ScratchSize: 64
; MemoryBound: 0
; FloatMode: 240
; IeeeMode: 1
; LDSByteSize: 0 bytes/workgroup (compile time only)
; SGPRBlocks: 4
; VGPRBlocks: 6
; NumSGPRsForWavesPerEU: 36
; NumVGPRsForWavesPerEU: 53
; Occupancy: 16
; WaveLimiterHint : 1
; COMPUTE_PGM_RSRC2:SCRATCH_EN: 1
; COMPUTE_PGM_RSRC2:USER_SGPR: 15
; COMPUTE_PGM_RSRC2:TRAP_HANDLER: 0
; COMPUTE_PGM_RSRC2:TGID_X_EN: 1
; COMPUTE_PGM_RSRC2:TGID_Y_EN: 0
; COMPUTE_PGM_RSRC2:TGID_Z_EN: 0
; COMPUTE_PGM_RSRC2:TIDIG_COMP_CNT: 0
	.section	.text._ZN4vllm18convert_fp8_kernelIthLNS_18Fp8KVCacheDataTypeE0EEEvPKT0_PT_fl,"axG",@progbits,_ZN4vllm18convert_fp8_kernelIthLNS_18Fp8KVCacheDataTypeE0EEEvPKT0_PT_fl,comdat
	.protected	_ZN4vllm18convert_fp8_kernelIthLNS_18Fp8KVCacheDataTypeE0EEEvPKT0_PT_fl ; -- Begin function _ZN4vllm18convert_fp8_kernelIthLNS_18Fp8KVCacheDataTypeE0EEEvPKT0_PT_fl
	.globl	_ZN4vllm18convert_fp8_kernelIthLNS_18Fp8KVCacheDataTypeE0EEEvPKT0_PT_fl
	.p2align	8
	.type	_ZN4vllm18convert_fp8_kernelIthLNS_18Fp8KVCacheDataTypeE0EEEvPKT0_PT_fl,@function
_ZN4vllm18convert_fp8_kernelIthLNS_18Fp8KVCacheDataTypeE0EEEvPKT0_PT_fl: ; @_ZN4vllm18convert_fp8_kernelIthLNS_18Fp8KVCacheDataTypeE0EEEvPKT0_PT_fl
; %bb.0:
	s_load_b64 s[2:3], s[0:1], 0x18
	v_mov_b32_e32 v1, 0
	s_mov_b32 s32, 0
	s_waitcnt lgkmcnt(0)
	s_delay_alu instid0(VALU_DEP_1)
	v_cmp_gt_i64_e32 vcc_lo, s[2:3], v[0:1]
	s_and_saveexec_b32 s2, vcc_lo
	s_cbranch_execz .LBB31_2
; %bb.1:
	s_add_u32 s8, s0, 32
	s_addc_u32 s9, s1, 0
	s_getpc_b64 s[0:1]
	s_add_u32 s0, s0, .str@rel32@lo+4
	s_addc_u32 s1, s1, .str@rel32@hi+12
	s_getpc_b64 s[2:3]
	s_add_u32 s2, s2, .str.1@rel32@lo+4
	s_addc_u32 s3, s3, .str.1@rel32@hi+12
	s_getpc_b64 s[4:5]
	s_add_u32 s4, s4, __PRETTY_FUNCTION__._ZN4vllm3fp814scaled_convertIthLNS_18Fp8KVCacheDataTypeE0EEET_RKT0_f@rel32@lo+4
	s_addc_u32 s5, s5, __PRETTY_FUNCTION__._ZN4vllm3fp814scaled_convertIthLNS_18Fp8KVCacheDataTypeE0EEET_RKT0_f@rel32@hi+12
	v_dual_mov_b32 v0, s0 :: v_dual_mov_b32 v1, s1
	v_dual_mov_b32 v2, s2 :: v_dual_mov_b32 v3, s3
	;; [unrolled: 1-line block ×3, first 2 shown]
	v_mov_b32_e32 v6, s5
	s_getpc_b64 s[6:7]
	s_add_u32 s6, s6, __assert_fail@rel32@lo+4
	s_addc_u32 s7, s7, __assert_fail@rel32@hi+12
	s_delay_alu instid0(SALU_CYCLE_1)
	s_swappc_b64 s[30:31], s[6:7]
	; divergent unreachable
.LBB31_2:
	s_endpgm
	.section	.rodata,"a",@progbits
	.p2align	6, 0x0
	.amdhsa_kernel _ZN4vllm18convert_fp8_kernelIthLNS_18Fp8KVCacheDataTypeE0EEEvPKT0_PT_fl
		.amdhsa_group_segment_fixed_size 0
		.amdhsa_private_segment_fixed_size 64
		.amdhsa_kernarg_size 288
		.amdhsa_user_sgpr_count 15
		.amdhsa_user_sgpr_dispatch_ptr 0
		.amdhsa_user_sgpr_queue_ptr 0
		.amdhsa_user_sgpr_kernarg_segment_ptr 1
		.amdhsa_user_sgpr_dispatch_id 0
		.amdhsa_user_sgpr_private_segment_size 0
		.amdhsa_wavefront_size32 1
		.amdhsa_uses_dynamic_stack 0
		.amdhsa_enable_private_segment 1
		.amdhsa_system_sgpr_workgroup_id_x 1
		.amdhsa_system_sgpr_workgroup_id_y 0
		.amdhsa_system_sgpr_workgroup_id_z 0
		.amdhsa_system_sgpr_workgroup_info 0
		.amdhsa_system_vgpr_workitem_id 0
		.amdhsa_next_free_vgpr 53
		.amdhsa_next_free_sgpr 34
		.amdhsa_reserve_vcc 1
		.amdhsa_float_round_mode_32 0
		.amdhsa_float_round_mode_16_64 0
		.amdhsa_float_denorm_mode_32 3
		.amdhsa_float_denorm_mode_16_64 3
		.amdhsa_dx10_clamp 1
		.amdhsa_ieee_mode 1
		.amdhsa_fp16_overflow 0
		.amdhsa_workgroup_processor_mode 1
		.amdhsa_memory_ordered 1
		.amdhsa_forward_progress 0
		.amdhsa_shared_vgpr_count 0
		.amdhsa_exception_fp_ieee_invalid_op 0
		.amdhsa_exception_fp_denorm_src 0
		.amdhsa_exception_fp_ieee_div_zero 0
		.amdhsa_exception_fp_ieee_overflow 0
		.amdhsa_exception_fp_ieee_underflow 0
		.amdhsa_exception_fp_ieee_inexact 0
		.amdhsa_exception_int_div_zero 0
	.end_amdhsa_kernel
	.section	.text._ZN4vllm18convert_fp8_kernelIthLNS_18Fp8KVCacheDataTypeE0EEEvPKT0_PT_fl,"axG",@progbits,_ZN4vllm18convert_fp8_kernelIthLNS_18Fp8KVCacheDataTypeE0EEEvPKT0_PT_fl,comdat
.Lfunc_end31:
	.size	_ZN4vllm18convert_fp8_kernelIthLNS_18Fp8KVCacheDataTypeE0EEEvPKT0_PT_fl, .Lfunc_end31-_ZN4vllm18convert_fp8_kernelIthLNS_18Fp8KVCacheDataTypeE0EEEvPKT0_PT_fl
                                        ; -- End function
	.section	.AMDGPU.csdata,"",@progbits
; Kernel info:
; codeLenInByte = 168
; NumSgprs: 36
; NumVgprs: 53
; ScratchSize: 64
; MemoryBound: 0
; FloatMode: 240
; IeeeMode: 1
; LDSByteSize: 0 bytes/workgroup (compile time only)
; SGPRBlocks: 4
; VGPRBlocks: 6
; NumSGPRsForWavesPerEU: 36
; NumVGPRsForWavesPerEU: 53
; Occupancy: 16
; WaveLimiterHint : 1
; COMPUTE_PGM_RSRC2:SCRATCH_EN: 1
; COMPUTE_PGM_RSRC2:USER_SGPR: 15
; COMPUTE_PGM_RSRC2:TRAP_HANDLER: 0
; COMPUTE_PGM_RSRC2:TGID_X_EN: 1
; COMPUTE_PGM_RSRC2:TGID_Y_EN: 0
; COMPUTE_PGM_RSRC2:TGID_Z_EN: 0
; COMPUTE_PGM_RSRC2:TIDIG_COMP_CNT: 0
	.section	.text._ZN4vllm18convert_fp8_kernelI14__hip_bfloat16hLNS_18Fp8KVCacheDataTypeE0EEEvPKT0_PT_fl,"axG",@progbits,_ZN4vllm18convert_fp8_kernelI14__hip_bfloat16hLNS_18Fp8KVCacheDataTypeE0EEEvPKT0_PT_fl,comdat
	.protected	_ZN4vllm18convert_fp8_kernelI14__hip_bfloat16hLNS_18Fp8KVCacheDataTypeE0EEEvPKT0_PT_fl ; -- Begin function _ZN4vllm18convert_fp8_kernelI14__hip_bfloat16hLNS_18Fp8KVCacheDataTypeE0EEEvPKT0_PT_fl
	.globl	_ZN4vllm18convert_fp8_kernelI14__hip_bfloat16hLNS_18Fp8KVCacheDataTypeE0EEEvPKT0_PT_fl
	.p2align	8
	.type	_ZN4vllm18convert_fp8_kernelI14__hip_bfloat16hLNS_18Fp8KVCacheDataTypeE0EEEvPKT0_PT_fl,@function
_ZN4vllm18convert_fp8_kernelI14__hip_bfloat16hLNS_18Fp8KVCacheDataTypeE0EEEvPKT0_PT_fl: ; @_ZN4vllm18convert_fp8_kernelI14__hip_bfloat16hLNS_18Fp8KVCacheDataTypeE0EEEvPKT0_PT_fl
; %bb.0:
	s_load_b64 s[2:3], s[0:1], 0x18
	v_mov_b32_e32 v1, 0
	s_mov_b32 s32, 0
	s_waitcnt lgkmcnt(0)
	s_delay_alu instid0(VALU_DEP_1)
	v_cmp_gt_i64_e32 vcc_lo, s[2:3], v[0:1]
	s_and_saveexec_b32 s2, vcc_lo
	s_cbranch_execz .LBB32_2
; %bb.1:
	s_add_u32 s8, s0, 32
	s_addc_u32 s9, s1, 0
	s_getpc_b64 s[0:1]
	s_add_u32 s0, s0, .str@rel32@lo+4
	s_addc_u32 s1, s1, .str@rel32@hi+12
	s_getpc_b64 s[2:3]
	s_add_u32 s2, s2, .str.1@rel32@lo+4
	s_addc_u32 s3, s3, .str.1@rel32@hi+12
	s_getpc_b64 s[4:5]
	s_add_u32 s4, s4, __PRETTY_FUNCTION__._ZN4vllm3fp814scaled_convertI14__hip_bfloat16hLNS_18Fp8KVCacheDataTypeE0EEET_RKT0_f@rel32@lo+4
	s_addc_u32 s5, s5, __PRETTY_FUNCTION__._ZN4vllm3fp814scaled_convertI14__hip_bfloat16hLNS_18Fp8KVCacheDataTypeE0EEET_RKT0_f@rel32@hi+12
	v_dual_mov_b32 v0, s0 :: v_dual_mov_b32 v1, s1
	v_dual_mov_b32 v2, s2 :: v_dual_mov_b32 v3, s3
	;; [unrolled: 1-line block ×3, first 2 shown]
	v_mov_b32_e32 v6, s5
	s_getpc_b64 s[6:7]
	s_add_u32 s6, s6, __assert_fail@rel32@lo+4
	s_addc_u32 s7, s7, __assert_fail@rel32@hi+12
	s_delay_alu instid0(SALU_CYCLE_1)
	s_swappc_b64 s[30:31], s[6:7]
	; divergent unreachable
.LBB32_2:
	s_endpgm
	.section	.rodata,"a",@progbits
	.p2align	6, 0x0
	.amdhsa_kernel _ZN4vllm18convert_fp8_kernelI14__hip_bfloat16hLNS_18Fp8KVCacheDataTypeE0EEEvPKT0_PT_fl
		.amdhsa_group_segment_fixed_size 0
		.amdhsa_private_segment_fixed_size 64
		.amdhsa_kernarg_size 288
		.amdhsa_user_sgpr_count 15
		.amdhsa_user_sgpr_dispatch_ptr 0
		.amdhsa_user_sgpr_queue_ptr 0
		.amdhsa_user_sgpr_kernarg_segment_ptr 1
		.amdhsa_user_sgpr_dispatch_id 0
		.amdhsa_user_sgpr_private_segment_size 0
		.amdhsa_wavefront_size32 1
		.amdhsa_uses_dynamic_stack 0
		.amdhsa_enable_private_segment 1
		.amdhsa_system_sgpr_workgroup_id_x 1
		.amdhsa_system_sgpr_workgroup_id_y 0
		.amdhsa_system_sgpr_workgroup_id_z 0
		.amdhsa_system_sgpr_workgroup_info 0
		.amdhsa_system_vgpr_workitem_id 0
		.amdhsa_next_free_vgpr 53
		.amdhsa_next_free_sgpr 34
		.amdhsa_reserve_vcc 1
		.amdhsa_float_round_mode_32 0
		.amdhsa_float_round_mode_16_64 0
		.amdhsa_float_denorm_mode_32 3
		.amdhsa_float_denorm_mode_16_64 3
		.amdhsa_dx10_clamp 1
		.amdhsa_ieee_mode 1
		.amdhsa_fp16_overflow 0
		.amdhsa_workgroup_processor_mode 1
		.amdhsa_memory_ordered 1
		.amdhsa_forward_progress 0
		.amdhsa_shared_vgpr_count 0
		.amdhsa_exception_fp_ieee_invalid_op 0
		.amdhsa_exception_fp_denorm_src 0
		.amdhsa_exception_fp_ieee_div_zero 0
		.amdhsa_exception_fp_ieee_overflow 0
		.amdhsa_exception_fp_ieee_underflow 0
		.amdhsa_exception_fp_ieee_inexact 0
		.amdhsa_exception_int_div_zero 0
	.end_amdhsa_kernel
	.section	.text._ZN4vllm18convert_fp8_kernelI14__hip_bfloat16hLNS_18Fp8KVCacheDataTypeE0EEEvPKT0_PT_fl,"axG",@progbits,_ZN4vllm18convert_fp8_kernelI14__hip_bfloat16hLNS_18Fp8KVCacheDataTypeE0EEEvPKT0_PT_fl,comdat
.Lfunc_end32:
	.size	_ZN4vllm18convert_fp8_kernelI14__hip_bfloat16hLNS_18Fp8KVCacheDataTypeE0EEEvPKT0_PT_fl, .Lfunc_end32-_ZN4vllm18convert_fp8_kernelI14__hip_bfloat16hLNS_18Fp8KVCacheDataTypeE0EEEvPKT0_PT_fl
                                        ; -- End function
	.section	.AMDGPU.csdata,"",@progbits
; Kernel info:
; codeLenInByte = 168
; NumSgprs: 36
; NumVgprs: 53
; ScratchSize: 64
; MemoryBound: 0
; FloatMode: 240
; IeeeMode: 1
; LDSByteSize: 0 bytes/workgroup (compile time only)
; SGPRBlocks: 4
; VGPRBlocks: 6
; NumSGPRsForWavesPerEU: 36
; NumVGPRsForWavesPerEU: 53
; Occupancy: 16
; WaveLimiterHint : 1
; COMPUTE_PGM_RSRC2:SCRATCH_EN: 1
; COMPUTE_PGM_RSRC2:USER_SGPR: 15
; COMPUTE_PGM_RSRC2:TRAP_HANDLER: 0
; COMPUTE_PGM_RSRC2:TGID_X_EN: 1
; COMPUTE_PGM_RSRC2:TGID_Y_EN: 0
; COMPUTE_PGM_RSRC2:TGID_Z_EN: 0
; COMPUTE_PGM_RSRC2:TIDIG_COMP_CNT: 0
	.section	.text._ZN4vllm18convert_fp8_kernelIhfLNS_18Fp8KVCacheDataTypeE1EEEvPKT0_PT_fl,"axG",@progbits,_ZN4vllm18convert_fp8_kernelIhfLNS_18Fp8KVCacheDataTypeE1EEEvPKT0_PT_fl,comdat
	.protected	_ZN4vllm18convert_fp8_kernelIhfLNS_18Fp8KVCacheDataTypeE1EEEvPKT0_PT_fl ; -- Begin function _ZN4vllm18convert_fp8_kernelIhfLNS_18Fp8KVCacheDataTypeE1EEEvPKT0_PT_fl
	.globl	_ZN4vllm18convert_fp8_kernelIhfLNS_18Fp8KVCacheDataTypeE1EEEvPKT0_PT_fl
	.p2align	8
	.type	_ZN4vllm18convert_fp8_kernelIhfLNS_18Fp8KVCacheDataTypeE1EEEvPKT0_PT_fl,@function
_ZN4vllm18convert_fp8_kernelIhfLNS_18Fp8KVCacheDataTypeE1EEEvPKT0_PT_fl: ; @_ZN4vllm18convert_fp8_kernelIhfLNS_18Fp8KVCacheDataTypeE1EEEvPKT0_PT_fl
; %bb.0:
	s_load_b64 s[2:3], s[0:1], 0x18
	v_mov_b32_e32 v1, 0
	s_mov_b32 s4, exec_lo
	s_waitcnt lgkmcnt(0)
	s_delay_alu instid0(VALU_DEP_1)
	v_cmpx_gt_i64_e64 s[2:3], v[0:1]
	s_cbranch_execz .LBB33_21
; %bb.1:
	s_clause 0x2
	s_load_b32 s8, s[0:1], 0x2c
	s_load_b128 s[4:7], s[0:1], 0x0
	s_load_b32 s1, s[0:1], 0x10
	s_mul_i32 s0, s15, s3
	s_mul_hi_u32 s9, s15, s2
	s_mul_i32 s10, s15, s2
	s_add_i32 s9, s9, s0
	s_mov_b32 s11, 0
	v_dual_mov_b32 v5, v1 :: v_dual_mov_b32 v4, v0
	s_waitcnt lgkmcnt(0)
	s_and_b32 s8, s8, 0xffff
	s_delay_alu instid0(SALU_CYCLE_1)
	v_add_nc_u32_e32 v2, s8, v0
	s_branch .LBB33_3
.LBB33_2:                               ;   in Loop: Header=BB33_3 Depth=1
	s_or_b32 exec_lo, exec_lo, s0
	v_ashrrev_i32_e32 v3, 31, v2
	v_add_co_u32 v8, s0, s6, v4
	s_delay_alu instid0(VALU_DEP_1) | instskip(NEXT) | instid1(VALU_DEP_3)
	v_add_co_ci_u32_e64 v9, s0, s7, v5, s0
	v_cmp_le_i64_e32 vcc_lo, s[2:3], v[2:3]
	v_dual_mov_b32 v5, v3 :: v_dual_mov_b32 v4, v2
	v_add_nc_u32_e32 v2, s8, v2
	global_store_b8 v[8:9], v7, off
	s_or_b32 s11, vcc_lo, s11
	s_delay_alu instid0(SALU_CYCLE_1)
	s_and_not1_b32 exec_lo, exec_lo, s11
	s_cbranch_execz .LBB33_21
.LBB33_3:                               ; =>This Inner Loop Header: Depth=1
	v_add_co_u32 v4, vcc_lo, v4, s10
	v_add_co_ci_u32_e32 v5, vcc_lo, s9, v5, vcc_lo
	s_mov_b32 s0, exec_lo
	v_mov_b32_e32 v10, v1
	s_delay_alu instid0(VALU_DEP_2) | instskip(NEXT) | instid1(VALU_DEP_1)
	v_lshlrev_b64 v[6:7], 2, v[4:5]
	v_add_co_u32 v6, vcc_lo, s4, v6
	s_delay_alu instid0(VALU_DEP_2) | instskip(SKIP_3) | instid1(VALU_DEP_1)
	v_add_co_ci_u32_e32 v7, vcc_lo, s5, v7, vcc_lo
	global_load_b32 v0, v[6:7], off
	s_waitcnt vmcnt(0)
	v_div_scale_f32 v3, null, s1, s1, v0
	v_rcp_f32_e32 v6, v3
	s_waitcnt_depctr 0xfff
	v_fma_f32 v7, -v3, v6, 1.0
	s_delay_alu instid0(VALU_DEP_1) | instskip(SKIP_1) | instid1(VALU_DEP_1)
	v_fmac_f32_e32 v6, v7, v6
	v_div_scale_f32 v7, vcc_lo, v0, s1, v0
	v_mul_f32_e32 v8, v7, v6
	s_delay_alu instid0(VALU_DEP_1) | instskip(NEXT) | instid1(VALU_DEP_1)
	v_fma_f32 v9, -v3, v8, v7
	v_fmac_f32_e32 v8, v9, v6
	s_delay_alu instid0(VALU_DEP_1) | instskip(NEXT) | instid1(VALU_DEP_1)
	v_fma_f32 v3, -v3, v8, v7
	v_div_fmas_f32 v3, v3, v6, v8
	s_delay_alu instid0(VALU_DEP_1) | instskip(NEXT) | instid1(VALU_DEP_1)
	v_div_fixup_f32 v6, v3, s1, v0
	v_lshrrev_b32_e32 v8, 24, v6
	v_and_b32_e32 v9, 0x7f800000, v6
	v_and_b32_e32 v0, 0x7fffff, v6
	s_delay_alu instid0(VALU_DEP_3) | instskip(NEXT) | instid1(VALU_DEP_1)
	v_and_b32_e32 v3, 0x80, v8
	v_or_b32_e32 v7, 0x7e, v3
	s_delay_alu instid0(VALU_DEP_4)
	v_cmpx_ne_u64_e32 0x7f800000, v[9:10]
	s_xor_b32 s12, exec_lo, s0
	s_cbranch_execz .LBB33_19
; %bb.4:                                ;   in Loop: Header=BB33_3 Depth=1
	v_dual_mov_b32 v9, v1 :: v_dual_and_b32 v8, 0x7fffffff, v6
	s_mov_b32 s0, exec_lo
	s_delay_alu instid0(VALU_DEP_1)
	v_cmpx_gt_u64_e32 0x43e00001, v[8:9]
	s_xor_b32 s13, exec_lo, s0
	s_cbranch_execz .LBB33_18
; %bb.5:                                ;   in Loop: Header=BB33_3 Depth=1
	v_mov_b32_e32 v7, 0
	s_mov_b32 s14, exec_lo
	v_cmpx_ne_u32_e32 0, v6
	s_cbranch_execz .LBB33_17
; %bb.6:                                ;   in Loop: Header=BB33_3 Depth=1
	v_bfe_u32 v10, v6, 23, 8
	v_or_b32_e32 v8, 0x800000, v0
	s_delay_alu instid0(VALU_DEP_2) | instskip(SKIP_1) | instid1(VALU_DEP_2)
	v_sub_nc_u32_e32 v6, 0x79, v10
	v_cmp_gt_u32_e32 vcc_lo, 0x7a, v10
	v_cndmask_b32_e32 v6, 0, v6, vcc_lo
	v_cmp_eq_u32_e32 vcc_lo, 0, v10
	s_delay_alu instid0(VALU_DEP_2) | instskip(SKIP_1) | instid1(VALU_DEP_2)
	v_cndmask_b32_e64 v11, v6, 0x78, vcc_lo
	v_cndmask_b32_e32 v0, v8, v0, vcc_lo
	v_add_nc_u32_e32 v6, 20, v11
	v_add_nc_u32_e32 v8, 19, v11
	s_delay_alu instid0(VALU_DEP_2) | instskip(NEXT) | instid1(VALU_DEP_2)
	v_lshlrev_b64 v[6:7], v6, -1
	v_lshlrev_b64 v[8:9], v8, 1
	s_delay_alu instid0(VALU_DEP_2) | instskip(NEXT) | instid1(VALU_DEP_3)
	v_not_b32_e32 v7, v7
	v_not_b32_e32 v6, v6
	s_delay_alu instid0(VALU_DEP_2) | instskip(NEXT) | instid1(VALU_DEP_2)
	v_and_b32_e32 v13, 0, v7
	v_and_b32_e32 v12, v0, v6
	v_lshrrev_b64 v[6:7], v11, v[0:1]
	s_delay_alu instid0(VALU_DEP_2) | instskip(NEXT) | instid1(VALU_DEP_2)
	v_cmp_eq_u64_e64 s0, v[12:13], v[8:9]
	v_dual_mov_b32 v9, v7 :: v_dual_mov_b32 v8, v6
	s_delay_alu instid0(VALU_DEP_2)
	s_and_saveexec_b32 s15, s0
; %bb.7:                                ;   in Loop: Header=BB33_3 Depth=1
	v_bfe_u32 v0, v6, 20, 1
	s_delay_alu instid0(VALU_DEP_1) | instskip(NEXT) | instid1(VALU_DEP_1)
	v_add_co_u32 v0, s0, v6, v0
	v_add_co_u32 v8, s0, v0, -1
; %bb.8:                                ;   in Loop: Header=BB33_3 Depth=1
	s_or_b32 exec_lo, exec_lo, s15
	v_add_nc_u32_e32 v0, 0xffffff81, v10
	v_lshrrev_b32_e32 v9, 23, v6
	s_mov_b32 s0, exec_lo
	s_delay_alu instid0(VALU_DEP_2) | instskip(NEXT) | instid1(VALU_DEP_1)
	v_cndmask_b32_e64 v0, v0, 0xffffff82, vcc_lo
	v_add3_u32 v9, v11, v0, v9
	v_and_b32_e32 v0, 0xfffff, v8
	s_delay_alu instid0(VALU_DEP_2) | instskip(NEXT) | instid1(VALU_DEP_2)
	v_add_nc_u32_e32 v8, 6, v9
	v_add_co_u32 v6, vcc_lo, v0, v6
	v_add_co_ci_u32_e32 v7, vcc_lo, 0, v7, vcc_lo
                                        ; implicit-def: $vgpr0
	s_delay_alu instid0(VALU_DEP_3)
	v_cmpx_ne_u32_e32 0, v8
	s_xor_b32 s0, exec_lo, s0
; %bb.9:                                ;   in Loop: Header=BB33_3 Depth=1
	s_delay_alu instid0(VALU_DEP_2) | instskip(SKIP_1) | instid1(VALU_DEP_1)
	v_cmp_lt_u64_e32 vcc_lo, 0xffffff, v[6:7]
	v_add_nc_u32_e32 v0, 7, v9
	v_cndmask_b32_e32 v0, v8, v0, vcc_lo
	v_cndmask_b32_e64 v8, 0, 1, vcc_lo
	s_delay_alu instid0(VALU_DEP_1)
	v_lshrrev_b64 v[6:7], v8, v[6:7]
; %bb.10:                               ;   in Loop: Header=BB33_3 Depth=1
	s_and_not1_saveexec_b32 s0, s0
; %bb.11:                               ;   in Loop: Header=BB33_3 Depth=1
	s_delay_alu instid0(VALU_DEP_1)
	v_bfe_u32 v0, v6, 23, 1
; %bb.12:                               ;   in Loop: Header=BB33_3 Depth=1
	s_or_b32 exec_lo, exec_lo, s0
	s_delay_alu instid0(VALU_DEP_2) | instskip(NEXT) | instid1(VALU_DEP_2)
	v_lshrrev_b64 v[6:7], 20, v[6:7]
	v_cmp_gt_i32_e32 vcc_lo, 16, v0
	v_cmp_ne_u32_e64 s0, 0, v0
	s_delay_alu instid0(VALU_DEP_3) | instskip(NEXT) | instid1(VALU_DEP_1)
	v_dual_cndmask_b32 v7, 0, v7 :: v_dual_cndmask_b32 v6, 7, v6
	v_cmp_ne_u64_e32 vcc_lo, 0, v[6:7]
                                        ; implicit-def: $vgpr7
	s_delay_alu instid0(VALU_DEP_3) | instskip(NEXT) | instid1(SALU_CYCLE_1)
	s_or_b32 s0, s0, vcc_lo
	s_and_saveexec_b32 s15, s0
	s_delay_alu instid0(SALU_CYCLE_1)
	s_xor_b32 s0, exec_lo, s15
; %bb.13:                               ;   in Loop: Header=BB33_3 Depth=1
	v_min_i32_e32 v0, 15, v0
	s_delay_alu instid0(VALU_DEP_1) | instskip(NEXT) | instid1(VALU_DEP_1)
	v_lshl_or_b32 v0, v0, 3, v3
                                        ; implicit-def: $vgpr3
	v_and_or_b32 v7, v6, 7, v0
; %bb.14:                               ;   in Loop: Header=BB33_3 Depth=1
	s_and_not1_saveexec_b32 s0, s0
; %bb.15:                               ;   in Loop: Header=BB33_3 Depth=1
	v_mov_b32_e32 v7, v3
; %bb.16:                               ;   in Loop: Header=BB33_3 Depth=1
	s_or_b32 exec_lo, exec_lo, s0
.LBB33_17:                              ;   in Loop: Header=BB33_3 Depth=1
	s_delay_alu instid0(SALU_CYCLE_1)
	s_or_b32 exec_lo, exec_lo, s14
.LBB33_18:                              ;   in Loop: Header=BB33_3 Depth=1
	s_and_not1_saveexec_b32 s0, s13
	s_delay_alu instid0(SALU_CYCLE_1)
	s_or_b32 exec_lo, exec_lo, s0
                                        ; implicit-def: $vgpr8
.LBB33_19:                              ;   in Loop: Header=BB33_3 Depth=1
	s_and_not1_saveexec_b32 s0, s12
	s_cbranch_execz .LBB33_2
; %bb.20:                               ;   in Loop: Header=BB33_3 Depth=1
	v_cmp_eq_u64_e32 vcc_lo, 0, v[0:1]
	v_or_b32_e32 v3, 0x7f, v8
	s_delay_alu instid0(VALU_DEP_1)
	v_cndmask_b32_e32 v7, v3, v7, vcc_lo
	s_branch .LBB33_2
.LBB33_21:
	s_nop 0
	s_sendmsg sendmsg(MSG_DEALLOC_VGPRS)
	s_endpgm
	.section	.rodata,"a",@progbits
	.p2align	6, 0x0
	.amdhsa_kernel _ZN4vllm18convert_fp8_kernelIhfLNS_18Fp8KVCacheDataTypeE1EEEvPKT0_PT_fl
		.amdhsa_group_segment_fixed_size 0
		.amdhsa_private_segment_fixed_size 0
		.amdhsa_kernarg_size 288
		.amdhsa_user_sgpr_count 15
		.amdhsa_user_sgpr_dispatch_ptr 0
		.amdhsa_user_sgpr_queue_ptr 0
		.amdhsa_user_sgpr_kernarg_segment_ptr 1
		.amdhsa_user_sgpr_dispatch_id 0
		.amdhsa_user_sgpr_private_segment_size 0
		.amdhsa_wavefront_size32 1
		.amdhsa_uses_dynamic_stack 0
		.amdhsa_enable_private_segment 0
		.amdhsa_system_sgpr_workgroup_id_x 1
		.amdhsa_system_sgpr_workgroup_id_y 0
		.amdhsa_system_sgpr_workgroup_id_z 0
		.amdhsa_system_sgpr_workgroup_info 0
		.amdhsa_system_vgpr_workitem_id 0
		.amdhsa_next_free_vgpr 14
		.amdhsa_next_free_sgpr 16
		.amdhsa_reserve_vcc 1
		.amdhsa_float_round_mode_32 0
		.amdhsa_float_round_mode_16_64 0
		.amdhsa_float_denorm_mode_32 3
		.amdhsa_float_denorm_mode_16_64 3
		.amdhsa_dx10_clamp 1
		.amdhsa_ieee_mode 1
		.amdhsa_fp16_overflow 0
		.amdhsa_workgroup_processor_mode 1
		.amdhsa_memory_ordered 1
		.amdhsa_forward_progress 0
		.amdhsa_shared_vgpr_count 0
		.amdhsa_exception_fp_ieee_invalid_op 0
		.amdhsa_exception_fp_denorm_src 0
		.amdhsa_exception_fp_ieee_div_zero 0
		.amdhsa_exception_fp_ieee_overflow 0
		.amdhsa_exception_fp_ieee_underflow 0
		.amdhsa_exception_fp_ieee_inexact 0
		.amdhsa_exception_int_div_zero 0
	.end_amdhsa_kernel
	.section	.text._ZN4vllm18convert_fp8_kernelIhfLNS_18Fp8KVCacheDataTypeE1EEEvPKT0_PT_fl,"axG",@progbits,_ZN4vllm18convert_fp8_kernelIhfLNS_18Fp8KVCacheDataTypeE1EEEvPKT0_PT_fl,comdat
.Lfunc_end33:
	.size	_ZN4vllm18convert_fp8_kernelIhfLNS_18Fp8KVCacheDataTypeE1EEEvPKT0_PT_fl, .Lfunc_end33-_ZN4vllm18convert_fp8_kernelIhfLNS_18Fp8KVCacheDataTypeE1EEEvPKT0_PT_fl
                                        ; -- End function
	.section	.AMDGPU.csdata,"",@progbits
; Kernel info:
; codeLenInByte = 932
; NumSgprs: 18
; NumVgprs: 14
; ScratchSize: 0
; MemoryBound: 0
; FloatMode: 240
; IeeeMode: 1
; LDSByteSize: 0 bytes/workgroup (compile time only)
; SGPRBlocks: 2
; VGPRBlocks: 1
; NumSGPRsForWavesPerEU: 18
; NumVGPRsForWavesPerEU: 14
; Occupancy: 16
; WaveLimiterHint : 0
; COMPUTE_PGM_RSRC2:SCRATCH_EN: 0
; COMPUTE_PGM_RSRC2:USER_SGPR: 15
; COMPUTE_PGM_RSRC2:TRAP_HANDLER: 0
; COMPUTE_PGM_RSRC2:TGID_X_EN: 1
; COMPUTE_PGM_RSRC2:TGID_Y_EN: 0
; COMPUTE_PGM_RSRC2:TGID_Z_EN: 0
; COMPUTE_PGM_RSRC2:TIDIG_COMP_CNT: 0
	.section	.text._ZN4vllm18convert_fp8_kernelIhtLNS_18Fp8KVCacheDataTypeE1EEEvPKT0_PT_fl,"axG",@progbits,_ZN4vllm18convert_fp8_kernelIhtLNS_18Fp8KVCacheDataTypeE1EEEvPKT0_PT_fl,comdat
	.protected	_ZN4vllm18convert_fp8_kernelIhtLNS_18Fp8KVCacheDataTypeE1EEEvPKT0_PT_fl ; -- Begin function _ZN4vllm18convert_fp8_kernelIhtLNS_18Fp8KVCacheDataTypeE1EEEvPKT0_PT_fl
	.globl	_ZN4vllm18convert_fp8_kernelIhtLNS_18Fp8KVCacheDataTypeE1EEEvPKT0_PT_fl
	.p2align	8
	.type	_ZN4vllm18convert_fp8_kernelIhtLNS_18Fp8KVCacheDataTypeE1EEEvPKT0_PT_fl,@function
_ZN4vllm18convert_fp8_kernelIhtLNS_18Fp8KVCacheDataTypeE1EEEvPKT0_PT_fl: ; @_ZN4vllm18convert_fp8_kernelIhtLNS_18Fp8KVCacheDataTypeE1EEEvPKT0_PT_fl
; %bb.0:
	s_load_b64 s[2:3], s[0:1], 0x18
	v_mov_b32_e32 v1, 0
	s_mov_b32 s4, exec_lo
	s_waitcnt lgkmcnt(0)
	s_delay_alu instid0(VALU_DEP_1)
	v_cmpx_gt_i64_e64 s[2:3], v[0:1]
	s_cbranch_execz .LBB34_21
; %bb.1:
	s_clause 0x2
	s_load_b32 s8, s[0:1], 0x2c
	s_load_b128 s[4:7], s[0:1], 0x0
	s_load_b32 s1, s[0:1], 0x10
	s_mul_i32 s0, s15, s3
	s_mul_hi_u32 s9, s15, s2
	s_mul_i32 s10, s15, s2
	s_add_i32 s9, s9, s0
	s_mov_b32 s11, 0
	v_dual_mov_b32 v5, v1 :: v_dual_mov_b32 v4, v0
	s_waitcnt lgkmcnt(0)
	s_and_b32 s8, s8, 0xffff
	s_delay_alu instid0(SALU_CYCLE_1)
	v_add_nc_u32_e32 v2, s8, v0
	s_branch .LBB34_3
.LBB34_2:                               ;   in Loop: Header=BB34_3 Depth=1
	s_or_b32 exec_lo, exec_lo, s0
	v_ashrrev_i32_e32 v3, 31, v2
	v_add_co_u32 v8, s0, s6, v4
	s_delay_alu instid0(VALU_DEP_1) | instskip(NEXT) | instid1(VALU_DEP_3)
	v_add_co_ci_u32_e64 v9, s0, s7, v5, s0
	v_cmp_le_i64_e32 vcc_lo, s[2:3], v[2:3]
	v_dual_mov_b32 v5, v3 :: v_dual_mov_b32 v4, v2
	v_add_nc_u32_e32 v2, s8, v2
	global_store_b8 v[8:9], v7, off
	s_or_b32 s11, vcc_lo, s11
	s_delay_alu instid0(SALU_CYCLE_1)
	s_and_not1_b32 exec_lo, exec_lo, s11
	s_cbranch_execz .LBB34_21
.LBB34_3:                               ; =>This Inner Loop Header: Depth=1
	v_add_co_u32 v4, vcc_lo, v4, s10
	v_add_co_ci_u32_e32 v5, vcc_lo, s9, v5, vcc_lo
	s_mov_b32 s0, exec_lo
	v_mov_b32_e32 v10, v1
	s_delay_alu instid0(VALU_DEP_2) | instskip(NEXT) | instid1(VALU_DEP_1)
	v_lshlrev_b64 v[6:7], 1, v[4:5]
	v_add_co_u32 v6, vcc_lo, s4, v6
	s_delay_alu instid0(VALU_DEP_2) | instskip(SKIP_3) | instid1(VALU_DEP_1)
	v_add_co_ci_u32_e32 v7, vcc_lo, s5, v7, vcc_lo
	global_load_u16 v0, v[6:7], off
	s_waitcnt vmcnt(0)
	v_cvt_f32_f16_e32 v0, v0
	v_div_scale_f32 v3, null, s1, s1, v0
	s_delay_alu instid0(VALU_DEP_1) | instskip(SKIP_2) | instid1(VALU_DEP_1)
	v_rcp_f32_e32 v6, v3
	s_waitcnt_depctr 0xfff
	v_fma_f32 v7, -v3, v6, 1.0
	v_fmac_f32_e32 v6, v7, v6
	v_div_scale_f32 v7, vcc_lo, v0, s1, v0
	s_delay_alu instid0(VALU_DEP_1) | instskip(NEXT) | instid1(VALU_DEP_1)
	v_mul_f32_e32 v8, v7, v6
	v_fma_f32 v9, -v3, v8, v7
	s_delay_alu instid0(VALU_DEP_1) | instskip(NEXT) | instid1(VALU_DEP_1)
	v_fmac_f32_e32 v8, v9, v6
	v_fma_f32 v3, -v3, v8, v7
	s_delay_alu instid0(VALU_DEP_1) | instskip(NEXT) | instid1(VALU_DEP_1)
	v_div_fmas_f32 v3, v3, v6, v8
	v_div_fixup_f32 v0, v3, s1, v0
	s_delay_alu instid0(VALU_DEP_1) | instskip(NEXT) | instid1(VALU_DEP_1)
	v_cvt_f16_f32_e32 v0, v0
	v_cvt_f32_f16_e32 v6, v0
	s_delay_alu instid0(VALU_DEP_1) | instskip(SKIP_2) | instid1(VALU_DEP_3)
	v_lshrrev_b32_e32 v8, 24, v6
	v_and_b32_e32 v9, 0x7f800000, v6
	v_and_b32_e32 v0, 0x7fffff, v6
	;; [unrolled: 1-line block ×3, first 2 shown]
	s_delay_alu instid0(VALU_DEP_1) | instskip(NEXT) | instid1(VALU_DEP_4)
	v_or_b32_e32 v7, 0x7e, v3
	v_cmpx_ne_u64_e32 0x7f800000, v[9:10]
	s_xor_b32 s12, exec_lo, s0
	s_cbranch_execz .LBB34_19
; %bb.4:                                ;   in Loop: Header=BB34_3 Depth=1
	v_dual_mov_b32 v9, v1 :: v_dual_and_b32 v8, 0x7fffffff, v6
	s_mov_b32 s0, exec_lo
	s_delay_alu instid0(VALU_DEP_1)
	v_cmpx_gt_u64_e32 0x43e00001, v[8:9]
	s_xor_b32 s13, exec_lo, s0
	s_cbranch_execz .LBB34_18
; %bb.5:                                ;   in Loop: Header=BB34_3 Depth=1
	v_mov_b32_e32 v7, 0
	s_mov_b32 s14, exec_lo
	v_cmpx_ne_u32_e32 0, v6
	s_cbranch_execz .LBB34_17
; %bb.6:                                ;   in Loop: Header=BB34_3 Depth=1
	v_bfe_u32 v10, v6, 23, 8
	v_or_b32_e32 v8, 0x800000, v0
	s_delay_alu instid0(VALU_DEP_2) | instskip(SKIP_1) | instid1(VALU_DEP_2)
	v_sub_nc_u32_e32 v6, 0x79, v10
	v_cmp_gt_u32_e32 vcc_lo, 0x7a, v10
	v_cndmask_b32_e32 v6, 0, v6, vcc_lo
	v_cmp_eq_u32_e32 vcc_lo, 0, v10
	s_delay_alu instid0(VALU_DEP_2) | instskip(SKIP_1) | instid1(VALU_DEP_2)
	v_cndmask_b32_e64 v11, v6, 0x78, vcc_lo
	v_cndmask_b32_e32 v0, v8, v0, vcc_lo
	v_add_nc_u32_e32 v6, 20, v11
	v_add_nc_u32_e32 v8, 19, v11
	s_delay_alu instid0(VALU_DEP_2) | instskip(NEXT) | instid1(VALU_DEP_2)
	v_lshlrev_b64 v[6:7], v6, -1
	v_lshlrev_b64 v[8:9], v8, 1
	s_delay_alu instid0(VALU_DEP_2) | instskip(NEXT) | instid1(VALU_DEP_3)
	v_not_b32_e32 v7, v7
	v_not_b32_e32 v6, v6
	s_delay_alu instid0(VALU_DEP_2) | instskip(NEXT) | instid1(VALU_DEP_2)
	v_and_b32_e32 v13, 0, v7
	v_and_b32_e32 v12, v0, v6
	v_lshrrev_b64 v[6:7], v11, v[0:1]
	s_delay_alu instid0(VALU_DEP_2) | instskip(NEXT) | instid1(VALU_DEP_2)
	v_cmp_eq_u64_e64 s0, v[12:13], v[8:9]
	v_dual_mov_b32 v9, v7 :: v_dual_mov_b32 v8, v6
	s_delay_alu instid0(VALU_DEP_2)
	s_and_saveexec_b32 s15, s0
; %bb.7:                                ;   in Loop: Header=BB34_3 Depth=1
	v_bfe_u32 v0, v6, 20, 1
	s_delay_alu instid0(VALU_DEP_1) | instskip(NEXT) | instid1(VALU_DEP_1)
	v_add_co_u32 v0, s0, v6, v0
	v_add_co_u32 v8, s0, v0, -1
; %bb.8:                                ;   in Loop: Header=BB34_3 Depth=1
	s_or_b32 exec_lo, exec_lo, s15
	v_add_nc_u32_e32 v0, 0xffffff81, v10
	v_lshrrev_b32_e32 v9, 23, v6
	s_mov_b32 s0, exec_lo
	s_delay_alu instid0(VALU_DEP_2) | instskip(NEXT) | instid1(VALU_DEP_1)
	v_cndmask_b32_e64 v0, v0, 0xffffff82, vcc_lo
	v_add3_u32 v9, v11, v0, v9
	v_and_b32_e32 v0, 0xfffff, v8
	s_delay_alu instid0(VALU_DEP_2) | instskip(NEXT) | instid1(VALU_DEP_2)
	v_add_nc_u32_e32 v8, 6, v9
	v_add_co_u32 v6, vcc_lo, v0, v6
	v_add_co_ci_u32_e32 v7, vcc_lo, 0, v7, vcc_lo
                                        ; implicit-def: $vgpr0
	s_delay_alu instid0(VALU_DEP_3)
	v_cmpx_ne_u32_e32 0, v8
	s_xor_b32 s0, exec_lo, s0
; %bb.9:                                ;   in Loop: Header=BB34_3 Depth=1
	s_delay_alu instid0(VALU_DEP_2) | instskip(SKIP_1) | instid1(VALU_DEP_1)
	v_cmp_lt_u64_e32 vcc_lo, 0xffffff, v[6:7]
	v_add_nc_u32_e32 v0, 7, v9
	v_cndmask_b32_e32 v0, v8, v0, vcc_lo
	v_cndmask_b32_e64 v8, 0, 1, vcc_lo
	s_delay_alu instid0(VALU_DEP_1)
	v_lshrrev_b64 v[6:7], v8, v[6:7]
; %bb.10:                               ;   in Loop: Header=BB34_3 Depth=1
	s_and_not1_saveexec_b32 s0, s0
; %bb.11:                               ;   in Loop: Header=BB34_3 Depth=1
	s_delay_alu instid0(VALU_DEP_1)
	v_bfe_u32 v0, v6, 23, 1
; %bb.12:                               ;   in Loop: Header=BB34_3 Depth=1
	s_or_b32 exec_lo, exec_lo, s0
	s_delay_alu instid0(VALU_DEP_2) | instskip(NEXT) | instid1(VALU_DEP_2)
	v_lshrrev_b64 v[6:7], 20, v[6:7]
	v_cmp_gt_i32_e32 vcc_lo, 16, v0
	v_cmp_ne_u32_e64 s0, 0, v0
	s_delay_alu instid0(VALU_DEP_3) | instskip(NEXT) | instid1(VALU_DEP_1)
	v_dual_cndmask_b32 v7, 0, v7 :: v_dual_cndmask_b32 v6, 7, v6
	v_cmp_ne_u64_e32 vcc_lo, 0, v[6:7]
                                        ; implicit-def: $vgpr7
	s_delay_alu instid0(VALU_DEP_3) | instskip(NEXT) | instid1(SALU_CYCLE_1)
	s_or_b32 s0, s0, vcc_lo
	s_and_saveexec_b32 s15, s0
	s_delay_alu instid0(SALU_CYCLE_1)
	s_xor_b32 s0, exec_lo, s15
; %bb.13:                               ;   in Loop: Header=BB34_3 Depth=1
	v_min_i32_e32 v0, 15, v0
	s_delay_alu instid0(VALU_DEP_1) | instskip(NEXT) | instid1(VALU_DEP_1)
	v_lshl_or_b32 v0, v0, 3, v3
                                        ; implicit-def: $vgpr3
	v_and_or_b32 v7, v6, 7, v0
; %bb.14:                               ;   in Loop: Header=BB34_3 Depth=1
	s_and_not1_saveexec_b32 s0, s0
; %bb.15:                               ;   in Loop: Header=BB34_3 Depth=1
	v_mov_b32_e32 v7, v3
; %bb.16:                               ;   in Loop: Header=BB34_3 Depth=1
	s_or_b32 exec_lo, exec_lo, s0
.LBB34_17:                              ;   in Loop: Header=BB34_3 Depth=1
	s_delay_alu instid0(SALU_CYCLE_1)
	s_or_b32 exec_lo, exec_lo, s14
.LBB34_18:                              ;   in Loop: Header=BB34_3 Depth=1
	s_and_not1_saveexec_b32 s0, s13
	s_delay_alu instid0(SALU_CYCLE_1)
	s_or_b32 exec_lo, exec_lo, s0
                                        ; implicit-def: $vgpr8
.LBB34_19:                              ;   in Loop: Header=BB34_3 Depth=1
	s_and_not1_saveexec_b32 s0, s12
	s_cbranch_execz .LBB34_2
; %bb.20:                               ;   in Loop: Header=BB34_3 Depth=1
	v_cmp_eq_u64_e32 vcc_lo, 0, v[0:1]
	v_or_b32_e32 v3, 0x7f, v8
	s_delay_alu instid0(VALU_DEP_1)
	v_cndmask_b32_e32 v7, v3, v7, vcc_lo
	s_branch .LBB34_2
.LBB34_21:
	s_nop 0
	s_sendmsg sendmsg(MSG_DEALLOC_VGPRS)
	s_endpgm
	.section	.rodata,"a",@progbits
	.p2align	6, 0x0
	.amdhsa_kernel _ZN4vllm18convert_fp8_kernelIhtLNS_18Fp8KVCacheDataTypeE1EEEvPKT0_PT_fl
		.amdhsa_group_segment_fixed_size 0
		.amdhsa_private_segment_fixed_size 0
		.amdhsa_kernarg_size 288
		.amdhsa_user_sgpr_count 15
		.amdhsa_user_sgpr_dispatch_ptr 0
		.amdhsa_user_sgpr_queue_ptr 0
		.amdhsa_user_sgpr_kernarg_segment_ptr 1
		.amdhsa_user_sgpr_dispatch_id 0
		.amdhsa_user_sgpr_private_segment_size 0
		.amdhsa_wavefront_size32 1
		.amdhsa_uses_dynamic_stack 0
		.amdhsa_enable_private_segment 0
		.amdhsa_system_sgpr_workgroup_id_x 1
		.amdhsa_system_sgpr_workgroup_id_y 0
		.amdhsa_system_sgpr_workgroup_id_z 0
		.amdhsa_system_sgpr_workgroup_info 0
		.amdhsa_system_vgpr_workitem_id 0
		.amdhsa_next_free_vgpr 14
		.amdhsa_next_free_sgpr 16
		.amdhsa_reserve_vcc 1
		.amdhsa_float_round_mode_32 0
		.amdhsa_float_round_mode_16_64 0
		.amdhsa_float_denorm_mode_32 3
		.amdhsa_float_denorm_mode_16_64 3
		.amdhsa_dx10_clamp 1
		.amdhsa_ieee_mode 1
		.amdhsa_fp16_overflow 0
		.amdhsa_workgroup_processor_mode 1
		.amdhsa_memory_ordered 1
		.amdhsa_forward_progress 0
		.amdhsa_shared_vgpr_count 0
		.amdhsa_exception_fp_ieee_invalid_op 0
		.amdhsa_exception_fp_denorm_src 0
		.amdhsa_exception_fp_ieee_div_zero 0
		.amdhsa_exception_fp_ieee_overflow 0
		.amdhsa_exception_fp_ieee_underflow 0
		.amdhsa_exception_fp_ieee_inexact 0
		.amdhsa_exception_int_div_zero 0
	.end_amdhsa_kernel
	.section	.text._ZN4vllm18convert_fp8_kernelIhtLNS_18Fp8KVCacheDataTypeE1EEEvPKT0_PT_fl,"axG",@progbits,_ZN4vllm18convert_fp8_kernelIhtLNS_18Fp8KVCacheDataTypeE1EEEvPKT0_PT_fl,comdat
.Lfunc_end34:
	.size	_ZN4vllm18convert_fp8_kernelIhtLNS_18Fp8KVCacheDataTypeE1EEEvPKT0_PT_fl, .Lfunc_end34-_ZN4vllm18convert_fp8_kernelIhtLNS_18Fp8KVCacheDataTypeE1EEEvPKT0_PT_fl
                                        ; -- End function
	.section	.AMDGPU.csdata,"",@progbits
; Kernel info:
; codeLenInByte = 948
; NumSgprs: 18
; NumVgprs: 14
; ScratchSize: 0
; MemoryBound: 0
; FloatMode: 240
; IeeeMode: 1
; LDSByteSize: 0 bytes/workgroup (compile time only)
; SGPRBlocks: 2
; VGPRBlocks: 1
; NumSGPRsForWavesPerEU: 18
; NumVGPRsForWavesPerEU: 14
; Occupancy: 16
; WaveLimiterHint : 0
; COMPUTE_PGM_RSRC2:SCRATCH_EN: 0
; COMPUTE_PGM_RSRC2:USER_SGPR: 15
; COMPUTE_PGM_RSRC2:TRAP_HANDLER: 0
; COMPUTE_PGM_RSRC2:TGID_X_EN: 1
; COMPUTE_PGM_RSRC2:TGID_Y_EN: 0
; COMPUTE_PGM_RSRC2:TGID_Z_EN: 0
; COMPUTE_PGM_RSRC2:TIDIG_COMP_CNT: 0
	.section	.text._ZN4vllm18convert_fp8_kernelIh14__hip_bfloat16LNS_18Fp8KVCacheDataTypeE1EEEvPKT0_PT_fl,"axG",@progbits,_ZN4vllm18convert_fp8_kernelIh14__hip_bfloat16LNS_18Fp8KVCacheDataTypeE1EEEvPKT0_PT_fl,comdat
	.protected	_ZN4vllm18convert_fp8_kernelIh14__hip_bfloat16LNS_18Fp8KVCacheDataTypeE1EEEvPKT0_PT_fl ; -- Begin function _ZN4vllm18convert_fp8_kernelIh14__hip_bfloat16LNS_18Fp8KVCacheDataTypeE1EEEvPKT0_PT_fl
	.globl	_ZN4vllm18convert_fp8_kernelIh14__hip_bfloat16LNS_18Fp8KVCacheDataTypeE1EEEvPKT0_PT_fl
	.p2align	8
	.type	_ZN4vllm18convert_fp8_kernelIh14__hip_bfloat16LNS_18Fp8KVCacheDataTypeE1EEEvPKT0_PT_fl,@function
_ZN4vllm18convert_fp8_kernelIh14__hip_bfloat16LNS_18Fp8KVCacheDataTypeE1EEEvPKT0_PT_fl: ; @_ZN4vllm18convert_fp8_kernelIh14__hip_bfloat16LNS_18Fp8KVCacheDataTypeE1EEEvPKT0_PT_fl
; %bb.0:
	s_load_b64 s[2:3], s[0:1], 0x18
	v_mov_b32_e32 v1, 0
	s_mov_b32 s4, exec_lo
	s_waitcnt lgkmcnt(0)
	s_delay_alu instid0(VALU_DEP_1)
	v_cmpx_gt_i64_e64 s[2:3], v[0:1]
	s_cbranch_execz .LBB35_21
; %bb.1:
	s_clause 0x2
	s_load_b32 s8, s[0:1], 0x2c
	s_load_b128 s[4:7], s[0:1], 0x0
	s_load_b32 s1, s[0:1], 0x10
	s_mul_i32 s0, s15, s3
	s_mul_hi_u32 s9, s15, s2
	s_mul_i32 s10, s15, s2
	s_add_i32 s9, s9, s0
	s_mov_b32 s11, 0
	v_dual_mov_b32 v5, v1 :: v_dual_mov_b32 v4, v0
	s_waitcnt lgkmcnt(0)
	s_and_b32 s8, s8, 0xffff
	s_delay_alu instid0(SALU_CYCLE_1)
	v_add_nc_u32_e32 v2, s8, v0
	s_branch .LBB35_3
.LBB35_2:                               ;   in Loop: Header=BB35_3 Depth=1
	s_or_b32 exec_lo, exec_lo, s0
	v_ashrrev_i32_e32 v3, 31, v2
	v_add_co_u32 v8, s0, s6, v4
	s_delay_alu instid0(VALU_DEP_1) | instskip(NEXT) | instid1(VALU_DEP_3)
	v_add_co_ci_u32_e64 v9, s0, s7, v5, s0
	v_cmp_le_i64_e32 vcc_lo, s[2:3], v[2:3]
	v_dual_mov_b32 v5, v3 :: v_dual_mov_b32 v4, v2
	v_add_nc_u32_e32 v2, s8, v2
	global_store_b8 v[8:9], v7, off
	s_or_b32 s11, vcc_lo, s11
	s_delay_alu instid0(SALU_CYCLE_1)
	s_and_not1_b32 exec_lo, exec_lo, s11
	s_cbranch_execz .LBB35_21
.LBB35_3:                               ; =>This Inner Loop Header: Depth=1
	v_add_co_u32 v4, vcc_lo, v4, s10
	v_add_co_ci_u32_e32 v5, vcc_lo, s9, v5, vcc_lo
	s_mov_b32 s0, exec_lo
	v_mov_b32_e32 v10, v1
	s_delay_alu instid0(VALU_DEP_2) | instskip(NEXT) | instid1(VALU_DEP_1)
	v_lshlrev_b64 v[6:7], 1, v[4:5]
	v_add_co_u32 v6, vcc_lo, s4, v6
	s_delay_alu instid0(VALU_DEP_2) | instskip(SKIP_3) | instid1(VALU_DEP_1)
	v_add_co_ci_u32_e32 v7, vcc_lo, s5, v7, vcc_lo
	global_load_u16 v0, v[6:7], off
	s_waitcnt vmcnt(0)
	v_lshlrev_b32_e32 v0, 16, v0
	v_div_scale_f32 v3, null, s1, s1, v0
	s_delay_alu instid0(VALU_DEP_1) | instskip(SKIP_2) | instid1(VALU_DEP_1)
	v_rcp_f32_e32 v6, v3
	s_waitcnt_depctr 0xfff
	v_fma_f32 v7, -v3, v6, 1.0
	v_fmac_f32_e32 v6, v7, v6
	v_div_scale_f32 v7, vcc_lo, v0, s1, v0
	s_delay_alu instid0(VALU_DEP_1) | instskip(NEXT) | instid1(VALU_DEP_1)
	v_mul_f32_e32 v8, v7, v6
	v_fma_f32 v9, -v3, v8, v7
	s_delay_alu instid0(VALU_DEP_1) | instskip(NEXT) | instid1(VALU_DEP_1)
	v_fmac_f32_e32 v8, v9, v6
	v_fma_f32 v3, -v3, v8, v7
	s_delay_alu instid0(VALU_DEP_1) | instskip(NEXT) | instid1(VALU_DEP_1)
	v_div_fmas_f32 v3, v3, v6, v8
	v_div_fixup_f32 v6, v3, s1, v0
	s_delay_alu instid0(VALU_DEP_1) | instskip(SKIP_2) | instid1(VALU_DEP_3)
	v_lshrrev_b32_e32 v8, 24, v6
	v_and_b32_e32 v9, 0x7f800000, v6
	v_and_b32_e32 v0, 0x7fffff, v6
	;; [unrolled: 1-line block ×3, first 2 shown]
	s_delay_alu instid0(VALU_DEP_1) | instskip(NEXT) | instid1(VALU_DEP_4)
	v_or_b32_e32 v7, 0x7e, v3
	v_cmpx_ne_u64_e32 0x7f800000, v[9:10]
	s_xor_b32 s12, exec_lo, s0
	s_cbranch_execz .LBB35_19
; %bb.4:                                ;   in Loop: Header=BB35_3 Depth=1
	v_dual_mov_b32 v9, v1 :: v_dual_and_b32 v8, 0x7fffffff, v6
	s_mov_b32 s0, exec_lo
	s_delay_alu instid0(VALU_DEP_1)
	v_cmpx_gt_u64_e32 0x43e00001, v[8:9]
	s_xor_b32 s13, exec_lo, s0
	s_cbranch_execz .LBB35_18
; %bb.5:                                ;   in Loop: Header=BB35_3 Depth=1
	v_mov_b32_e32 v7, 0
	s_mov_b32 s14, exec_lo
	v_cmpx_ne_u32_e32 0, v6
	s_cbranch_execz .LBB35_17
; %bb.6:                                ;   in Loop: Header=BB35_3 Depth=1
	v_bfe_u32 v10, v6, 23, 8
	v_or_b32_e32 v8, 0x800000, v0
	s_delay_alu instid0(VALU_DEP_2) | instskip(SKIP_1) | instid1(VALU_DEP_2)
	v_sub_nc_u32_e32 v6, 0x79, v10
	v_cmp_gt_u32_e32 vcc_lo, 0x7a, v10
	v_cndmask_b32_e32 v6, 0, v6, vcc_lo
	v_cmp_eq_u32_e32 vcc_lo, 0, v10
	s_delay_alu instid0(VALU_DEP_2) | instskip(SKIP_1) | instid1(VALU_DEP_2)
	v_cndmask_b32_e64 v11, v6, 0x78, vcc_lo
	v_cndmask_b32_e32 v0, v8, v0, vcc_lo
	v_add_nc_u32_e32 v6, 20, v11
	v_add_nc_u32_e32 v8, 19, v11
	s_delay_alu instid0(VALU_DEP_2) | instskip(NEXT) | instid1(VALU_DEP_2)
	v_lshlrev_b64 v[6:7], v6, -1
	v_lshlrev_b64 v[8:9], v8, 1
	s_delay_alu instid0(VALU_DEP_2) | instskip(NEXT) | instid1(VALU_DEP_3)
	v_not_b32_e32 v7, v7
	v_not_b32_e32 v6, v6
	s_delay_alu instid0(VALU_DEP_2) | instskip(NEXT) | instid1(VALU_DEP_2)
	v_and_b32_e32 v13, 0, v7
	v_and_b32_e32 v12, v0, v6
	v_lshrrev_b64 v[6:7], v11, v[0:1]
	s_delay_alu instid0(VALU_DEP_2) | instskip(NEXT) | instid1(VALU_DEP_2)
	v_cmp_eq_u64_e64 s0, v[12:13], v[8:9]
	v_dual_mov_b32 v9, v7 :: v_dual_mov_b32 v8, v6
	s_delay_alu instid0(VALU_DEP_2)
	s_and_saveexec_b32 s15, s0
; %bb.7:                                ;   in Loop: Header=BB35_3 Depth=1
	v_bfe_u32 v0, v6, 20, 1
	s_delay_alu instid0(VALU_DEP_1) | instskip(NEXT) | instid1(VALU_DEP_1)
	v_add_co_u32 v0, s0, v6, v0
	v_add_co_u32 v8, s0, v0, -1
; %bb.8:                                ;   in Loop: Header=BB35_3 Depth=1
	s_or_b32 exec_lo, exec_lo, s15
	v_add_nc_u32_e32 v0, 0xffffff81, v10
	v_lshrrev_b32_e32 v9, 23, v6
	s_mov_b32 s0, exec_lo
	s_delay_alu instid0(VALU_DEP_2) | instskip(NEXT) | instid1(VALU_DEP_1)
	v_cndmask_b32_e64 v0, v0, 0xffffff82, vcc_lo
	v_add3_u32 v9, v11, v0, v9
	v_and_b32_e32 v0, 0xfffff, v8
	s_delay_alu instid0(VALU_DEP_2) | instskip(NEXT) | instid1(VALU_DEP_2)
	v_add_nc_u32_e32 v8, 6, v9
	v_add_co_u32 v6, vcc_lo, v0, v6
	v_add_co_ci_u32_e32 v7, vcc_lo, 0, v7, vcc_lo
                                        ; implicit-def: $vgpr0
	s_delay_alu instid0(VALU_DEP_3)
	v_cmpx_ne_u32_e32 0, v8
	s_xor_b32 s0, exec_lo, s0
; %bb.9:                                ;   in Loop: Header=BB35_3 Depth=1
	s_delay_alu instid0(VALU_DEP_2) | instskip(SKIP_1) | instid1(VALU_DEP_1)
	v_cmp_lt_u64_e32 vcc_lo, 0xffffff, v[6:7]
	v_add_nc_u32_e32 v0, 7, v9
	v_cndmask_b32_e32 v0, v8, v0, vcc_lo
	v_cndmask_b32_e64 v8, 0, 1, vcc_lo
	s_delay_alu instid0(VALU_DEP_1)
	v_lshrrev_b64 v[6:7], v8, v[6:7]
; %bb.10:                               ;   in Loop: Header=BB35_3 Depth=1
	s_and_not1_saveexec_b32 s0, s0
; %bb.11:                               ;   in Loop: Header=BB35_3 Depth=1
	s_delay_alu instid0(VALU_DEP_1)
	v_bfe_u32 v0, v6, 23, 1
; %bb.12:                               ;   in Loop: Header=BB35_3 Depth=1
	s_or_b32 exec_lo, exec_lo, s0
	s_delay_alu instid0(VALU_DEP_2) | instskip(NEXT) | instid1(VALU_DEP_2)
	v_lshrrev_b64 v[6:7], 20, v[6:7]
	v_cmp_gt_i32_e32 vcc_lo, 16, v0
	v_cmp_ne_u32_e64 s0, 0, v0
	s_delay_alu instid0(VALU_DEP_3) | instskip(NEXT) | instid1(VALU_DEP_1)
	v_dual_cndmask_b32 v7, 0, v7 :: v_dual_cndmask_b32 v6, 7, v6
	v_cmp_ne_u64_e32 vcc_lo, 0, v[6:7]
                                        ; implicit-def: $vgpr7
	s_delay_alu instid0(VALU_DEP_3) | instskip(NEXT) | instid1(SALU_CYCLE_1)
	s_or_b32 s0, s0, vcc_lo
	s_and_saveexec_b32 s15, s0
	s_delay_alu instid0(SALU_CYCLE_1)
	s_xor_b32 s0, exec_lo, s15
; %bb.13:                               ;   in Loop: Header=BB35_3 Depth=1
	v_min_i32_e32 v0, 15, v0
	s_delay_alu instid0(VALU_DEP_1) | instskip(NEXT) | instid1(VALU_DEP_1)
	v_lshl_or_b32 v0, v0, 3, v3
                                        ; implicit-def: $vgpr3
	v_and_or_b32 v7, v6, 7, v0
; %bb.14:                               ;   in Loop: Header=BB35_3 Depth=1
	s_and_not1_saveexec_b32 s0, s0
; %bb.15:                               ;   in Loop: Header=BB35_3 Depth=1
	v_mov_b32_e32 v7, v3
; %bb.16:                               ;   in Loop: Header=BB35_3 Depth=1
	s_or_b32 exec_lo, exec_lo, s0
.LBB35_17:                              ;   in Loop: Header=BB35_3 Depth=1
	s_delay_alu instid0(SALU_CYCLE_1)
	s_or_b32 exec_lo, exec_lo, s14
.LBB35_18:                              ;   in Loop: Header=BB35_3 Depth=1
	s_and_not1_saveexec_b32 s0, s13
	s_delay_alu instid0(SALU_CYCLE_1)
	s_or_b32 exec_lo, exec_lo, s0
                                        ; implicit-def: $vgpr8
.LBB35_19:                              ;   in Loop: Header=BB35_3 Depth=1
	s_and_not1_saveexec_b32 s0, s12
	s_cbranch_execz .LBB35_2
; %bb.20:                               ;   in Loop: Header=BB35_3 Depth=1
	v_cmp_eq_u64_e32 vcc_lo, 0, v[0:1]
	v_or_b32_e32 v3, 0x7f, v8
	s_delay_alu instid0(VALU_DEP_1)
	v_cndmask_b32_e32 v7, v3, v7, vcc_lo
	s_branch .LBB35_2
.LBB35_21:
	s_nop 0
	s_sendmsg sendmsg(MSG_DEALLOC_VGPRS)
	s_endpgm
	.section	.rodata,"a",@progbits
	.p2align	6, 0x0
	.amdhsa_kernel _ZN4vllm18convert_fp8_kernelIh14__hip_bfloat16LNS_18Fp8KVCacheDataTypeE1EEEvPKT0_PT_fl
		.amdhsa_group_segment_fixed_size 0
		.amdhsa_private_segment_fixed_size 0
		.amdhsa_kernarg_size 288
		.amdhsa_user_sgpr_count 15
		.amdhsa_user_sgpr_dispatch_ptr 0
		.amdhsa_user_sgpr_queue_ptr 0
		.amdhsa_user_sgpr_kernarg_segment_ptr 1
		.amdhsa_user_sgpr_dispatch_id 0
		.amdhsa_user_sgpr_private_segment_size 0
		.amdhsa_wavefront_size32 1
		.amdhsa_uses_dynamic_stack 0
		.amdhsa_enable_private_segment 0
		.amdhsa_system_sgpr_workgroup_id_x 1
		.amdhsa_system_sgpr_workgroup_id_y 0
		.amdhsa_system_sgpr_workgroup_id_z 0
		.amdhsa_system_sgpr_workgroup_info 0
		.amdhsa_system_vgpr_workitem_id 0
		.amdhsa_next_free_vgpr 14
		.amdhsa_next_free_sgpr 16
		.amdhsa_reserve_vcc 1
		.amdhsa_float_round_mode_32 0
		.amdhsa_float_round_mode_16_64 0
		.amdhsa_float_denorm_mode_32 3
		.amdhsa_float_denorm_mode_16_64 3
		.amdhsa_dx10_clamp 1
		.amdhsa_ieee_mode 1
		.amdhsa_fp16_overflow 0
		.amdhsa_workgroup_processor_mode 1
		.amdhsa_memory_ordered 1
		.amdhsa_forward_progress 0
		.amdhsa_shared_vgpr_count 0
		.amdhsa_exception_fp_ieee_invalid_op 0
		.amdhsa_exception_fp_denorm_src 0
		.amdhsa_exception_fp_ieee_div_zero 0
		.amdhsa_exception_fp_ieee_overflow 0
		.amdhsa_exception_fp_ieee_underflow 0
		.amdhsa_exception_fp_ieee_inexact 0
		.amdhsa_exception_int_div_zero 0
	.end_amdhsa_kernel
	.section	.text._ZN4vllm18convert_fp8_kernelIh14__hip_bfloat16LNS_18Fp8KVCacheDataTypeE1EEEvPKT0_PT_fl,"axG",@progbits,_ZN4vllm18convert_fp8_kernelIh14__hip_bfloat16LNS_18Fp8KVCacheDataTypeE1EEEvPKT0_PT_fl,comdat
.Lfunc_end35:
	.size	_ZN4vllm18convert_fp8_kernelIh14__hip_bfloat16LNS_18Fp8KVCacheDataTypeE1EEEvPKT0_PT_fl, .Lfunc_end35-_ZN4vllm18convert_fp8_kernelIh14__hip_bfloat16LNS_18Fp8KVCacheDataTypeE1EEEvPKT0_PT_fl
                                        ; -- End function
	.section	.AMDGPU.csdata,"",@progbits
; Kernel info:
; codeLenInByte = 936
; NumSgprs: 18
; NumVgprs: 14
; ScratchSize: 0
; MemoryBound: 0
; FloatMode: 240
; IeeeMode: 1
; LDSByteSize: 0 bytes/workgroup (compile time only)
; SGPRBlocks: 2
; VGPRBlocks: 1
; NumSGPRsForWavesPerEU: 18
; NumVGPRsForWavesPerEU: 14
; Occupancy: 16
; WaveLimiterHint : 0
; COMPUTE_PGM_RSRC2:SCRATCH_EN: 0
; COMPUTE_PGM_RSRC2:USER_SGPR: 15
; COMPUTE_PGM_RSRC2:TRAP_HANDLER: 0
; COMPUTE_PGM_RSRC2:TGID_X_EN: 1
; COMPUTE_PGM_RSRC2:TGID_Y_EN: 0
; COMPUTE_PGM_RSRC2:TGID_Z_EN: 0
; COMPUTE_PGM_RSRC2:TIDIG_COMP_CNT: 0
	.section	.text._ZN4vllm18convert_fp8_kernelIfhLNS_18Fp8KVCacheDataTypeE1EEEvPKT0_PT_fl,"axG",@progbits,_ZN4vllm18convert_fp8_kernelIfhLNS_18Fp8KVCacheDataTypeE1EEEvPKT0_PT_fl,comdat
	.protected	_ZN4vllm18convert_fp8_kernelIfhLNS_18Fp8KVCacheDataTypeE1EEEvPKT0_PT_fl ; -- Begin function _ZN4vllm18convert_fp8_kernelIfhLNS_18Fp8KVCacheDataTypeE1EEEvPKT0_PT_fl
	.globl	_ZN4vllm18convert_fp8_kernelIfhLNS_18Fp8KVCacheDataTypeE1EEEvPKT0_PT_fl
	.p2align	8
	.type	_ZN4vllm18convert_fp8_kernelIfhLNS_18Fp8KVCacheDataTypeE1EEEvPKT0_PT_fl,@function
_ZN4vllm18convert_fp8_kernelIfhLNS_18Fp8KVCacheDataTypeE1EEEvPKT0_PT_fl: ; @_ZN4vllm18convert_fp8_kernelIfhLNS_18Fp8KVCacheDataTypeE1EEEvPKT0_PT_fl
; %bb.0:
	s_load_b64 s[2:3], s[0:1], 0x18
	v_mov_b32_e32 v1, 0
	s_mov_b32 s4, exec_lo
	s_waitcnt lgkmcnt(0)
	s_delay_alu instid0(VALU_DEP_1)
	v_cmpx_gt_i64_e64 s[2:3], v[0:1]
	s_cbranch_execz .LBB36_11
; %bb.1:
	s_clause 0x2
	s_load_b32 s8, s[0:1], 0x2c
	s_load_b128 s[4:7], s[0:1], 0x0
	s_load_b32 s1, s[0:1], 0x10
	s_mul_i32 s0, s15, s3
	s_mul_hi_u32 s9, s15, s2
	s_mul_i32 s10, s15, s2
	s_add_i32 s9, s9, s0
	s_mov_b32 s11, 0
	v_dual_mov_b32 v5, v1 :: v_dual_mov_b32 v4, v0
	s_waitcnt lgkmcnt(0)
	s_and_b32 s8, s8, 0xffff
	s_delay_alu instid0(SALU_CYCLE_1)
	v_add_nc_u32_e32 v2, s8, v0
	s_branch .LBB36_6
.LBB36_2:                               ;   in Loop: Header=BB36_6 Depth=1
	s_or_b32 exec_lo, exec_lo, s14
	v_lshlrev_b32_e32 v3, 24, v3
	s_delay_alu instid0(VALU_DEP_2) | instskip(SKIP_1) | instid1(VALU_DEP_3)
	v_lshlrev_b32_e32 v0, 20, v0
	v_lshl_add_u32 v6, v6, 23, 0x3c000000
	v_and_b32_e32 v3, 0x80000000, v3
	s_delay_alu instid0(VALU_DEP_1)
	v_or3_b32 v0, v0, v3, v6
.LBB36_3:                               ;   in Loop: Header=BB36_6 Depth=1
	s_or_b32 exec_lo, exec_lo, s13
.LBB36_4:                               ;   in Loop: Header=BB36_6 Depth=1
	s_delay_alu instid0(SALU_CYCLE_1)
	s_or_b32 exec_lo, exec_lo, s12
.LBB36_5:                               ;   in Loop: Header=BB36_6 Depth=1
	s_delay_alu instid0(SALU_CYCLE_1) | instskip(SKIP_3) | instid1(VALU_DEP_2)
	s_or_b32 exec_lo, exec_lo, s0
	v_lshlrev_b64 v[4:5], 2, v[4:5]
	v_ashrrev_i32_e32 v3, 31, v2
	v_mul_f32_e32 v0, s1, v0
	v_cmp_le_i64_e32 vcc_lo, s[2:3], v[2:3]
	s_delay_alu instid0(VALU_DEP_4) | instskip(NEXT) | instid1(VALU_DEP_1)
	v_add_co_u32 v6, s0, s6, v4
	v_add_co_ci_u32_e64 v7, s0, s7, v5, s0
	v_dual_mov_b32 v5, v3 :: v_dual_mov_b32 v4, v2
	v_add_nc_u32_e32 v2, s8, v2
	s_or_b32 s11, vcc_lo, s11
	global_store_b32 v[6:7], v0, off
	s_and_not1_b32 exec_lo, exec_lo, s11
	s_cbranch_execz .LBB36_11
.LBB36_6:                               ; =>This Inner Loop Header: Depth=1
	v_add_co_u32 v4, vcc_lo, v4, s10
	v_add_co_ci_u32_e32 v5, vcc_lo, s9, v5, vcc_lo
	v_mov_b32_e32 v0, 0
	s_delay_alu instid0(VALU_DEP_3) | instskip(NEXT) | instid1(VALU_DEP_3)
	v_add_co_u32 v6, vcc_lo, s4, v4
	v_add_co_ci_u32_e32 v7, vcc_lo, s5, v5, vcc_lo
	s_mov_b32 s0, exec_lo
	global_load_u8 v3, v[6:7], off
	s_waitcnt vmcnt(0)
	v_cmpx_ne_u16_e32 0, v3
	s_cbranch_execz .LBB36_5
; %bb.7:                                ;   in Loop: Header=BB36_6 Depth=1
	v_bfrev_b32_e32 v0, 1
	s_mov_b32 s12, exec_lo
	v_cmpx_ne_u16_e32 0x80, v3
	s_cbranch_execz .LBB36_4
; %bb.8:                                ;   in Loop: Header=BB36_6 Depth=1
	v_and_b32_e32 v6, 0xffff, v3
	v_mov_b32_e32 v0, 0x7f800001
	s_mov_b32 s13, exec_lo
	s_delay_alu instid0(VALU_DEP_2) | instskip(NEXT) | instid1(VALU_DEP_1)
	v_and_b32_e32 v7, 0x7f, v6
	v_cmpx_ne_u32_e32 0x7f, v7
	s_cbranch_execz .LBB36_3
; %bb.9:                                ;   in Loop: Header=BB36_6 Depth=1
	v_and_b32_e32 v0, 7, v6
	v_lshrrev_b32_e32 v6, 3, v7
	s_mov_b32 s14, exec_lo
	v_cmpx_gt_u32_e32 8, v7
	s_cbranch_execz .LBB36_2
; %bb.10:                               ;   in Loop: Header=BB36_6 Depth=1
	v_clz_i32_u32_e32 v6, v0
	s_delay_alu instid0(VALU_DEP_1) | instskip(NEXT) | instid1(VALU_DEP_1)
	v_min_u32_e32 v6, 32, v6
	v_subrev_nc_u32_e32 v7, 28, v6
	v_sub_nc_u32_e32 v6, 29, v6
	s_delay_alu instid0(VALU_DEP_2) | instskip(NEXT) | instid1(VALU_DEP_1)
	v_lshlrev_b64 v[7:8], v7, v[0:1]
	v_and_b32_e32 v0, 7, v7
	s_branch .LBB36_2
.LBB36_11:
	s_nop 0
	s_sendmsg sendmsg(MSG_DEALLOC_VGPRS)
	s_endpgm
	.section	.rodata,"a",@progbits
	.p2align	6, 0x0
	.amdhsa_kernel _ZN4vllm18convert_fp8_kernelIfhLNS_18Fp8KVCacheDataTypeE1EEEvPKT0_PT_fl
		.amdhsa_group_segment_fixed_size 0
		.amdhsa_private_segment_fixed_size 0
		.amdhsa_kernarg_size 288
		.amdhsa_user_sgpr_count 15
		.amdhsa_user_sgpr_dispatch_ptr 0
		.amdhsa_user_sgpr_queue_ptr 0
		.amdhsa_user_sgpr_kernarg_segment_ptr 1
		.amdhsa_user_sgpr_dispatch_id 0
		.amdhsa_user_sgpr_private_segment_size 0
		.amdhsa_wavefront_size32 1
		.amdhsa_uses_dynamic_stack 0
		.amdhsa_enable_private_segment 0
		.amdhsa_system_sgpr_workgroup_id_x 1
		.amdhsa_system_sgpr_workgroup_id_y 0
		.amdhsa_system_sgpr_workgroup_id_z 0
		.amdhsa_system_sgpr_workgroup_info 0
		.amdhsa_system_vgpr_workitem_id 0
		.amdhsa_next_free_vgpr 9
		.amdhsa_next_free_sgpr 16
		.amdhsa_reserve_vcc 1
		.amdhsa_float_round_mode_32 0
		.amdhsa_float_round_mode_16_64 0
		.amdhsa_float_denorm_mode_32 3
		.amdhsa_float_denorm_mode_16_64 3
		.amdhsa_dx10_clamp 1
		.amdhsa_ieee_mode 1
		.amdhsa_fp16_overflow 0
		.amdhsa_workgroup_processor_mode 1
		.amdhsa_memory_ordered 1
		.amdhsa_forward_progress 0
		.amdhsa_shared_vgpr_count 0
		.amdhsa_exception_fp_ieee_invalid_op 0
		.amdhsa_exception_fp_denorm_src 0
		.amdhsa_exception_fp_ieee_div_zero 0
		.amdhsa_exception_fp_ieee_overflow 0
		.amdhsa_exception_fp_ieee_underflow 0
		.amdhsa_exception_fp_ieee_inexact 0
		.amdhsa_exception_int_div_zero 0
	.end_amdhsa_kernel
	.section	.text._ZN4vllm18convert_fp8_kernelIfhLNS_18Fp8KVCacheDataTypeE1EEEvPKT0_PT_fl,"axG",@progbits,_ZN4vllm18convert_fp8_kernelIfhLNS_18Fp8KVCacheDataTypeE1EEEvPKT0_PT_fl,comdat
.Lfunc_end36:
	.size	_ZN4vllm18convert_fp8_kernelIfhLNS_18Fp8KVCacheDataTypeE1EEEvPKT0_PT_fl, .Lfunc_end36-_ZN4vllm18convert_fp8_kernelIfhLNS_18Fp8KVCacheDataTypeE1EEEvPKT0_PT_fl
                                        ; -- End function
	.section	.AMDGPU.csdata,"",@progbits
; Kernel info:
; codeLenInByte = 448
; NumSgprs: 18
; NumVgprs: 9
; ScratchSize: 0
; MemoryBound: 0
; FloatMode: 240
; IeeeMode: 1
; LDSByteSize: 0 bytes/workgroup (compile time only)
; SGPRBlocks: 2
; VGPRBlocks: 1
; NumSGPRsForWavesPerEU: 18
; NumVGPRsForWavesPerEU: 9
; Occupancy: 16
; WaveLimiterHint : 0
; COMPUTE_PGM_RSRC2:SCRATCH_EN: 0
; COMPUTE_PGM_RSRC2:USER_SGPR: 15
; COMPUTE_PGM_RSRC2:TRAP_HANDLER: 0
; COMPUTE_PGM_RSRC2:TGID_X_EN: 1
; COMPUTE_PGM_RSRC2:TGID_Y_EN: 0
; COMPUTE_PGM_RSRC2:TGID_Z_EN: 0
; COMPUTE_PGM_RSRC2:TIDIG_COMP_CNT: 0
	.section	.text._ZN4vllm18convert_fp8_kernelIthLNS_18Fp8KVCacheDataTypeE1EEEvPKT0_PT_fl,"axG",@progbits,_ZN4vllm18convert_fp8_kernelIthLNS_18Fp8KVCacheDataTypeE1EEEvPKT0_PT_fl,comdat
	.protected	_ZN4vllm18convert_fp8_kernelIthLNS_18Fp8KVCacheDataTypeE1EEEvPKT0_PT_fl ; -- Begin function _ZN4vllm18convert_fp8_kernelIthLNS_18Fp8KVCacheDataTypeE1EEEvPKT0_PT_fl
	.globl	_ZN4vllm18convert_fp8_kernelIthLNS_18Fp8KVCacheDataTypeE1EEEvPKT0_PT_fl
	.p2align	8
	.type	_ZN4vllm18convert_fp8_kernelIthLNS_18Fp8KVCacheDataTypeE1EEEvPKT0_PT_fl,@function
_ZN4vllm18convert_fp8_kernelIthLNS_18Fp8KVCacheDataTypeE1EEEvPKT0_PT_fl: ; @_ZN4vllm18convert_fp8_kernelIthLNS_18Fp8KVCacheDataTypeE1EEEvPKT0_PT_fl
; %bb.0:
	s_load_b64 s[2:3], s[0:1], 0x18
	v_mov_b32_e32 v1, 0
	s_mov_b32 s4, exec_lo
	s_waitcnt lgkmcnt(0)
	s_delay_alu instid0(VALU_DEP_1)
	v_cmpx_gt_i64_e64 s[2:3], v[0:1]
	s_cbranch_execz .LBB37_11
; %bb.1:
	s_clause 0x2
	s_load_b32 s8, s[0:1], 0x2c
	s_load_b128 s[4:7], s[0:1], 0x0
	s_load_b32 s1, s[0:1], 0x10
	s_mul_i32 s0, s15, s3
	s_mul_hi_u32 s9, s15, s2
	s_mul_i32 s10, s15, s2
	s_add_i32 s9, s9, s0
	s_mov_b32 s11, 0
	v_dual_mov_b32 v5, v1 :: v_dual_mov_b32 v4, v0
	s_waitcnt lgkmcnt(0)
	s_and_b32 s8, s8, 0xffff
	s_delay_alu instid0(SALU_CYCLE_1)
	v_add_nc_u32_e32 v2, s8, v0
	s_branch .LBB37_6
.LBB37_2:                               ;   in Loop: Header=BB37_6 Depth=1
	s_or_b32 exec_lo, exec_lo, s14
	v_lshlrev_b32_e32 v3, 24, v3
	s_delay_alu instid0(VALU_DEP_2) | instskip(SKIP_1) | instid1(VALU_DEP_3)
	v_lshlrev_b32_e32 v0, 20, v0
	v_lshl_add_u32 v6, v6, 23, 0x3c000000
	v_and_b32_e32 v3, 0x80000000, v3
	s_delay_alu instid0(VALU_DEP_1)
	v_or3_b32 v0, v0, v3, v6
.LBB37_3:                               ;   in Loop: Header=BB37_6 Depth=1
	s_or_b32 exec_lo, exec_lo, s13
.LBB37_4:                               ;   in Loop: Header=BB37_6 Depth=1
	s_delay_alu instid0(SALU_CYCLE_1)
	s_or_b32 exec_lo, exec_lo, s12
.LBB37_5:                               ;   in Loop: Header=BB37_6 Depth=1
	s_delay_alu instid0(SALU_CYCLE_1) | instskip(SKIP_3) | instid1(VALU_DEP_3)
	s_or_b32 exec_lo, exec_lo, s0
	v_ashrrev_i32_e32 v3, 31, v2
	v_lshlrev_b64 v[4:5], 1, v[4:5]
	v_fma_mixlo_f16 v0, v0, s1, 0
	v_cmp_le_i64_e32 vcc_lo, s[2:3], v[2:3]
	s_delay_alu instid0(VALU_DEP_3) | instskip(NEXT) | instid1(VALU_DEP_1)
	v_add_co_u32 v6, s0, s6, v4
	v_add_co_ci_u32_e64 v7, s0, s7, v5, s0
	v_dual_mov_b32 v5, v3 :: v_dual_mov_b32 v4, v2
	v_add_nc_u32_e32 v2, s8, v2
	s_or_b32 s11, vcc_lo, s11
	global_store_b16 v[6:7], v0, off
	s_and_not1_b32 exec_lo, exec_lo, s11
	s_cbranch_execz .LBB37_11
.LBB37_6:                               ; =>This Inner Loop Header: Depth=1
	v_add_co_u32 v4, vcc_lo, v4, s10
	v_add_co_ci_u32_e32 v5, vcc_lo, s9, v5, vcc_lo
	v_mov_b32_e32 v0, 0
	s_delay_alu instid0(VALU_DEP_3) | instskip(NEXT) | instid1(VALU_DEP_3)
	v_add_co_u32 v6, vcc_lo, s4, v4
	v_add_co_ci_u32_e32 v7, vcc_lo, s5, v5, vcc_lo
	s_mov_b32 s0, exec_lo
	global_load_u8 v3, v[6:7], off
	s_waitcnt vmcnt(0)
	v_cmpx_ne_u16_e32 0, v3
	s_cbranch_execz .LBB37_5
; %bb.7:                                ;   in Loop: Header=BB37_6 Depth=1
	v_bfrev_b32_e32 v0, 1
	s_mov_b32 s12, exec_lo
	v_cmpx_ne_u16_e32 0x80, v3
	s_cbranch_execz .LBB37_4
; %bb.8:                                ;   in Loop: Header=BB37_6 Depth=1
	v_and_b32_e32 v6, 0xffff, v3
	v_mov_b32_e32 v0, 0x7f800001
	s_mov_b32 s13, exec_lo
	s_delay_alu instid0(VALU_DEP_2) | instskip(NEXT) | instid1(VALU_DEP_1)
	v_and_b32_e32 v7, 0x7f, v6
	v_cmpx_ne_u32_e32 0x7f, v7
	s_cbranch_execz .LBB37_3
; %bb.9:                                ;   in Loop: Header=BB37_6 Depth=1
	v_and_b32_e32 v0, 7, v6
	v_lshrrev_b32_e32 v6, 3, v7
	s_mov_b32 s14, exec_lo
	v_cmpx_gt_u32_e32 8, v7
	s_cbranch_execz .LBB37_2
; %bb.10:                               ;   in Loop: Header=BB37_6 Depth=1
	v_clz_i32_u32_e32 v6, v0
	s_delay_alu instid0(VALU_DEP_1) | instskip(NEXT) | instid1(VALU_DEP_1)
	v_min_u32_e32 v6, 32, v6
	v_subrev_nc_u32_e32 v7, 28, v6
	v_sub_nc_u32_e32 v6, 29, v6
	s_delay_alu instid0(VALU_DEP_2) | instskip(NEXT) | instid1(VALU_DEP_1)
	v_lshlrev_b64 v[7:8], v7, v[0:1]
	v_and_b32_e32 v0, 7, v7
	s_branch .LBB37_2
.LBB37_11:
	s_nop 0
	s_sendmsg sendmsg(MSG_DEALLOC_VGPRS)
	s_endpgm
	.section	.rodata,"a",@progbits
	.p2align	6, 0x0
	.amdhsa_kernel _ZN4vllm18convert_fp8_kernelIthLNS_18Fp8KVCacheDataTypeE1EEEvPKT0_PT_fl
		.amdhsa_group_segment_fixed_size 0
		.amdhsa_private_segment_fixed_size 0
		.amdhsa_kernarg_size 288
		.amdhsa_user_sgpr_count 15
		.amdhsa_user_sgpr_dispatch_ptr 0
		.amdhsa_user_sgpr_queue_ptr 0
		.amdhsa_user_sgpr_kernarg_segment_ptr 1
		.amdhsa_user_sgpr_dispatch_id 0
		.amdhsa_user_sgpr_private_segment_size 0
		.amdhsa_wavefront_size32 1
		.amdhsa_uses_dynamic_stack 0
		.amdhsa_enable_private_segment 0
		.amdhsa_system_sgpr_workgroup_id_x 1
		.amdhsa_system_sgpr_workgroup_id_y 0
		.amdhsa_system_sgpr_workgroup_id_z 0
		.amdhsa_system_sgpr_workgroup_info 0
		.amdhsa_system_vgpr_workitem_id 0
		.amdhsa_next_free_vgpr 9
		.amdhsa_next_free_sgpr 16
		.amdhsa_reserve_vcc 1
		.amdhsa_float_round_mode_32 0
		.amdhsa_float_round_mode_16_64 0
		.amdhsa_float_denorm_mode_32 3
		.amdhsa_float_denorm_mode_16_64 3
		.amdhsa_dx10_clamp 1
		.amdhsa_ieee_mode 1
		.amdhsa_fp16_overflow 0
		.amdhsa_workgroup_processor_mode 1
		.amdhsa_memory_ordered 1
		.amdhsa_forward_progress 0
		.amdhsa_shared_vgpr_count 0
		.amdhsa_exception_fp_ieee_invalid_op 0
		.amdhsa_exception_fp_denorm_src 0
		.amdhsa_exception_fp_ieee_div_zero 0
		.amdhsa_exception_fp_ieee_overflow 0
		.amdhsa_exception_fp_ieee_underflow 0
		.amdhsa_exception_fp_ieee_inexact 0
		.amdhsa_exception_int_div_zero 0
	.end_amdhsa_kernel
	.section	.text._ZN4vllm18convert_fp8_kernelIthLNS_18Fp8KVCacheDataTypeE1EEEvPKT0_PT_fl,"axG",@progbits,_ZN4vllm18convert_fp8_kernelIthLNS_18Fp8KVCacheDataTypeE1EEEvPKT0_PT_fl,comdat
.Lfunc_end37:
	.size	_ZN4vllm18convert_fp8_kernelIthLNS_18Fp8KVCacheDataTypeE1EEEvPKT0_PT_fl, .Lfunc_end37-_ZN4vllm18convert_fp8_kernelIthLNS_18Fp8KVCacheDataTypeE1EEEvPKT0_PT_fl
                                        ; -- End function
	.section	.AMDGPU.csdata,"",@progbits
; Kernel info:
; codeLenInByte = 452
; NumSgprs: 18
; NumVgprs: 9
; ScratchSize: 0
; MemoryBound: 0
; FloatMode: 240
; IeeeMode: 1
; LDSByteSize: 0 bytes/workgroup (compile time only)
; SGPRBlocks: 2
; VGPRBlocks: 1
; NumSGPRsForWavesPerEU: 18
; NumVGPRsForWavesPerEU: 9
; Occupancy: 16
; WaveLimiterHint : 0
; COMPUTE_PGM_RSRC2:SCRATCH_EN: 0
; COMPUTE_PGM_RSRC2:USER_SGPR: 15
; COMPUTE_PGM_RSRC2:TRAP_HANDLER: 0
; COMPUTE_PGM_RSRC2:TGID_X_EN: 1
; COMPUTE_PGM_RSRC2:TGID_Y_EN: 0
; COMPUTE_PGM_RSRC2:TGID_Z_EN: 0
; COMPUTE_PGM_RSRC2:TIDIG_COMP_CNT: 0
	.section	.text._ZN4vllm18convert_fp8_kernelI14__hip_bfloat16hLNS_18Fp8KVCacheDataTypeE1EEEvPKT0_PT_fl,"axG",@progbits,_ZN4vllm18convert_fp8_kernelI14__hip_bfloat16hLNS_18Fp8KVCacheDataTypeE1EEEvPKT0_PT_fl,comdat
	.protected	_ZN4vllm18convert_fp8_kernelI14__hip_bfloat16hLNS_18Fp8KVCacheDataTypeE1EEEvPKT0_PT_fl ; -- Begin function _ZN4vllm18convert_fp8_kernelI14__hip_bfloat16hLNS_18Fp8KVCacheDataTypeE1EEEvPKT0_PT_fl
	.globl	_ZN4vllm18convert_fp8_kernelI14__hip_bfloat16hLNS_18Fp8KVCacheDataTypeE1EEEvPKT0_PT_fl
	.p2align	8
	.type	_ZN4vllm18convert_fp8_kernelI14__hip_bfloat16hLNS_18Fp8KVCacheDataTypeE1EEEvPKT0_PT_fl,@function
_ZN4vllm18convert_fp8_kernelI14__hip_bfloat16hLNS_18Fp8KVCacheDataTypeE1EEEvPKT0_PT_fl: ; @_ZN4vllm18convert_fp8_kernelI14__hip_bfloat16hLNS_18Fp8KVCacheDataTypeE1EEEvPKT0_PT_fl
; %bb.0:
	s_load_b64 s[2:3], s[0:1], 0x18
	v_mov_b32_e32 v1, 0
	s_mov_b32 s4, exec_lo
	s_waitcnt lgkmcnt(0)
	s_delay_alu instid0(VALU_DEP_1)
	v_cmpx_gt_i64_e64 s[2:3], v[0:1]
	s_cbranch_execz .LBB38_15
; %bb.1:
	s_clause 0x2
	s_load_b32 s8, s[0:1], 0x2c
	s_load_b128 s[4:7], s[0:1], 0x0
	s_load_b32 s1, s[0:1], 0x10
	s_mul_i32 s0, s15, s3
	s_mul_hi_u32 s9, s15, s2
	s_mul_i32 s10, s15, s2
	s_add_i32 s9, s9, s0
	s_mov_b32 s11, 0
	v_dual_mov_b32 v5, v1 :: v_dual_mov_b32 v4, v0
	s_waitcnt lgkmcnt(0)
	s_and_b32 s8, s8, 0xffff
	s_delay_alu instid0(SALU_CYCLE_1)
	v_add_nc_u32_e32 v2, s8, v0
	s_branch .LBB38_3
.LBB38_2:                               ;   in Loop: Header=BB38_3 Depth=1
	s_or_b32 exec_lo, exec_lo, s0
	v_ashrrev_i32_e32 v3, 31, v2
	v_lshlrev_b64 v[4:5], 1, v[4:5]
	s_delay_alu instid0(VALU_DEP_2) | instskip(NEXT) | instid1(VALU_DEP_2)
	v_cmp_le_i64_e32 vcc_lo, s[2:3], v[2:3]
	v_add_co_u32 v6, s0, s6, v4
	s_delay_alu instid0(VALU_DEP_1)
	v_add_co_ci_u32_e64 v7, s0, s7, v5, s0
	v_dual_mov_b32 v5, v3 :: v_dual_mov_b32 v4, v2
	v_add_nc_u32_e32 v2, s8, v2
	s_or_b32 s11, vcc_lo, s11
	global_store_d16_hi_b16 v[6:7], v0, off
	s_and_not1_b32 exec_lo, exec_lo, s11
	s_cbranch_execz .LBB38_15
.LBB38_3:                               ; =>This Inner Loop Header: Depth=1
	v_add_co_u32 v4, vcc_lo, v4, s10
	v_add_co_ci_u32_e32 v5, vcc_lo, s9, v5, vcc_lo
	v_mov_b32_e32 v0, 0
	s_delay_alu instid0(VALU_DEP_3) | instskip(NEXT) | instid1(VALU_DEP_3)
	v_add_co_u32 v6, vcc_lo, s4, v4
	v_add_co_ci_u32_e32 v7, vcc_lo, s5, v5, vcc_lo
	s_mov_b32 s0, exec_lo
	global_load_u8 v3, v[6:7], off
	s_waitcnt vmcnt(0)
	v_cmpx_ne_u16_e32 0, v3
	s_cbranch_execz .LBB38_11
; %bb.4:                                ;   in Loop: Header=BB38_3 Depth=1
	v_bfrev_b32_e32 v0, 1
	s_mov_b32 s12, exec_lo
	v_cmpx_ne_u16_e32 0x80, v3
	s_cbranch_execz .LBB38_10
; %bb.5:                                ;   in Loop: Header=BB38_3 Depth=1
	v_and_b32_e32 v6, 0xffff, v3
	v_mov_b32_e32 v0, 0x7f800001
	s_mov_b32 s13, exec_lo
	s_delay_alu instid0(VALU_DEP_2) | instskip(NEXT) | instid1(VALU_DEP_1)
	v_and_b32_e32 v7, 0x7f, v6
	v_cmpx_ne_u32_e32 0x7f, v7
	s_cbranch_execz .LBB38_9
; %bb.6:                                ;   in Loop: Header=BB38_3 Depth=1
	v_and_b32_e32 v0, 7, v6
	v_lshrrev_b32_e32 v6, 3, v7
	s_mov_b32 s14, exec_lo
	v_cmpx_gt_u32_e32 8, v7
; %bb.7:                                ;   in Loop: Header=BB38_3 Depth=1
	s_delay_alu instid0(VALU_DEP_3) | instskip(NEXT) | instid1(VALU_DEP_1)
	v_clz_i32_u32_e32 v6, v0
	v_min_u32_e32 v6, 32, v6
	s_delay_alu instid0(VALU_DEP_1) | instskip(SKIP_1) | instid1(VALU_DEP_2)
	v_subrev_nc_u32_e32 v7, 28, v6
	v_sub_nc_u32_e32 v6, 29, v6
	v_lshlrev_b64 v[7:8], v7, v[0:1]
	s_delay_alu instid0(VALU_DEP_1)
	v_and_b32_e32 v0, 7, v7
; %bb.8:                                ;   in Loop: Header=BB38_3 Depth=1
	s_or_b32 exec_lo, exec_lo, s14
	v_lshlrev_b32_e32 v3, 24, v3
	s_delay_alu instid0(VALU_DEP_2) | instskip(SKIP_1) | instid1(VALU_DEP_3)
	v_lshlrev_b32_e32 v0, 20, v0
	v_lshl_add_u32 v6, v6, 23, 0x3c000000
	v_and_b32_e32 v3, 0x80000000, v3
	s_delay_alu instid0(VALU_DEP_1)
	v_or3_b32 v0, v0, v3, v6
.LBB38_9:                               ;   in Loop: Header=BB38_3 Depth=1
	s_or_b32 exec_lo, exec_lo, s13
.LBB38_10:                              ;   in Loop: Header=BB38_3 Depth=1
	s_delay_alu instid0(SALU_CYCLE_1)
	s_or_b32 exec_lo, exec_lo, s12
.LBB38_11:                              ;   in Loop: Header=BB38_3 Depth=1
	s_delay_alu instid0(SALU_CYCLE_1) | instskip(NEXT) | instid1(VALU_DEP_1)
	s_or_b32 exec_lo, exec_lo, s0
	v_mul_f32_e32 v3, s1, v0
	s_delay_alu instid0(VALU_DEP_1) | instskip(NEXT) | instid1(VALU_DEP_1)
	v_and_b32_e32 v0, 0x7f800000, v3
	v_cmp_ne_u32_e32 vcc_lo, 0x7f800000, v0
                                        ; implicit-def: $vgpr0
	s_and_saveexec_b32 s0, vcc_lo
	s_delay_alu instid0(SALU_CYCLE_1)
	s_xor_b32 s0, exec_lo, s0
; %bb.12:                               ;   in Loop: Header=BB38_3 Depth=1
	v_bfe_u32 v0, v3, 16, 1
	s_delay_alu instid0(VALU_DEP_1)
	v_add3_u32 v0, v3, v0, 0x7fff
                                        ; implicit-def: $vgpr3
; %bb.13:                               ;   in Loop: Header=BB38_3 Depth=1
	s_and_not1_saveexec_b32 s0, s0
	s_cbranch_execz .LBB38_2
; %bb.14:                               ;   in Loop: Header=BB38_3 Depth=1
	v_and_b32_e32 v0, 0xffff, v3
	v_or_b32_e32 v6, 0x10000, v3
	s_delay_alu instid0(VALU_DEP_2) | instskip(NEXT) | instid1(VALU_DEP_2)
	v_cmp_eq_u32_e32 vcc_lo, 0, v0
	v_cndmask_b32_e32 v0, v6, v3, vcc_lo
	s_branch .LBB38_2
.LBB38_15:
	s_nop 0
	s_sendmsg sendmsg(MSG_DEALLOC_VGPRS)
	s_endpgm
	.section	.rodata,"a",@progbits
	.p2align	6, 0x0
	.amdhsa_kernel _ZN4vllm18convert_fp8_kernelI14__hip_bfloat16hLNS_18Fp8KVCacheDataTypeE1EEEvPKT0_PT_fl
		.amdhsa_group_segment_fixed_size 0
		.amdhsa_private_segment_fixed_size 0
		.amdhsa_kernarg_size 288
		.amdhsa_user_sgpr_count 15
		.amdhsa_user_sgpr_dispatch_ptr 0
		.amdhsa_user_sgpr_queue_ptr 0
		.amdhsa_user_sgpr_kernarg_segment_ptr 1
		.amdhsa_user_sgpr_dispatch_id 0
		.amdhsa_user_sgpr_private_segment_size 0
		.amdhsa_wavefront_size32 1
		.amdhsa_uses_dynamic_stack 0
		.amdhsa_enable_private_segment 0
		.amdhsa_system_sgpr_workgroup_id_x 1
		.amdhsa_system_sgpr_workgroup_id_y 0
		.amdhsa_system_sgpr_workgroup_id_z 0
		.amdhsa_system_sgpr_workgroup_info 0
		.amdhsa_system_vgpr_workitem_id 0
		.amdhsa_next_free_vgpr 9
		.amdhsa_next_free_sgpr 16
		.amdhsa_reserve_vcc 1
		.amdhsa_float_round_mode_32 0
		.amdhsa_float_round_mode_16_64 0
		.amdhsa_float_denorm_mode_32 3
		.amdhsa_float_denorm_mode_16_64 3
		.amdhsa_dx10_clamp 1
		.amdhsa_ieee_mode 1
		.amdhsa_fp16_overflow 0
		.amdhsa_workgroup_processor_mode 1
		.amdhsa_memory_ordered 1
		.amdhsa_forward_progress 0
		.amdhsa_shared_vgpr_count 0
		.amdhsa_exception_fp_ieee_invalid_op 0
		.amdhsa_exception_fp_denorm_src 0
		.amdhsa_exception_fp_ieee_div_zero 0
		.amdhsa_exception_fp_ieee_overflow 0
		.amdhsa_exception_fp_ieee_underflow 0
		.amdhsa_exception_fp_ieee_inexact 0
		.amdhsa_exception_int_div_zero 0
	.end_amdhsa_kernel
	.section	.text._ZN4vllm18convert_fp8_kernelI14__hip_bfloat16hLNS_18Fp8KVCacheDataTypeE1EEEvPKT0_PT_fl,"axG",@progbits,_ZN4vllm18convert_fp8_kernelI14__hip_bfloat16hLNS_18Fp8KVCacheDataTypeE1EEEvPKT0_PT_fl,comdat
.Lfunc_end38:
	.size	_ZN4vllm18convert_fp8_kernelI14__hip_bfloat16hLNS_18Fp8KVCacheDataTypeE1EEEvPKT0_PT_fl, .Lfunc_end38-_ZN4vllm18convert_fp8_kernelI14__hip_bfloat16hLNS_18Fp8KVCacheDataTypeE1EEEvPKT0_PT_fl
                                        ; -- End function
	.section	.AMDGPU.csdata,"",@progbits
; Kernel info:
; codeLenInByte = 548
; NumSgprs: 18
; NumVgprs: 9
; ScratchSize: 0
; MemoryBound: 0
; FloatMode: 240
; IeeeMode: 1
; LDSByteSize: 0 bytes/workgroup (compile time only)
; SGPRBlocks: 2
; VGPRBlocks: 1
; NumSGPRsForWavesPerEU: 18
; NumVGPRsForWavesPerEU: 9
; Occupancy: 16
; WaveLimiterHint : 0
; COMPUTE_PGM_RSRC2:SCRATCH_EN: 0
; COMPUTE_PGM_RSRC2:USER_SGPR: 15
; COMPUTE_PGM_RSRC2:TRAP_HANDLER: 0
; COMPUTE_PGM_RSRC2:TGID_X_EN: 1
; COMPUTE_PGM_RSRC2:TGID_Y_EN: 0
; COMPUTE_PGM_RSRC2:TGID_Z_EN: 0
; COMPUTE_PGM_RSRC2:TIDIG_COMP_CNT: 0
	.section	.text._ZN4vllm30gather_and_maybe_dequant_cacheIffLNS_18Fp8KVCacheDataTypeE0ELi576ELi64EEEvPKT0_PT_PKiS8_S8_iillllPKfS8_,"axG",@progbits,_ZN4vllm30gather_and_maybe_dequant_cacheIffLNS_18Fp8KVCacheDataTypeE0ELi576ELi64EEEvPKT0_PT_PKiS8_S8_iillllPKfS8_,comdat
	.protected	_ZN4vllm30gather_and_maybe_dequant_cacheIffLNS_18Fp8KVCacheDataTypeE0ELi576ELi64EEEvPKT0_PT_PKiS8_S8_iillllPKfS8_ ; -- Begin function _ZN4vllm30gather_and_maybe_dequant_cacheIffLNS_18Fp8KVCacheDataTypeE0ELi576ELi64EEEvPKT0_PT_PKiS8_S8_iillllPKfS8_
	.globl	_ZN4vllm30gather_and_maybe_dequant_cacheIffLNS_18Fp8KVCacheDataTypeE0ELi576ELi64EEEvPKT0_PT_PKiS8_S8_iillllPKfS8_
	.p2align	8
	.type	_ZN4vllm30gather_and_maybe_dequant_cacheIffLNS_18Fp8KVCacheDataTypeE0ELi576ELi64EEEvPKT0_PT_PKiS8_S8_iillllPKfS8_,@function
_ZN4vllm30gather_and_maybe_dequant_cacheIffLNS_18Fp8KVCacheDataTypeE0ELi576ELi64EEEvPKT0_PT_PKiS8_S8_iillllPKfS8_: ; @_ZN4vllm30gather_and_maybe_dequant_cacheIffLNS_18Fp8KVCacheDataTypeE0ELi576ELi64EEEvPKT0_PT_PKiS8_S8_iillllPKfS8_
; %bb.0:
	s_mov_b64 s[18:19], s[0:1]
	s_load_b32 s0, s[0:1], 0x6c
	v_mov_b32_e32 v41, v0
	s_add_u32 s34, s18, 0x60
	s_mov_b32 s28, s15
	s_addc_u32 s35, s19, 0
	s_mov_b32 s32, 0
	s_waitcnt lgkmcnt(0)
	v_cmp_eq_u16_e64 s0, s0, 64
	s_delay_alu instid0(VALU_DEP_1)
	s_and_b32 vcc_lo, exec_lo, s0
	s_mov_b32 s0, -1
	s_cbranch_vccnz .LBB39_2
; %bb.1:
	s_add_u32 s8, s18, 0x60
	s_addc_u32 s9, s19, 0
	s_getpc_b64 s[0:1]
	s_add_u32 s0, s0, .str.2@rel32@lo+4
	s_addc_u32 s1, s1, .str.2@rel32@hi+12
	s_getpc_b64 s[2:3]
	s_add_u32 s2, s2, .str.3@rel32@lo+4
	s_addc_u32 s3, s3, .str.3@rel32@hi+12
	s_getpc_b64 s[4:5]
	s_add_u32 s4, s4, __PRETTY_FUNCTION__._ZN4vllm30gather_and_maybe_dequant_cacheIffLNS_18Fp8KVCacheDataTypeE0ELi576ELi64EEEvPKT0_PT_PKiS8_S8_iillllPKfS8_@rel32@lo+4
	s_addc_u32 s5, s5, __PRETTY_FUNCTION__._ZN4vllm30gather_and_maybe_dequant_cacheIffLNS_18Fp8KVCacheDataTypeE0ELi576ELi64EEEvPKT0_PT_PKiS8_S8_iillllPKfS8_@rel32@hi+12
	v_dual_mov_b32 v0, s0 :: v_dual_mov_b32 v1, s1
	v_dual_mov_b32 v2, s2 :: v_dual_mov_b32 v3, s3
	v_dual_mov_b32 v4, 0x3ef :: v_dual_mov_b32 v5, s4
	v_mov_b32_e32 v6, s5
	s_getpc_b64 s[6:7]
	s_add_u32 s6, s6, __assert_fail@rel32@lo+4
	s_addc_u32 s7, s7, __assert_fail@rel32@hi+12
	s_delay_alu instid0(SALU_CYCLE_1)
	s_swappc_b64 s[30:31], s[6:7]
	; divergent unreachable
	s_mov_b32 s0, 0
.LBB39_2:
	s_delay_alu instid0(SALU_CYCLE_1)
	s_and_not1_b32 vcc_lo, exec_lo, s0
	s_cbranch_vccnz .LBB39_13
; %bb.3:
	s_load_b64 s[2:3], s[18:19], 0x28
	s_waitcnt lgkmcnt(0)
	s_cmp_ge_i32 s28, s2
	s_cbranch_scc1 .LBB39_13
; %bb.4:
	s_clause 0x3
	s_load_b64 s[12:13], s[18:19], 0x58
	s_load_b256 s[4:11], s[18:19], 0x0
	s_load_b256 s[20:27], s[18:19], 0x30
	s_load_b64 s[14:15], s[18:19], 0x20
	s_waitcnt lgkmcnt(0)
	s_load_b32 s21, s[34:35], 0x0
	v_cmp_gt_u32_e64 s0, 0x90, v41
	v_subrev_nc_u32_e32 v6, 64, v41
	v_lshlrev_b32_e32 v1, 4, v41
	s_cmp_lg_u64 s[12:13], 0
	s_delay_alu instid0(VALU_DEP_1)
	v_add_co_u32 v7, s1, s4, v1
	s_cselect_b32 s30, -1, 0
	s_abs_i32 s31, s3
	s_ashr_i32 s33, s3, 31
	v_cvt_f32_u32_e32 v0, s31
	v_add_co_ci_u32_e64 v8, null, s5, 0, s1
	s_delay_alu instid0(VALU_DEP_2) | instskip(SKIP_2) | instid1(VALU_DEP_1)
	v_rcp_iflag_f32_e32 v0, v0
	s_waitcnt_depctr 0xfff
	v_mul_f32_e32 v0, 0x4f7ffffe, v0
	v_cvt_u32_f32_e32 v0, v0
	s_delay_alu instid0(VALU_DEP_1) | instskip(SKIP_3) | instid1(VALU_DEP_3)
	v_readfirstlane_b32 s1, v0
	v_add_co_u32 v0, s4, s6, v1
	s_sub_i32 s6, 0, s31
	v_add_co_ci_u32_e64 v1, null, s7, 0, s4
	s_mul_i32 s6, s6, s1
	s_lshl_b64 s[4:5], s[22:23], 2
	s_mul_hi_u32 s16, s1, s6
	s_lshl_b64 s[6:7], s[24:25], 2
	s_add_i32 s34, s1, s16
	s_lshl_b64 s[16:17], s[26:27], 2
	s_branch .LBB39_7
.LBB39_5:                               ;   in Loop: Header=BB39_7 Depth=1
	s_or_b32 exec_lo, exec_lo, s19
	s_add_i32 s28, s28, s21
	s_delay_alu instid0(SALU_CYCLE_1)
	s_cmp_ge_i32 s28, s2
	s_waitcnt lgkmcnt(0)
	s_cselect_b32 s1, -1, 0
.LBB39_6:                               ;   in Loop: Header=BB39_7 Depth=1
	s_delay_alu instid0(SALU_CYCLE_1)
	s_and_b32 vcc_lo, exec_lo, s1
	s_cbranch_vccnz .LBB39_13
.LBB39_7:                               ; =>This Loop Header: Depth=1
                                        ;     Child Loop BB39_12 Depth 2
	s_ashr_i32 s29, s28, 31
	s_mov_b32 s1, -1
	s_lshl_b64 s[18:19], s[28:29], 2
	s_delay_alu instid0(SALU_CYCLE_1) | instskip(SKIP_4) | instid1(SALU_CYCLE_1)
	s_add_u32 s18, s14, s18
	s_addc_u32 s19, s15, s19
	s_load_b32 s18, s[18:19], 0x0
	s_waitcnt lgkmcnt(0)
	s_ashr_i32 s19, s18, 31
	s_lshl_b64 s[24:25], s[18:19], 2
	s_delay_alu instid0(SALU_CYCLE_1)
	s_add_u32 s22, s10, s24
	s_addc_u32 s23, s11, s25
	s_load_b64 s[22:23], s[22:23], 0x0
	s_waitcnt lgkmcnt(0)
	s_cmp_ge_i32 s28, s23
	s_cbranch_scc1 .LBB39_6
; %bb.8:                                ;   in Loop: Header=BB39_7 Depth=1
	s_and_not1_b32 vcc_lo, exec_lo, s30
	s_cbranch_vccnz .LBB39_10
; %bb.9:                                ;   in Loop: Header=BB39_7 Depth=1
	s_add_u32 s24, s12, s24
	s_addc_u32 s25, s13, s25
	s_load_b32 s1, s[24:25], 0x0
	s_and_saveexec_b32 s19, s0
	s_cbranch_execz .LBB39_5
	s_branch .LBB39_11
.LBB39_10:                              ;   in Loop: Header=BB39_7 Depth=1
	s_mov_b32 s1, 0
	s_and_saveexec_b32 s19, s0
	s_cbranch_execz .LBB39_5
.LBB39_11:                              ;   in Loop: Header=BB39_7 Depth=1
	s_sub_i32 s22, s28, s22
	s_mul_i32 s18, s18, s20
	s_waitcnt lgkmcnt(0)
	s_add_i32 s1, s1, s22
	v_mad_u64_u32 v[2:3], null, s16, s28, v[0:1]
	s_abs_i32 s22, s1
	s_ashr_i32 s24, s1, 31
	s_mul_hi_u32 s23, s22, s34
	s_xor_b32 s24, s24, s33
	s_mul_i32 s25, s23, s31
	v_mov_b32_e32 v9, v6
	s_sub_i32 s22, s22, s25
	s_add_i32 s25, s23, 1
	s_sub_i32 s26, s22, s31
	s_cmp_ge_u32 s22, s31
	s_cselect_b32 s23, s25, s23
	s_cselect_b32 s22, s26, s22
	s_add_i32 s25, s23, 1
	s_cmp_ge_u32 s22, s31
	s_cselect_b32 s22, s25, s23
	s_delay_alu instid0(SALU_CYCLE_1) | instskip(NEXT) | instid1(SALU_CYCLE_1)
	s_xor_b32 s22, s22, s24
	s_sub_i32 s24, s22, s24
	s_delay_alu instid0(SALU_CYCLE_1)
	s_add_i32 s22, s24, s18
	s_mul_i32 s24, s24, s3
	s_ashr_i32 s23, s22, 31
	s_sub_i32 s1, s1, s24
	s_lshl_b64 s[22:23], s[22:23], 2
	s_mul_i32 s24, s7, s1
	s_add_u32 s22, s8, s22
	s_addc_u32 s23, s9, s23
	s_load_b32 s18, s[22:23], 0x0
	s_mul_i32 s22, s17, s28
	s_mul_i32 s23, s16, s29
	s_delay_alu instid0(SALU_CYCLE_1)
	v_add3_u32 v3, s23, s22, v3
	s_ashr_i32 s22, s1, 31
	s_mul_hi_u32 s23, s6, s1
	s_mul_i32 s22, s6, s22
	s_mul_i32 s1, s6, s1
	s_add_i32 s22, s23, s22
	s_delay_alu instid0(SALU_CYCLE_1)
	s_add_i32 s22, s22, s24
	s_waitcnt lgkmcnt(0)
	s_ashr_i32 s23, s18, 31
	s_mul_hi_u32 s24, s4, s18
	s_mul_i32 s23, s4, s23
	s_mul_i32 s25, s5, s18
	s_add_i32 s23, s24, s23
	s_mul_i32 s18, s4, s18
	s_add_i32 s23, s23, s25
	s_add_u32 s1, s18, s1
	s_addc_u32 s18, s23, s22
	v_add_co_u32 v4, vcc_lo, v7, s1
	v_add_co_ci_u32_e32 v5, vcc_lo, s18, v8, vcc_lo
	s_mov_b32 s18, 0
	.p2align	6
.LBB39_12:                              ;   Parent Loop BB39_7 Depth=1
                                        ; =>  This Inner Loop Header: Depth=2
	global_load_b128 v[10:13], v[4:5], off
	v_add_nc_u32_e32 v9, 64, v9
	v_add_co_u32 v4, vcc_lo, 0x400, v4
	v_add_co_ci_u32_e32 v5, vcc_lo, 0, v5, vcc_lo
	s_delay_alu instid0(VALU_DEP_3) | instskip(SKIP_4) | instid1(VALU_DEP_1)
	v_cmp_lt_u32_e32 vcc_lo, 0x4f, v9
	s_or_b32 s18, vcc_lo, s18
	s_waitcnt vmcnt(0)
	global_store_b128 v[2:3], v[10:13], off
	v_add_co_u32 v2, s1, 0x400, v2
	v_add_co_ci_u32_e64 v3, s1, 0, v3, s1
	s_and_not1_b32 exec_lo, exec_lo, s18
	s_cbranch_execnz .LBB39_12
	s_branch .LBB39_5
.LBB39_13:
	s_endpgm
	.section	.rodata,"a",@progbits
	.p2align	6, 0x0
	.amdhsa_kernel _ZN4vllm30gather_and_maybe_dequant_cacheIffLNS_18Fp8KVCacheDataTypeE0ELi576ELi64EEEvPKT0_PT_PKiS8_S8_iillllPKfS8_
		.amdhsa_group_segment_fixed_size 0
		.amdhsa_private_segment_fixed_size 64
		.amdhsa_kernarg_size 352
		.amdhsa_user_sgpr_count 15
		.amdhsa_user_sgpr_dispatch_ptr 0
		.amdhsa_user_sgpr_queue_ptr 0
		.amdhsa_user_sgpr_kernarg_segment_ptr 1
		.amdhsa_user_sgpr_dispatch_id 0
		.amdhsa_user_sgpr_private_segment_size 0
		.amdhsa_wavefront_size32 1
		.amdhsa_uses_dynamic_stack 0
		.amdhsa_enable_private_segment 1
		.amdhsa_system_sgpr_workgroup_id_x 1
		.amdhsa_system_sgpr_workgroup_id_y 0
		.amdhsa_system_sgpr_workgroup_id_z 0
		.amdhsa_system_sgpr_workgroup_info 0
		.amdhsa_system_vgpr_workitem_id 0
		.amdhsa_next_free_vgpr 53
		.amdhsa_next_free_sgpr 36
		.amdhsa_reserve_vcc 1
		.amdhsa_float_round_mode_32 0
		.amdhsa_float_round_mode_16_64 0
		.amdhsa_float_denorm_mode_32 3
		.amdhsa_float_denorm_mode_16_64 3
		.amdhsa_dx10_clamp 1
		.amdhsa_ieee_mode 1
		.amdhsa_fp16_overflow 0
		.amdhsa_workgroup_processor_mode 1
		.amdhsa_memory_ordered 1
		.amdhsa_forward_progress 0
		.amdhsa_shared_vgpr_count 0
		.amdhsa_exception_fp_ieee_invalid_op 0
		.amdhsa_exception_fp_denorm_src 0
		.amdhsa_exception_fp_ieee_div_zero 0
		.amdhsa_exception_fp_ieee_overflow 0
		.amdhsa_exception_fp_ieee_underflow 0
		.amdhsa_exception_fp_ieee_inexact 0
		.amdhsa_exception_int_div_zero 0
	.end_amdhsa_kernel
	.section	.text._ZN4vllm30gather_and_maybe_dequant_cacheIffLNS_18Fp8KVCacheDataTypeE0ELi576ELi64EEEvPKT0_PT_PKiS8_S8_iillllPKfS8_,"axG",@progbits,_ZN4vllm30gather_and_maybe_dequant_cacheIffLNS_18Fp8KVCacheDataTypeE0ELi576ELi64EEEvPKT0_PT_PKiS8_S8_iillllPKfS8_,comdat
.Lfunc_end39:
	.size	_ZN4vllm30gather_and_maybe_dequant_cacheIffLNS_18Fp8KVCacheDataTypeE0ELi576ELi64EEEvPKT0_PT_PKiS8_S8_iillllPKfS8_, .Lfunc_end39-_ZN4vllm30gather_and_maybe_dequant_cacheIffLNS_18Fp8KVCacheDataTypeE0ELi576ELi64EEEvPKT0_PT_PKiS8_S8_iillllPKfS8_
                                        ; -- End function
	.section	.AMDGPU.csdata,"",@progbits
; Kernel info:
; codeLenInByte = 916
; NumSgprs: 38
; NumVgprs: 53
; ScratchSize: 64
; MemoryBound: 0
; FloatMode: 240
; IeeeMode: 1
; LDSByteSize: 0 bytes/workgroup (compile time only)
; SGPRBlocks: 4
; VGPRBlocks: 6
; NumSGPRsForWavesPerEU: 38
; NumVGPRsForWavesPerEU: 53
; Occupancy: 16
; WaveLimiterHint : 1
; COMPUTE_PGM_RSRC2:SCRATCH_EN: 1
; COMPUTE_PGM_RSRC2:USER_SGPR: 15
; COMPUTE_PGM_RSRC2:TRAP_HANDLER: 0
; COMPUTE_PGM_RSRC2:TGID_X_EN: 1
; COMPUTE_PGM_RSRC2:TGID_Y_EN: 0
; COMPUTE_PGM_RSRC2:TGID_Z_EN: 0
; COMPUTE_PGM_RSRC2:TIDIG_COMP_CNT: 0
	.section	.text._ZN4vllm30gather_and_maybe_dequant_cacheIttLNS_18Fp8KVCacheDataTypeE0ELi576ELi64EEEvPKT0_PT_PKiS8_S8_iillllPKfS8_,"axG",@progbits,_ZN4vllm30gather_and_maybe_dequant_cacheIttLNS_18Fp8KVCacheDataTypeE0ELi576ELi64EEEvPKT0_PT_PKiS8_S8_iillllPKfS8_,comdat
	.protected	_ZN4vllm30gather_and_maybe_dequant_cacheIttLNS_18Fp8KVCacheDataTypeE0ELi576ELi64EEEvPKT0_PT_PKiS8_S8_iillllPKfS8_ ; -- Begin function _ZN4vllm30gather_and_maybe_dequant_cacheIttLNS_18Fp8KVCacheDataTypeE0ELi576ELi64EEEvPKT0_PT_PKiS8_S8_iillllPKfS8_
	.globl	_ZN4vllm30gather_and_maybe_dequant_cacheIttLNS_18Fp8KVCacheDataTypeE0ELi576ELi64EEEvPKT0_PT_PKiS8_S8_iillllPKfS8_
	.p2align	8
	.type	_ZN4vllm30gather_and_maybe_dequant_cacheIttLNS_18Fp8KVCacheDataTypeE0ELi576ELi64EEEvPKT0_PT_PKiS8_S8_iillllPKfS8_,@function
_ZN4vllm30gather_and_maybe_dequant_cacheIttLNS_18Fp8KVCacheDataTypeE0ELi576ELi64EEEvPKT0_PT_PKiS8_S8_iillllPKfS8_: ; @_ZN4vllm30gather_and_maybe_dequant_cacheIttLNS_18Fp8KVCacheDataTypeE0ELi576ELi64EEEvPKT0_PT_PKiS8_S8_iillllPKfS8_
; %bb.0:
	s_mov_b64 s[18:19], s[0:1]
	s_load_b32 s0, s[0:1], 0x6c
	v_mov_b32_e32 v41, v0
	s_add_u32 s34, s18, 0x60
	s_mov_b32 s28, s15
	s_addc_u32 s35, s19, 0
	s_mov_b32 s32, 0
	s_waitcnt lgkmcnt(0)
	v_cmp_eq_u16_e64 s0, s0, 64
	s_delay_alu instid0(VALU_DEP_1)
	s_and_b32 vcc_lo, exec_lo, s0
	s_mov_b32 s0, -1
	s_cbranch_vccnz .LBB40_2
; %bb.1:
	s_add_u32 s8, s18, 0x60
	s_addc_u32 s9, s19, 0
	s_getpc_b64 s[0:1]
	s_add_u32 s0, s0, .str.2@rel32@lo+4
	s_addc_u32 s1, s1, .str.2@rel32@hi+12
	s_getpc_b64 s[2:3]
	s_add_u32 s2, s2, .str.3@rel32@lo+4
	s_addc_u32 s3, s3, .str.3@rel32@hi+12
	s_getpc_b64 s[4:5]
	s_add_u32 s4, s4, __PRETTY_FUNCTION__._ZN4vllm30gather_and_maybe_dequant_cacheIttLNS_18Fp8KVCacheDataTypeE0ELi576ELi64EEEvPKT0_PT_PKiS8_S8_iillllPKfS8_@rel32@lo+4
	s_addc_u32 s5, s5, __PRETTY_FUNCTION__._ZN4vllm30gather_and_maybe_dequant_cacheIttLNS_18Fp8KVCacheDataTypeE0ELi576ELi64EEEvPKT0_PT_PKiS8_S8_iillllPKfS8_@rel32@hi+12
	v_dual_mov_b32 v0, s0 :: v_dual_mov_b32 v1, s1
	v_dual_mov_b32 v2, s2 :: v_dual_mov_b32 v3, s3
	;; [unrolled: 1-line block ×3, first 2 shown]
	v_mov_b32_e32 v6, s5
	s_getpc_b64 s[6:7]
	s_add_u32 s6, s6, __assert_fail@rel32@lo+4
	s_addc_u32 s7, s7, __assert_fail@rel32@hi+12
	s_delay_alu instid0(SALU_CYCLE_1)
	s_swappc_b64 s[30:31], s[6:7]
	; divergent unreachable
	s_mov_b32 s0, 0
.LBB40_2:
	s_delay_alu instid0(SALU_CYCLE_1)
	s_and_not1_b32 vcc_lo, exec_lo, s0
	s_cbranch_vccnz .LBB40_13
; %bb.3:
	s_load_b64 s[2:3], s[18:19], 0x28
	s_waitcnt lgkmcnt(0)
	s_cmp_ge_i32 s28, s2
	s_cbranch_scc1 .LBB40_13
; %bb.4:
	s_clause 0x3
	s_load_b64 s[12:13], s[18:19], 0x58
	s_load_b256 s[4:11], s[18:19], 0x0
	s_load_b256 s[20:27], s[18:19], 0x30
	s_load_b64 s[14:15], s[18:19], 0x20
	s_waitcnt lgkmcnt(0)
	s_load_b32 s21, s[34:35], 0x0
	v_cmp_gt_u32_e64 s0, 0x48, v41
	v_subrev_nc_u32_e32 v6, 64, v41
	v_lshlrev_b32_e32 v1, 4, v41
	s_cmp_lg_u64 s[12:13], 0
	s_delay_alu instid0(VALU_DEP_1)
	v_add_co_u32 v7, s1, s4, v1
	s_cselect_b32 s30, -1, 0
	s_abs_i32 s31, s3
	s_ashr_i32 s33, s3, 31
	v_cvt_f32_u32_e32 v0, s31
	v_add_co_ci_u32_e64 v8, null, s5, 0, s1
	s_delay_alu instid0(VALU_DEP_2) | instskip(SKIP_2) | instid1(VALU_DEP_1)
	v_rcp_iflag_f32_e32 v0, v0
	s_waitcnt_depctr 0xfff
	v_mul_f32_e32 v0, 0x4f7ffffe, v0
	v_cvt_u32_f32_e32 v0, v0
	s_delay_alu instid0(VALU_DEP_1) | instskip(SKIP_3) | instid1(VALU_DEP_3)
	v_readfirstlane_b32 s1, v0
	v_add_co_u32 v0, s4, s6, v1
	s_sub_i32 s6, 0, s31
	v_add_co_ci_u32_e64 v1, null, s7, 0, s4
	s_mul_i32 s6, s6, s1
	s_lshl_b64 s[4:5], s[22:23], 1
	s_mul_hi_u32 s16, s1, s6
	s_lshl_b64 s[6:7], s[24:25], 1
	s_add_i32 s34, s1, s16
	s_lshl_b64 s[16:17], s[26:27], 1
	s_branch .LBB40_7
.LBB40_5:                               ;   in Loop: Header=BB40_7 Depth=1
	s_or_b32 exec_lo, exec_lo, s19
	s_add_i32 s28, s28, s21
	s_delay_alu instid0(SALU_CYCLE_1)
	s_cmp_ge_i32 s28, s2
	s_waitcnt lgkmcnt(0)
	s_cselect_b32 s1, -1, 0
.LBB40_6:                               ;   in Loop: Header=BB40_7 Depth=1
	s_delay_alu instid0(SALU_CYCLE_1)
	s_and_b32 vcc_lo, exec_lo, s1
	s_cbranch_vccnz .LBB40_13
.LBB40_7:                               ; =>This Loop Header: Depth=1
                                        ;     Child Loop BB40_12 Depth 2
	s_ashr_i32 s29, s28, 31
	s_mov_b32 s1, -1
	s_lshl_b64 s[18:19], s[28:29], 2
	s_delay_alu instid0(SALU_CYCLE_1) | instskip(SKIP_4) | instid1(SALU_CYCLE_1)
	s_add_u32 s18, s14, s18
	s_addc_u32 s19, s15, s19
	s_load_b32 s18, s[18:19], 0x0
	s_waitcnt lgkmcnt(0)
	s_ashr_i32 s19, s18, 31
	s_lshl_b64 s[24:25], s[18:19], 2
	s_delay_alu instid0(SALU_CYCLE_1)
	s_add_u32 s22, s10, s24
	s_addc_u32 s23, s11, s25
	s_load_b64 s[22:23], s[22:23], 0x0
	s_waitcnt lgkmcnt(0)
	s_cmp_ge_i32 s28, s23
	s_cbranch_scc1 .LBB40_6
; %bb.8:                                ;   in Loop: Header=BB40_7 Depth=1
	s_and_not1_b32 vcc_lo, exec_lo, s30
	s_cbranch_vccnz .LBB40_10
; %bb.9:                                ;   in Loop: Header=BB40_7 Depth=1
	s_add_u32 s24, s12, s24
	s_addc_u32 s25, s13, s25
	s_load_b32 s1, s[24:25], 0x0
	s_and_saveexec_b32 s19, s0
	s_cbranch_execz .LBB40_5
	s_branch .LBB40_11
.LBB40_10:                              ;   in Loop: Header=BB40_7 Depth=1
	s_mov_b32 s1, 0
	s_and_saveexec_b32 s19, s0
	s_cbranch_execz .LBB40_5
.LBB40_11:                              ;   in Loop: Header=BB40_7 Depth=1
	s_sub_i32 s22, s28, s22
	s_mul_i32 s18, s18, s20
	s_waitcnt lgkmcnt(0)
	s_add_i32 s1, s1, s22
	v_mad_u64_u32 v[2:3], null, s16, s28, v[0:1]
	s_abs_i32 s22, s1
	s_ashr_i32 s24, s1, 31
	s_mul_hi_u32 s23, s22, s34
	s_xor_b32 s24, s24, s33
	s_mul_i32 s25, s23, s31
	v_mov_b32_e32 v9, v6
	s_sub_i32 s22, s22, s25
	s_add_i32 s25, s23, 1
	s_sub_i32 s26, s22, s31
	s_cmp_ge_u32 s22, s31
	s_cselect_b32 s23, s25, s23
	s_cselect_b32 s22, s26, s22
	s_add_i32 s25, s23, 1
	s_cmp_ge_u32 s22, s31
	s_cselect_b32 s22, s25, s23
	s_delay_alu instid0(SALU_CYCLE_1) | instskip(NEXT) | instid1(SALU_CYCLE_1)
	s_xor_b32 s22, s22, s24
	s_sub_i32 s24, s22, s24
	s_delay_alu instid0(SALU_CYCLE_1)
	s_add_i32 s22, s24, s18
	s_mul_i32 s24, s24, s3
	s_ashr_i32 s23, s22, 31
	s_sub_i32 s1, s1, s24
	s_lshl_b64 s[22:23], s[22:23], 2
	s_mul_i32 s24, s7, s1
	s_add_u32 s22, s8, s22
	s_addc_u32 s23, s9, s23
	s_load_b32 s18, s[22:23], 0x0
	s_mul_i32 s22, s17, s28
	s_mul_i32 s23, s16, s29
	s_delay_alu instid0(SALU_CYCLE_1)
	v_add3_u32 v3, s23, s22, v3
	s_ashr_i32 s22, s1, 31
	s_mul_hi_u32 s23, s6, s1
	s_mul_i32 s22, s6, s22
	s_mul_i32 s1, s6, s1
	s_add_i32 s22, s23, s22
	s_delay_alu instid0(SALU_CYCLE_1)
	s_add_i32 s22, s22, s24
	s_waitcnt lgkmcnt(0)
	s_ashr_i32 s23, s18, 31
	s_mul_hi_u32 s24, s4, s18
	s_mul_i32 s23, s4, s23
	s_mul_i32 s25, s5, s18
	s_add_i32 s23, s24, s23
	s_mul_i32 s18, s4, s18
	s_add_i32 s23, s23, s25
	s_add_u32 s1, s18, s1
	s_addc_u32 s18, s23, s22
	v_add_co_u32 v4, vcc_lo, v7, s1
	v_add_co_ci_u32_e32 v5, vcc_lo, s18, v8, vcc_lo
	s_mov_b32 s18, 0
	.p2align	6
.LBB40_12:                              ;   Parent Loop BB40_7 Depth=1
                                        ; =>  This Inner Loop Header: Depth=2
	global_load_b128 v[10:13], v[4:5], off
	v_add_nc_u32_e32 v9, 64, v9
	v_add_co_u32 v4, vcc_lo, 0x400, v4
	v_add_co_ci_u32_e32 v5, vcc_lo, 0, v5, vcc_lo
	s_delay_alu instid0(VALU_DEP_3) | instskip(SKIP_4) | instid1(VALU_DEP_1)
	v_cmp_lt_u32_e32 vcc_lo, 7, v9
	s_or_b32 s18, vcc_lo, s18
	s_waitcnt vmcnt(0)
	global_store_b128 v[2:3], v[10:13], off
	v_add_co_u32 v2, s1, 0x400, v2
	v_add_co_ci_u32_e64 v3, s1, 0, v3, s1
	s_and_not1_b32 exec_lo, exec_lo, s18
	s_cbranch_execnz .LBB40_12
	s_branch .LBB40_5
.LBB40_13:
	s_endpgm
	.section	.rodata,"a",@progbits
	.p2align	6, 0x0
	.amdhsa_kernel _ZN4vllm30gather_and_maybe_dequant_cacheIttLNS_18Fp8KVCacheDataTypeE0ELi576ELi64EEEvPKT0_PT_PKiS8_S8_iillllPKfS8_
		.amdhsa_group_segment_fixed_size 0
		.amdhsa_private_segment_fixed_size 64
		.amdhsa_kernarg_size 352
		.amdhsa_user_sgpr_count 15
		.amdhsa_user_sgpr_dispatch_ptr 0
		.amdhsa_user_sgpr_queue_ptr 0
		.amdhsa_user_sgpr_kernarg_segment_ptr 1
		.amdhsa_user_sgpr_dispatch_id 0
		.amdhsa_user_sgpr_private_segment_size 0
		.amdhsa_wavefront_size32 1
		.amdhsa_uses_dynamic_stack 0
		.amdhsa_enable_private_segment 1
		.amdhsa_system_sgpr_workgroup_id_x 1
		.amdhsa_system_sgpr_workgroup_id_y 0
		.amdhsa_system_sgpr_workgroup_id_z 0
		.amdhsa_system_sgpr_workgroup_info 0
		.amdhsa_system_vgpr_workitem_id 0
		.amdhsa_next_free_vgpr 53
		.amdhsa_next_free_sgpr 36
		.amdhsa_reserve_vcc 1
		.amdhsa_float_round_mode_32 0
		.amdhsa_float_round_mode_16_64 0
		.amdhsa_float_denorm_mode_32 3
		.amdhsa_float_denorm_mode_16_64 3
		.amdhsa_dx10_clamp 1
		.amdhsa_ieee_mode 1
		.amdhsa_fp16_overflow 0
		.amdhsa_workgroup_processor_mode 1
		.amdhsa_memory_ordered 1
		.amdhsa_forward_progress 0
		.amdhsa_shared_vgpr_count 0
		.amdhsa_exception_fp_ieee_invalid_op 0
		.amdhsa_exception_fp_denorm_src 0
		.amdhsa_exception_fp_ieee_div_zero 0
		.amdhsa_exception_fp_ieee_overflow 0
		.amdhsa_exception_fp_ieee_underflow 0
		.amdhsa_exception_fp_ieee_inexact 0
		.amdhsa_exception_int_div_zero 0
	.end_amdhsa_kernel
	.section	.text._ZN4vllm30gather_and_maybe_dequant_cacheIttLNS_18Fp8KVCacheDataTypeE0ELi576ELi64EEEvPKT0_PT_PKiS8_S8_iillllPKfS8_,"axG",@progbits,_ZN4vllm30gather_and_maybe_dequant_cacheIttLNS_18Fp8KVCacheDataTypeE0ELi576ELi64EEEvPKT0_PT_PKiS8_S8_iillllPKfS8_,comdat
.Lfunc_end40:
	.size	_ZN4vllm30gather_and_maybe_dequant_cacheIttLNS_18Fp8KVCacheDataTypeE0ELi576ELi64EEEvPKT0_PT_PKiS8_S8_iillllPKfS8_, .Lfunc_end40-_ZN4vllm30gather_and_maybe_dequant_cacheIttLNS_18Fp8KVCacheDataTypeE0ELi576ELi64EEEvPKT0_PT_PKiS8_S8_iillllPKfS8_
                                        ; -- End function
	.section	.AMDGPU.csdata,"",@progbits
; Kernel info:
; codeLenInByte = 912
; NumSgprs: 38
; NumVgprs: 53
; ScratchSize: 64
; MemoryBound: 0
; FloatMode: 240
; IeeeMode: 1
; LDSByteSize: 0 bytes/workgroup (compile time only)
; SGPRBlocks: 4
; VGPRBlocks: 6
; NumSGPRsForWavesPerEU: 38
; NumVGPRsForWavesPerEU: 53
; Occupancy: 16
; WaveLimiterHint : 1
; COMPUTE_PGM_RSRC2:SCRATCH_EN: 1
; COMPUTE_PGM_RSRC2:USER_SGPR: 15
; COMPUTE_PGM_RSRC2:TRAP_HANDLER: 0
; COMPUTE_PGM_RSRC2:TGID_X_EN: 1
; COMPUTE_PGM_RSRC2:TGID_Y_EN: 0
; COMPUTE_PGM_RSRC2:TGID_Z_EN: 0
; COMPUTE_PGM_RSRC2:TIDIG_COMP_CNT: 0
	.section	.text._ZN4vllm30gather_and_maybe_dequant_cacheI14__hip_bfloat16S1_LNS_18Fp8KVCacheDataTypeE0ELi576ELi64EEEvPKT0_PT_PKiS9_S9_iillllPKfS9_,"axG",@progbits,_ZN4vllm30gather_and_maybe_dequant_cacheI14__hip_bfloat16S1_LNS_18Fp8KVCacheDataTypeE0ELi576ELi64EEEvPKT0_PT_PKiS9_S9_iillllPKfS9_,comdat
	.protected	_ZN4vllm30gather_and_maybe_dequant_cacheI14__hip_bfloat16S1_LNS_18Fp8KVCacheDataTypeE0ELi576ELi64EEEvPKT0_PT_PKiS9_S9_iillllPKfS9_ ; -- Begin function _ZN4vllm30gather_and_maybe_dequant_cacheI14__hip_bfloat16S1_LNS_18Fp8KVCacheDataTypeE0ELi576ELi64EEEvPKT0_PT_PKiS9_S9_iillllPKfS9_
	.globl	_ZN4vllm30gather_and_maybe_dequant_cacheI14__hip_bfloat16S1_LNS_18Fp8KVCacheDataTypeE0ELi576ELi64EEEvPKT0_PT_PKiS9_S9_iillllPKfS9_
	.p2align	8
	.type	_ZN4vllm30gather_and_maybe_dequant_cacheI14__hip_bfloat16S1_LNS_18Fp8KVCacheDataTypeE0ELi576ELi64EEEvPKT0_PT_PKiS9_S9_iillllPKfS9_,@function
_ZN4vllm30gather_and_maybe_dequant_cacheI14__hip_bfloat16S1_LNS_18Fp8KVCacheDataTypeE0ELi576ELi64EEEvPKT0_PT_PKiS9_S9_iillllPKfS9_: ; @_ZN4vllm30gather_and_maybe_dequant_cacheI14__hip_bfloat16S1_LNS_18Fp8KVCacheDataTypeE0ELi576ELi64EEEvPKT0_PT_PKiS9_S9_iillllPKfS9_
; %bb.0:
	s_mov_b64 s[18:19], s[0:1]
	s_load_b32 s0, s[0:1], 0x6c
	v_mov_b32_e32 v41, v0
	s_add_u32 s34, s18, 0x60
	s_mov_b32 s28, s15
	s_addc_u32 s35, s19, 0
	s_mov_b32 s32, 0
	s_waitcnt lgkmcnt(0)
	v_cmp_eq_u16_e64 s0, s0, 64
	s_delay_alu instid0(VALU_DEP_1)
	s_and_b32 vcc_lo, exec_lo, s0
	s_mov_b32 s0, -1
	s_cbranch_vccnz .LBB41_2
; %bb.1:
	s_add_u32 s8, s18, 0x60
	s_addc_u32 s9, s19, 0
	s_getpc_b64 s[0:1]
	s_add_u32 s0, s0, .str.2@rel32@lo+4
	s_addc_u32 s1, s1, .str.2@rel32@hi+12
	s_getpc_b64 s[2:3]
	s_add_u32 s2, s2, .str.3@rel32@lo+4
	s_addc_u32 s3, s3, .str.3@rel32@hi+12
	s_getpc_b64 s[4:5]
	s_add_u32 s4, s4, __PRETTY_FUNCTION__._ZN4vllm30gather_and_maybe_dequant_cacheI14__hip_bfloat16S1_LNS_18Fp8KVCacheDataTypeE0ELi576ELi64EEEvPKT0_PT_PKiS9_S9_iillllPKfS9_@rel32@lo+4
	s_addc_u32 s5, s5, __PRETTY_FUNCTION__._ZN4vllm30gather_and_maybe_dequant_cacheI14__hip_bfloat16S1_LNS_18Fp8KVCacheDataTypeE0ELi576ELi64EEEvPKT0_PT_PKiS9_S9_iillllPKfS9_@rel32@hi+12
	v_dual_mov_b32 v0, s0 :: v_dual_mov_b32 v1, s1
	v_dual_mov_b32 v2, s2 :: v_dual_mov_b32 v3, s3
	;; [unrolled: 1-line block ×3, first 2 shown]
	v_mov_b32_e32 v6, s5
	s_getpc_b64 s[6:7]
	s_add_u32 s6, s6, __assert_fail@rel32@lo+4
	s_addc_u32 s7, s7, __assert_fail@rel32@hi+12
	s_delay_alu instid0(SALU_CYCLE_1)
	s_swappc_b64 s[30:31], s[6:7]
	; divergent unreachable
	s_mov_b32 s0, 0
.LBB41_2:
	s_delay_alu instid0(SALU_CYCLE_1)
	s_and_not1_b32 vcc_lo, exec_lo, s0
	s_cbranch_vccnz .LBB41_13
; %bb.3:
	s_load_b64 s[2:3], s[18:19], 0x28
	s_waitcnt lgkmcnt(0)
	s_cmp_ge_i32 s28, s2
	s_cbranch_scc1 .LBB41_13
; %bb.4:
	s_clause 0x3
	s_load_b64 s[12:13], s[18:19], 0x58
	s_load_b256 s[4:11], s[18:19], 0x0
	s_load_b256 s[20:27], s[18:19], 0x30
	s_load_b64 s[14:15], s[18:19], 0x20
	s_waitcnt lgkmcnt(0)
	s_load_b32 s21, s[34:35], 0x0
	v_cmp_gt_u32_e64 s0, 0x48, v41
	v_subrev_nc_u32_e32 v6, 64, v41
	v_lshlrev_b32_e32 v1, 4, v41
	s_cmp_lg_u64 s[12:13], 0
	s_delay_alu instid0(VALU_DEP_1)
	v_add_co_u32 v7, s1, s4, v1
	s_cselect_b32 s30, -1, 0
	s_abs_i32 s31, s3
	s_ashr_i32 s33, s3, 31
	v_cvt_f32_u32_e32 v0, s31
	v_add_co_ci_u32_e64 v8, null, s5, 0, s1
	s_delay_alu instid0(VALU_DEP_2) | instskip(SKIP_2) | instid1(VALU_DEP_1)
	v_rcp_iflag_f32_e32 v0, v0
	s_waitcnt_depctr 0xfff
	v_mul_f32_e32 v0, 0x4f7ffffe, v0
	v_cvt_u32_f32_e32 v0, v0
	s_delay_alu instid0(VALU_DEP_1) | instskip(SKIP_3) | instid1(VALU_DEP_3)
	v_readfirstlane_b32 s1, v0
	v_add_co_u32 v0, s4, s6, v1
	s_sub_i32 s6, 0, s31
	v_add_co_ci_u32_e64 v1, null, s7, 0, s4
	s_mul_i32 s6, s6, s1
	s_lshl_b64 s[4:5], s[22:23], 1
	s_mul_hi_u32 s16, s1, s6
	s_lshl_b64 s[6:7], s[24:25], 1
	s_add_i32 s34, s1, s16
	s_lshl_b64 s[16:17], s[26:27], 1
	s_branch .LBB41_7
.LBB41_5:                               ;   in Loop: Header=BB41_7 Depth=1
	s_or_b32 exec_lo, exec_lo, s19
	s_add_i32 s28, s28, s21
	s_delay_alu instid0(SALU_CYCLE_1)
	s_cmp_ge_i32 s28, s2
	s_waitcnt lgkmcnt(0)
	s_cselect_b32 s1, -1, 0
.LBB41_6:                               ;   in Loop: Header=BB41_7 Depth=1
	s_delay_alu instid0(SALU_CYCLE_1)
	s_and_b32 vcc_lo, exec_lo, s1
	s_cbranch_vccnz .LBB41_13
.LBB41_7:                               ; =>This Loop Header: Depth=1
                                        ;     Child Loop BB41_12 Depth 2
	s_ashr_i32 s29, s28, 31
	s_mov_b32 s1, -1
	s_lshl_b64 s[18:19], s[28:29], 2
	s_delay_alu instid0(SALU_CYCLE_1) | instskip(SKIP_4) | instid1(SALU_CYCLE_1)
	s_add_u32 s18, s14, s18
	s_addc_u32 s19, s15, s19
	s_load_b32 s18, s[18:19], 0x0
	s_waitcnt lgkmcnt(0)
	s_ashr_i32 s19, s18, 31
	s_lshl_b64 s[24:25], s[18:19], 2
	s_delay_alu instid0(SALU_CYCLE_1)
	s_add_u32 s22, s10, s24
	s_addc_u32 s23, s11, s25
	s_load_b64 s[22:23], s[22:23], 0x0
	s_waitcnt lgkmcnt(0)
	s_cmp_ge_i32 s28, s23
	s_cbranch_scc1 .LBB41_6
; %bb.8:                                ;   in Loop: Header=BB41_7 Depth=1
	s_and_not1_b32 vcc_lo, exec_lo, s30
	s_cbranch_vccnz .LBB41_10
; %bb.9:                                ;   in Loop: Header=BB41_7 Depth=1
	s_add_u32 s24, s12, s24
	s_addc_u32 s25, s13, s25
	s_load_b32 s1, s[24:25], 0x0
	s_and_saveexec_b32 s19, s0
	s_cbranch_execz .LBB41_5
	s_branch .LBB41_11
.LBB41_10:                              ;   in Loop: Header=BB41_7 Depth=1
	s_mov_b32 s1, 0
	s_and_saveexec_b32 s19, s0
	s_cbranch_execz .LBB41_5
.LBB41_11:                              ;   in Loop: Header=BB41_7 Depth=1
	s_sub_i32 s22, s28, s22
	s_mul_i32 s18, s18, s20
	s_waitcnt lgkmcnt(0)
	s_add_i32 s1, s1, s22
	v_mad_u64_u32 v[2:3], null, s16, s28, v[0:1]
	s_abs_i32 s22, s1
	s_ashr_i32 s24, s1, 31
	s_mul_hi_u32 s23, s22, s34
	s_xor_b32 s24, s24, s33
	s_mul_i32 s25, s23, s31
	v_mov_b32_e32 v9, v6
	s_sub_i32 s22, s22, s25
	s_add_i32 s25, s23, 1
	s_sub_i32 s26, s22, s31
	s_cmp_ge_u32 s22, s31
	s_cselect_b32 s23, s25, s23
	s_cselect_b32 s22, s26, s22
	s_add_i32 s25, s23, 1
	s_cmp_ge_u32 s22, s31
	s_cselect_b32 s22, s25, s23
	s_delay_alu instid0(SALU_CYCLE_1) | instskip(NEXT) | instid1(SALU_CYCLE_1)
	s_xor_b32 s22, s22, s24
	s_sub_i32 s24, s22, s24
	s_delay_alu instid0(SALU_CYCLE_1)
	s_add_i32 s22, s24, s18
	s_mul_i32 s24, s24, s3
	s_ashr_i32 s23, s22, 31
	s_sub_i32 s1, s1, s24
	s_lshl_b64 s[22:23], s[22:23], 2
	s_mul_i32 s24, s7, s1
	s_add_u32 s22, s8, s22
	s_addc_u32 s23, s9, s23
	s_load_b32 s18, s[22:23], 0x0
	s_mul_i32 s22, s17, s28
	s_mul_i32 s23, s16, s29
	s_delay_alu instid0(SALU_CYCLE_1)
	v_add3_u32 v3, s23, s22, v3
	s_ashr_i32 s22, s1, 31
	s_mul_hi_u32 s23, s6, s1
	s_mul_i32 s22, s6, s22
	s_mul_i32 s1, s6, s1
	s_add_i32 s22, s23, s22
	s_delay_alu instid0(SALU_CYCLE_1)
	s_add_i32 s22, s22, s24
	s_waitcnt lgkmcnt(0)
	s_ashr_i32 s23, s18, 31
	s_mul_hi_u32 s24, s4, s18
	s_mul_i32 s23, s4, s23
	s_mul_i32 s25, s5, s18
	s_add_i32 s23, s24, s23
	s_mul_i32 s18, s4, s18
	s_add_i32 s23, s23, s25
	s_add_u32 s1, s18, s1
	s_addc_u32 s18, s23, s22
	v_add_co_u32 v4, vcc_lo, v7, s1
	v_add_co_ci_u32_e32 v5, vcc_lo, s18, v8, vcc_lo
	s_mov_b32 s18, 0
	.p2align	6
.LBB41_12:                              ;   Parent Loop BB41_7 Depth=1
                                        ; =>  This Inner Loop Header: Depth=2
	global_load_b128 v[10:13], v[4:5], off
	v_add_nc_u32_e32 v9, 64, v9
	v_add_co_u32 v4, vcc_lo, 0x400, v4
	v_add_co_ci_u32_e32 v5, vcc_lo, 0, v5, vcc_lo
	s_delay_alu instid0(VALU_DEP_3) | instskip(SKIP_4) | instid1(VALU_DEP_1)
	v_cmp_lt_u32_e32 vcc_lo, 7, v9
	s_or_b32 s18, vcc_lo, s18
	s_waitcnt vmcnt(0)
	global_store_b128 v[2:3], v[10:13], off
	v_add_co_u32 v2, s1, 0x400, v2
	v_add_co_ci_u32_e64 v3, s1, 0, v3, s1
	s_and_not1_b32 exec_lo, exec_lo, s18
	s_cbranch_execnz .LBB41_12
	s_branch .LBB41_5
.LBB41_13:
	s_endpgm
	.section	.rodata,"a",@progbits
	.p2align	6, 0x0
	.amdhsa_kernel _ZN4vllm30gather_and_maybe_dequant_cacheI14__hip_bfloat16S1_LNS_18Fp8KVCacheDataTypeE0ELi576ELi64EEEvPKT0_PT_PKiS9_S9_iillllPKfS9_
		.amdhsa_group_segment_fixed_size 0
		.amdhsa_private_segment_fixed_size 64
		.amdhsa_kernarg_size 352
		.amdhsa_user_sgpr_count 15
		.amdhsa_user_sgpr_dispatch_ptr 0
		.amdhsa_user_sgpr_queue_ptr 0
		.amdhsa_user_sgpr_kernarg_segment_ptr 1
		.amdhsa_user_sgpr_dispatch_id 0
		.amdhsa_user_sgpr_private_segment_size 0
		.amdhsa_wavefront_size32 1
		.amdhsa_uses_dynamic_stack 0
		.amdhsa_enable_private_segment 1
		.amdhsa_system_sgpr_workgroup_id_x 1
		.amdhsa_system_sgpr_workgroup_id_y 0
		.amdhsa_system_sgpr_workgroup_id_z 0
		.amdhsa_system_sgpr_workgroup_info 0
		.amdhsa_system_vgpr_workitem_id 0
		.amdhsa_next_free_vgpr 53
		.amdhsa_next_free_sgpr 36
		.amdhsa_reserve_vcc 1
		.amdhsa_float_round_mode_32 0
		.amdhsa_float_round_mode_16_64 0
		.amdhsa_float_denorm_mode_32 3
		.amdhsa_float_denorm_mode_16_64 3
		.amdhsa_dx10_clamp 1
		.amdhsa_ieee_mode 1
		.amdhsa_fp16_overflow 0
		.amdhsa_workgroup_processor_mode 1
		.amdhsa_memory_ordered 1
		.amdhsa_forward_progress 0
		.amdhsa_shared_vgpr_count 0
		.amdhsa_exception_fp_ieee_invalid_op 0
		.amdhsa_exception_fp_denorm_src 0
		.amdhsa_exception_fp_ieee_div_zero 0
		.amdhsa_exception_fp_ieee_overflow 0
		.amdhsa_exception_fp_ieee_underflow 0
		.amdhsa_exception_fp_ieee_inexact 0
		.amdhsa_exception_int_div_zero 0
	.end_amdhsa_kernel
	.section	.text._ZN4vllm30gather_and_maybe_dequant_cacheI14__hip_bfloat16S1_LNS_18Fp8KVCacheDataTypeE0ELi576ELi64EEEvPKT0_PT_PKiS9_S9_iillllPKfS9_,"axG",@progbits,_ZN4vllm30gather_and_maybe_dequant_cacheI14__hip_bfloat16S1_LNS_18Fp8KVCacheDataTypeE0ELi576ELi64EEEvPKT0_PT_PKiS9_S9_iillllPKfS9_,comdat
.Lfunc_end41:
	.size	_ZN4vllm30gather_and_maybe_dequant_cacheI14__hip_bfloat16S1_LNS_18Fp8KVCacheDataTypeE0ELi576ELi64EEEvPKT0_PT_PKiS9_S9_iillllPKfS9_, .Lfunc_end41-_ZN4vllm30gather_and_maybe_dequant_cacheI14__hip_bfloat16S1_LNS_18Fp8KVCacheDataTypeE0ELi576ELi64EEEvPKT0_PT_PKiS9_S9_iillllPKfS9_
                                        ; -- End function
	.section	.AMDGPU.csdata,"",@progbits
; Kernel info:
; codeLenInByte = 912
; NumSgprs: 38
; NumVgprs: 53
; ScratchSize: 64
; MemoryBound: 0
; FloatMode: 240
; IeeeMode: 1
; LDSByteSize: 0 bytes/workgroup (compile time only)
; SGPRBlocks: 4
; VGPRBlocks: 6
; NumSGPRsForWavesPerEU: 38
; NumVGPRsForWavesPerEU: 53
; Occupancy: 16
; WaveLimiterHint : 1
; COMPUTE_PGM_RSRC2:SCRATCH_EN: 1
; COMPUTE_PGM_RSRC2:USER_SGPR: 15
; COMPUTE_PGM_RSRC2:TRAP_HANDLER: 0
; COMPUTE_PGM_RSRC2:TGID_X_EN: 1
; COMPUTE_PGM_RSRC2:TGID_Y_EN: 0
; COMPUTE_PGM_RSRC2:TGID_Z_EN: 0
; COMPUTE_PGM_RSRC2:TIDIG_COMP_CNT: 0
	.section	.text._ZN4vllm30gather_and_maybe_dequant_cacheIfhLNS_18Fp8KVCacheDataTypeE1ELi576ELi64EEEvPKT0_PT_PKiS8_S8_iillllPKfS8_,"axG",@progbits,_ZN4vllm30gather_and_maybe_dequant_cacheIfhLNS_18Fp8KVCacheDataTypeE1ELi576ELi64EEEvPKT0_PT_PKiS8_S8_iillllPKfS8_,comdat
	.protected	_ZN4vllm30gather_and_maybe_dequant_cacheIfhLNS_18Fp8KVCacheDataTypeE1ELi576ELi64EEEvPKT0_PT_PKiS8_S8_iillllPKfS8_ ; -- Begin function _ZN4vllm30gather_and_maybe_dequant_cacheIfhLNS_18Fp8KVCacheDataTypeE1ELi576ELi64EEEvPKT0_PT_PKiS8_S8_iillllPKfS8_
	.globl	_ZN4vllm30gather_and_maybe_dequant_cacheIfhLNS_18Fp8KVCacheDataTypeE1ELi576ELi64EEEvPKT0_PT_PKiS8_S8_iillllPKfS8_
	.p2align	8
	.type	_ZN4vllm30gather_and_maybe_dequant_cacheIfhLNS_18Fp8KVCacheDataTypeE1ELi576ELi64EEEvPKT0_PT_PKiS8_S8_iillllPKfS8_,@function
_ZN4vllm30gather_and_maybe_dequant_cacheIfhLNS_18Fp8KVCacheDataTypeE1ELi576ELi64EEEvPKT0_PT_PKiS8_S8_iillllPKfS8_: ; @_ZN4vllm30gather_and_maybe_dequant_cacheIfhLNS_18Fp8KVCacheDataTypeE1ELi576ELi64EEEvPKT0_PT_PKiS8_S8_iillllPKfS8_
; %bb.0:
	s_mov_b64 s[18:19], s[0:1]
	s_load_b32 s0, s[0:1], 0x6c
	v_mov_b32_e32 v41, v0
	s_add_u32 s28, s18, 0x60
	s_mov_b32 s24, s15
	s_addc_u32 s29, s19, 0
	s_mov_b32 s32, 0
	s_waitcnt lgkmcnt(0)
	v_cmp_eq_u16_e64 s0, s0, 64
	s_delay_alu instid0(VALU_DEP_1)
	s_and_b32 vcc_lo, exec_lo, s0
	s_mov_b32 s0, -1
	s_cbranch_vccnz .LBB42_2
; %bb.1:
	s_add_u32 s8, s18, 0x60
	s_addc_u32 s9, s19, 0
	s_getpc_b64 s[0:1]
	s_add_u32 s0, s0, .str.2@rel32@lo+4
	s_addc_u32 s1, s1, .str.2@rel32@hi+12
	s_getpc_b64 s[2:3]
	s_add_u32 s2, s2, .str.3@rel32@lo+4
	s_addc_u32 s3, s3, .str.3@rel32@hi+12
	s_getpc_b64 s[4:5]
	s_add_u32 s4, s4, __PRETTY_FUNCTION__._ZN4vllm30gather_and_maybe_dequant_cacheIfhLNS_18Fp8KVCacheDataTypeE1ELi576ELi64EEEvPKT0_PT_PKiS8_S8_iillllPKfS8_@rel32@lo+4
	s_addc_u32 s5, s5, __PRETTY_FUNCTION__._ZN4vllm30gather_and_maybe_dequant_cacheIfhLNS_18Fp8KVCacheDataTypeE1ELi576ELi64EEEvPKT0_PT_PKiS8_S8_iillllPKfS8_@rel32@hi+12
	v_dual_mov_b32 v0, s0 :: v_dual_mov_b32 v1, s1
	v_dual_mov_b32 v2, s2 :: v_dual_mov_b32 v3, s3
	;; [unrolled: 1-line block ×3, first 2 shown]
	v_mov_b32_e32 v6, s5
	s_getpc_b64 s[6:7]
	s_add_u32 s6, s6, __assert_fail@rel32@lo+4
	s_addc_u32 s7, s7, __assert_fail@rel32@hi+12
	s_delay_alu instid0(SALU_CYCLE_1)
	s_swappc_b64 s[30:31], s[6:7]
	; divergent unreachable
	s_mov_b32 s0, 0
.LBB42_2:
	s_delay_alu instid0(SALU_CYCLE_1)
	s_and_not1_b32 vcc_lo, exec_lo, s0
	s_cbranch_vccnz .LBB42_45
; %bb.3:
	s_load_b64 s[2:3], s[18:19], 0x28
	s_waitcnt lgkmcnt(0)
	s_cmp_ge_i32 s24, s2
	s_cbranch_scc1 .LBB42_45
; %bb.4:
	s_clause 0x2
	s_load_b128 s[20:23], s[18:19], 0x50
	s_load_b256 s[4:11], s[18:19], 0x0
	s_load_b64 s[26:27], s[18:19], 0x20
	s_load_b32 s33, s[28:29], 0x0
	s_load_b256 s[12:19], s[18:19], 0x30
	v_dual_mov_b32 v1, 0 :: v_dual_lshlrev_b32 v2, 2, v41
	v_cmp_gt_u32_e64 s0, 0x90, v41
	v_subrev_nc_u32_e32 v8, 64, v41
	v_lshlrev_b32_e32 v3, 4, v41
	s_waitcnt lgkmcnt(0)
	s_cmp_lg_u64 s[22:23], 0
	v_add_co_u32 v9, s1, s4, v2
	s_cselect_b32 s30, -1, 0
	s_abs_i32 s31, s3
	v_add_co_ci_u32_e64 v10, null, s5, 0, s1
	v_cvt_f32_u32_e32 v0, s31
	s_ashr_i32 s13, s3, 31
	s_delay_alu instid0(VALU_DEP_1) | instskip(SKIP_2) | instid1(VALU_DEP_1)
	v_rcp_iflag_f32_e32 v0, v0
	s_waitcnt_depctr 0xfff
	v_mul_f32_e32 v0, 0x4f7ffffe, v0
	v_cvt_u32_f32_e32 v0, v0
	s_delay_alu instid0(VALU_DEP_1) | instskip(SKIP_1) | instid1(VALU_DEP_1)
	v_readfirstlane_b32 s1, v0
	v_add_co_u32 v0, s4, v3, s6
	v_add_co_ci_u32_e64 v3, null, 0, s7, s4
	s_sub_i32 s4, 0, s31
	s_delay_alu instid0(VALU_DEP_2) | instskip(SKIP_1) | instid1(VALU_DEP_2)
	v_add_co_u32 v2, vcc_lo, v0, 8
	s_mul_i32 s4, s4, s1
	v_add_co_ci_u32_e32 v3, vcc_lo, 0, v3, vcc_lo
	s_mul_hi_u32 s4, s1, s4
	s_delay_alu instid0(SALU_CYCLE_1)
	s_add_i32 s34, s1, s4
	s_lshl_b64 s[4:5], s[18:19], 2
	s_branch .LBB42_7
.LBB42_5:                               ;   in Loop: Header=BB42_7 Depth=1
	s_or_b32 exec_lo, exec_lo, s7
	s_add_i32 s24, s24, s33
	s_delay_alu instid0(SALU_CYCLE_1)
	s_cmp_ge_i32 s24, s2
	s_waitcnt lgkmcnt(0)
	s_cselect_b32 s1, -1, 0
.LBB42_6:                               ;   in Loop: Header=BB42_7 Depth=1
	s_delay_alu instid0(SALU_CYCLE_1)
	s_and_b32 vcc_lo, exec_lo, s1
	s_cbranch_vccnz .LBB42_45
.LBB42_7:                               ; =>This Loop Header: Depth=1
                                        ;     Child Loop BB42_16 Depth 2
	s_ashr_i32 s25, s24, 31
	s_mov_b32 s1, -1
	s_lshl_b64 s[6:7], s[24:25], 2
	s_delay_alu instid0(SALU_CYCLE_1) | instskip(SKIP_4) | instid1(SALU_CYCLE_1)
	s_add_u32 s6, s26, s6
	s_addc_u32 s7, s27, s7
	s_load_b32 s6, s[6:7], 0x0
	s_waitcnt lgkmcnt(0)
	s_ashr_i32 s7, s6, 31
	s_lshl_b64 s[28:29], s[6:7], 2
	s_delay_alu instid0(SALU_CYCLE_1)
	s_add_u32 s18, s10, s28
	s_addc_u32 s19, s11, s29
	s_load_b64 s[18:19], s[18:19], 0x0
	s_waitcnt lgkmcnt(0)
	s_cmp_ge_i32 s24, s19
	s_cbranch_scc1 .LBB42_6
; %bb.8:                                ;   in Loop: Header=BB42_7 Depth=1
	s_and_not1_b32 vcc_lo, exec_lo, s30
	s_cbranch_vccnz .LBB42_10
; %bb.9:                                ;   in Loop: Header=BB42_7 Depth=1
	s_add_u32 s28, s22, s28
	s_addc_u32 s29, s23, s29
	s_load_b32 s1, s[28:29], 0x0
	s_and_saveexec_b32 s7, s0
	s_cbranch_execz .LBB42_5
	s_branch .LBB42_11
.LBB42_10:                              ;   in Loop: Header=BB42_7 Depth=1
	s_mov_b32 s1, 0
	s_and_saveexec_b32 s7, s0
	s_cbranch_execz .LBB42_5
.LBB42_11:                              ;   in Loop: Header=BB42_7 Depth=1
	s_sub_i32 s18, s24, s18
	s_mul_i32 s6, s6, s12
	s_waitcnt lgkmcnt(0)
	s_add_i32 s1, s1, s18
	v_mad_u64_u32 v[4:5], null, s4, s24, v[2:3]
	s_abs_i32 s18, s1
	s_ashr_i32 s28, s1, 31
	s_mul_hi_u32 s19, s18, s34
	s_xor_b32 s28, s28, s13
	s_mul_i32 s29, s19, s31
	s_mul_i32 s25, s4, s25
	s_sub_i32 s18, s18, s29
	s_add_i32 s29, s19, 1
	s_sub_i32 s35, s18, s31
	s_cmp_ge_u32 s18, s31
	v_mov_b32_e32 v11, v8
	s_cselect_b32 s19, s29, s19
	s_cselect_b32 s18, s35, s18
	s_add_i32 s29, s19, 1
	s_cmp_ge_u32 s18, s31
	s_cselect_b32 s18, s29, s19
	s_delay_alu instid0(SALU_CYCLE_1) | instskip(NEXT) | instid1(SALU_CYCLE_1)
	s_xor_b32 s18, s18, s28
	s_sub_i32 s28, s18, s28
	s_delay_alu instid0(SALU_CYCLE_1)
	s_add_i32 s18, s28, s6
	s_mul_i32 s28, s28, s3
	s_ashr_i32 s19, s18, 31
	s_sub_i32 s1, s1, s28
	s_lshl_b64 s[18:19], s[18:19], 2
	s_load_b32 s6, s[20:21], 0x0
	s_add_u32 s18, s8, s18
	s_addc_u32 s19, s9, s19
	s_ashr_i32 s28, s1, 31
	s_load_b32 s18, s[18:19], 0x0
	s_mul_i32 s19, s5, s24
	s_mul_i32 s28, s28, s16
	v_add3_u32 v5, s25, s19, v5
	s_mul_i32 s19, s1, s17
	s_mul_hi_u32 s25, s1, s16
	s_mul_i32 s1, s1, s16
	s_add_i32 s19, s25, s19
	s_delay_alu instid0(SALU_CYCLE_1)
	s_add_i32 s19, s19, s28
	s_waitcnt lgkmcnt(0)
	s_mul_i32 s25, s18, s15
	s_mul_hi_u32 s28, s18, s14
	s_ashr_i32 s29, s18, 31
	s_add_i32 s25, s28, s25
	s_mul_i32 s29, s29, s14
	s_mul_i32 s18, s18, s14
	s_add_i32 s25, s25, s29
	s_add_u32 s1, s18, s1
	s_addc_u32 s18, s25, s19
	v_add_co_u32 v6, vcc_lo, v9, s1
	v_add_co_ci_u32_e32 v7, vcc_lo, s18, v10, vcc_lo
	s_mov_b32 s18, 0
	s_branch .LBB42_16
.LBB42_12:                              ;   in Loop: Header=BB42_16 Depth=2
	s_or_b32 exec_lo, exec_lo, s28
	v_lshlrev_b32_e32 v15, 24, v17
	s_delay_alu instid0(VALU_DEP_2) | instskip(SKIP_1) | instid1(VALU_DEP_3)
	v_lshlrev_b32_e32 v0, 20, v0
	v_lshl_add_u32 v14, v14, 23, 0x3c000000
	v_and_b32_e32 v15, 0x80000000, v15
	s_delay_alu instid0(VALU_DEP_1)
	v_or3_b32 v15, v0, v15, v14
.LBB42_13:                              ;   in Loop: Header=BB42_16 Depth=2
	s_or_b32 exec_lo, exec_lo, s25
.LBB42_14:                              ;   in Loop: Header=BB42_16 Depth=2
	s_delay_alu instid0(SALU_CYCLE_1)
	s_or_b32 exec_lo, exec_lo, s19
.LBB42_15:                              ;   in Loop: Header=BB42_16 Depth=2
	s_delay_alu instid0(SALU_CYCLE_1) | instskip(NEXT) | instid1(VALU_DEP_1)
	s_or_b32 exec_lo, exec_lo, s1
	v_dual_mul_f32 v18, s6, v16 :: v_dual_mul_f32 v19, s6, v15
	v_dual_mul_f32 v17, s6, v12 :: v_dual_mul_f32 v16, s6, v13
	v_add_nc_u32_e32 v11, 64, v11
	v_add_co_u32 v6, vcc_lo, 0x100, v6
	v_add_co_ci_u32_e32 v7, vcc_lo, 0, v7, vcc_lo
	global_store_b128 v[4:5], v[16:19], off offset:-8
	v_cmp_lt_u32_e32 vcc_lo, 0x4f, v11
	v_add_co_u32 v4, s1, 0x400, v4
	s_delay_alu instid0(VALU_DEP_1) | instskip(SKIP_1) | instid1(SALU_CYCLE_1)
	v_add_co_ci_u32_e64 v5, s1, 0, v5, s1
	s_or_b32 s18, vcc_lo, s18
	s_and_not1_b32 exec_lo, exec_lo, s18
	s_cbranch_execz .LBB42_5
.LBB42_16:                              ;   Parent Loop BB42_7 Depth=1
                                        ; =>  This Inner Loop Header: Depth=2
	global_load_b32 v14, v[6:7], off
	v_mov_b32_e32 v12, 0
	s_mov_b32 s1, exec_lo
	s_waitcnt vmcnt(0)
	v_dual_mov_b32 v13, 0 :: v_dual_and_b32 v0, 0xff, v14
	s_delay_alu instid0(VALU_DEP_1)
	v_cmpx_ne_u16_e32 0, v0
	s_cbranch_execz .LBB42_24
; %bb.17:                               ;   in Loop: Header=BB42_16 Depth=2
	v_bfrev_b32_e32 v13, 1
	s_mov_b32 s19, exec_lo
	v_cmpx_ne_u16_e32 0x80, v0
	s_cbranch_execz .LBB42_23
; %bb.18:                               ;   in Loop: Header=BB42_16 Depth=2
	v_and_b32_e32 v15, 0x7f, v14
	v_mov_b32_e32 v13, 0x7f800001
	s_mov_b32 s25, exec_lo
	s_delay_alu instid0(VALU_DEP_2)
	v_cmpx_ne_u32_e32 0x7f, v15
	s_cbranch_execz .LBB42_22
; %bb.19:                               ;   in Loop: Header=BB42_16 Depth=2
	v_and_b32_e32 v0, 7, v14
	v_lshrrev_b32_e32 v13, 3, v15
	s_mov_b32 s28, exec_lo
	v_cmpx_gt_u32_e32 8, v15
; %bb.20:                               ;   in Loop: Header=BB42_16 Depth=2
	s_delay_alu instid0(VALU_DEP_3) | instskip(NEXT) | instid1(VALU_DEP_1)
	v_clz_i32_u32_e32 v13, v0
	v_min_u32_e32 v13, 32, v13
	s_delay_alu instid0(VALU_DEP_1) | instskip(SKIP_1) | instid1(VALU_DEP_2)
	v_subrev_nc_u32_e32 v15, 28, v13
	v_sub_nc_u32_e32 v13, 29, v13
	v_lshlrev_b64 v[15:16], v15, v[0:1]
	s_delay_alu instid0(VALU_DEP_1)
	v_and_b32_e32 v0, 7, v15
; %bb.21:                               ;   in Loop: Header=BB42_16 Depth=2
	s_or_b32 exec_lo, exec_lo, s28
	v_lshlrev_b32_e32 v15, 24, v14
	s_delay_alu instid0(VALU_DEP_2) | instskip(SKIP_1) | instid1(VALU_DEP_3)
	v_lshlrev_b32_e32 v0, 20, v0
	v_lshl_add_u32 v13, v13, 23, 0x3c000000
	v_and_b32_e32 v15, 0x80000000, v15
	s_delay_alu instid0(VALU_DEP_1)
	v_or3_b32 v13, v0, v15, v13
.LBB42_22:                              ;   in Loop: Header=BB42_16 Depth=2
	s_or_b32 exec_lo, exec_lo, s25
.LBB42_23:                              ;   in Loop: Header=BB42_16 Depth=2
	s_delay_alu instid0(SALU_CYCLE_1)
	s_or_b32 exec_lo, exec_lo, s19
.LBB42_24:                              ;   in Loop: Header=BB42_16 Depth=2
	s_delay_alu instid0(SALU_CYCLE_1) | instskip(SKIP_2) | instid1(VALU_DEP_1)
	s_or_b32 exec_lo, exec_lo, s1
	v_lshrrev_b32_e32 v0, 8, v14
	s_mov_b32 s1, exec_lo
	v_and_b32_e32 v15, 0xff, v0
	s_delay_alu instid0(VALU_DEP_1)
	v_cmpx_ne_u16_e32 0, v15
	s_cbranch_execz .LBB42_32
; %bb.25:                               ;   in Loop: Header=BB42_16 Depth=2
	v_bfrev_b32_e32 v12, 1
	s_mov_b32 s19, exec_lo
	v_cmpx_ne_u16_e32 0x80, v15
	s_cbranch_execz .LBB42_31
; %bb.26:                               ;   in Loop: Header=BB42_16 Depth=2
	v_bfe_u32 v15, v14, 8, 7
	v_mov_b32_e32 v12, 0x7f800001
	s_mov_b32 s25, exec_lo
	s_delay_alu instid0(VALU_DEP_2)
	v_cmpx_ne_u32_e32 0x7f, v15
	s_cbranch_execz .LBB42_30
; %bb.27:                               ;   in Loop: Header=BB42_16 Depth=2
	v_and_b32_e32 v0, 7, v0
	v_lshrrev_b32_e32 v12, 3, v15
	s_mov_b32 s28, exec_lo
	v_cmpx_gt_u32_e32 8, v15
; %bb.28:                               ;   in Loop: Header=BB42_16 Depth=2
	s_delay_alu instid0(VALU_DEP_3) | instskip(NEXT) | instid1(VALU_DEP_1)
	v_clz_i32_u32_e32 v12, v0
	v_min_u32_e32 v12, 32, v12
	s_delay_alu instid0(VALU_DEP_1) | instskip(SKIP_1) | instid1(VALU_DEP_2)
	v_subrev_nc_u32_e32 v15, 28, v12
	v_sub_nc_u32_e32 v12, 29, v12
	v_lshlrev_b64 v[15:16], v15, v[0:1]
	s_delay_alu instid0(VALU_DEP_1)
	v_and_b32_e32 v0, 7, v15
; %bb.29:                               ;   in Loop: Header=BB42_16 Depth=2
	s_or_b32 exec_lo, exec_lo, s28
	v_lshlrev_b32_e32 v15, 16, v14
	s_delay_alu instid0(VALU_DEP_2) | instskip(SKIP_1) | instid1(VALU_DEP_3)
	v_lshlrev_b32_e32 v0, 20, v0
	v_lshl_add_u32 v12, v12, 23, 0x3c000000
	v_and_b32_e32 v15, 0x80000000, v15
	s_delay_alu instid0(VALU_DEP_1)
	v_or3_b32 v12, v0, v15, v12
.LBB42_30:                              ;   in Loop: Header=BB42_16 Depth=2
	s_or_b32 exec_lo, exec_lo, s25
.LBB42_31:                              ;   in Loop: Header=BB42_16 Depth=2
	s_delay_alu instid0(SALU_CYCLE_1)
	s_or_b32 exec_lo, exec_lo, s19
.LBB42_32:                              ;   in Loop: Header=BB42_16 Depth=2
	s_delay_alu instid0(SALU_CYCLE_1) | instskip(SKIP_3) | instid1(VALU_DEP_2)
	s_or_b32 exec_lo, exec_lo, s1
	v_lshrrev_b32_e32 v0, 16, v14
	v_mov_b32_e32 v15, 0
	s_mov_b32 s1, exec_lo
	v_dual_mov_b32 v16, 0 :: v_dual_and_b32 v17, 0xff, v0
	s_delay_alu instid0(VALU_DEP_1)
	v_cmpx_ne_u16_e32 0, v17
	s_cbranch_execz .LBB42_40
; %bb.33:                               ;   in Loop: Header=BB42_16 Depth=2
	v_bfrev_b32_e32 v16, 1
	s_mov_b32 s19, exec_lo
	v_cmpx_ne_u16_e32 0x80, v17
	s_cbranch_execz .LBB42_39
; %bb.34:                               ;   in Loop: Header=BB42_16 Depth=2
	v_bfe_u32 v17, v14, 16, 7
	v_mov_b32_e32 v16, 0x7f800001
	s_mov_b32 s25, exec_lo
	s_delay_alu instid0(VALU_DEP_2)
	v_cmpx_ne_u32_e32 0x7f, v17
	s_cbranch_execz .LBB42_38
; %bb.35:                               ;   in Loop: Header=BB42_16 Depth=2
	v_and_b32_e32 v0, 7, v0
	v_lshrrev_b32_e32 v16, 3, v17
	s_mov_b32 s28, exec_lo
	v_cmpx_gt_u32_e32 8, v17
; %bb.36:                               ;   in Loop: Header=BB42_16 Depth=2
	s_delay_alu instid0(VALU_DEP_3) | instskip(NEXT) | instid1(VALU_DEP_1)
	v_clz_i32_u32_e32 v16, v0
	v_min_u32_e32 v16, 32, v16
	s_delay_alu instid0(VALU_DEP_1) | instskip(SKIP_1) | instid1(VALU_DEP_2)
	v_subrev_nc_u32_e32 v17, 28, v16
	v_sub_nc_u32_e32 v16, 29, v16
	v_lshlrev_b64 v[17:18], v17, v[0:1]
	s_delay_alu instid0(VALU_DEP_1)
	v_and_b32_e32 v0, 7, v17
; %bb.37:                               ;   in Loop: Header=BB42_16 Depth=2
	s_or_b32 exec_lo, exec_lo, s28
	v_lshlrev_b32_e32 v17, 8, v14
	s_delay_alu instid0(VALU_DEP_2) | instskip(SKIP_1) | instid1(VALU_DEP_3)
	v_lshlrev_b32_e32 v0, 20, v0
	v_lshl_add_u32 v16, v16, 23, 0x3c000000
	v_and_b32_e32 v17, 0x80000000, v17
	s_delay_alu instid0(VALU_DEP_1)
	v_or3_b32 v16, v0, v17, v16
.LBB42_38:                              ;   in Loop: Header=BB42_16 Depth=2
	s_or_b32 exec_lo, exec_lo, s25
.LBB42_39:                              ;   in Loop: Header=BB42_16 Depth=2
	s_delay_alu instid0(SALU_CYCLE_1)
	s_or_b32 exec_lo, exec_lo, s19
.LBB42_40:                              ;   in Loop: Header=BB42_16 Depth=2
	s_delay_alu instid0(SALU_CYCLE_1) | instskip(NEXT) | instid1(SALU_CYCLE_1)
	s_or_b32 exec_lo, exec_lo, s1
	s_mov_b32 s1, exec_lo
	v_cmpx_lt_u32_e32 0xffffff, v14
	s_cbranch_execz .LBB42_15
; %bb.41:                               ;   in Loop: Header=BB42_16 Depth=2
	v_lshrrev_b32_e32 v17, 24, v14
	v_bfrev_b32_e32 v15, 1
	s_mov_b32 s19, exec_lo
	s_delay_alu instid0(VALU_DEP_2)
	v_cmpx_ne_u32_e32 0x80, v17
	s_cbranch_execz .LBB42_14
; %bb.42:                               ;   in Loop: Header=BB42_16 Depth=2
	v_bfe_u32 v18, v14, 24, 7
	v_mov_b32_e32 v15, 0x7f800001
	s_mov_b32 s25, exec_lo
	s_delay_alu instid0(VALU_DEP_2)
	v_cmpx_ne_u32_e32 0x7f, v18
	s_cbranch_execz .LBB42_13
; %bb.43:                               ;   in Loop: Header=BB42_16 Depth=2
	v_and_b32_e32 v0, 7, v17
	v_lshrrev_b32_e32 v14, 3, v18
	s_mov_b32 s28, exec_lo
	v_cmpx_gt_u32_e32 8, v18
	s_cbranch_execz .LBB42_12
; %bb.44:                               ;   in Loop: Header=BB42_16 Depth=2
	v_clz_i32_u32_e32 v14, v0
	s_delay_alu instid0(VALU_DEP_1) | instskip(NEXT) | instid1(VALU_DEP_1)
	v_min_u32_e32 v14, 32, v14
	v_subrev_nc_u32_e32 v15, 28, v14
	v_sub_nc_u32_e32 v14, 29, v14
	s_delay_alu instid0(VALU_DEP_2) | instskip(NEXT) | instid1(VALU_DEP_1)
	v_lshlrev_b64 v[18:19], v15, v[0:1]
	v_and_b32_e32 v0, 7, v18
	s_branch .LBB42_12
.LBB42_45:
	s_endpgm
	.section	.rodata,"a",@progbits
	.p2align	6, 0x0
	.amdhsa_kernel _ZN4vllm30gather_and_maybe_dequant_cacheIfhLNS_18Fp8KVCacheDataTypeE1ELi576ELi64EEEvPKT0_PT_PKiS8_S8_iillllPKfS8_
		.amdhsa_group_segment_fixed_size 0
		.amdhsa_private_segment_fixed_size 64
		.amdhsa_kernarg_size 352
		.amdhsa_user_sgpr_count 15
		.amdhsa_user_sgpr_dispatch_ptr 0
		.amdhsa_user_sgpr_queue_ptr 0
		.amdhsa_user_sgpr_kernarg_segment_ptr 1
		.amdhsa_user_sgpr_dispatch_id 0
		.amdhsa_user_sgpr_private_segment_size 0
		.amdhsa_wavefront_size32 1
		.amdhsa_uses_dynamic_stack 0
		.amdhsa_enable_private_segment 1
		.amdhsa_system_sgpr_workgroup_id_x 1
		.amdhsa_system_sgpr_workgroup_id_y 0
		.amdhsa_system_sgpr_workgroup_id_z 0
		.amdhsa_system_sgpr_workgroup_info 0
		.amdhsa_system_vgpr_workitem_id 0
		.amdhsa_next_free_vgpr 53
		.amdhsa_next_free_sgpr 36
		.amdhsa_reserve_vcc 1
		.amdhsa_float_round_mode_32 0
		.amdhsa_float_round_mode_16_64 0
		.amdhsa_float_denorm_mode_32 3
		.amdhsa_float_denorm_mode_16_64 3
		.amdhsa_dx10_clamp 1
		.amdhsa_ieee_mode 1
		.amdhsa_fp16_overflow 0
		.amdhsa_workgroup_processor_mode 1
		.amdhsa_memory_ordered 1
		.amdhsa_forward_progress 0
		.amdhsa_shared_vgpr_count 0
		.amdhsa_exception_fp_ieee_invalid_op 0
		.amdhsa_exception_fp_denorm_src 0
		.amdhsa_exception_fp_ieee_div_zero 0
		.amdhsa_exception_fp_ieee_overflow 0
		.amdhsa_exception_fp_ieee_underflow 0
		.amdhsa_exception_fp_ieee_inexact 0
		.amdhsa_exception_int_div_zero 0
	.end_amdhsa_kernel
	.section	.text._ZN4vllm30gather_and_maybe_dequant_cacheIfhLNS_18Fp8KVCacheDataTypeE1ELi576ELi64EEEvPKT0_PT_PKiS8_S8_iillllPKfS8_,"axG",@progbits,_ZN4vllm30gather_and_maybe_dequant_cacheIfhLNS_18Fp8KVCacheDataTypeE1ELi576ELi64EEEvPKT0_PT_PKiS8_S8_iillllPKfS8_,comdat
.Lfunc_end42:
	.size	_ZN4vllm30gather_and_maybe_dequant_cacheIfhLNS_18Fp8KVCacheDataTypeE1ELi576ELi64EEEvPKT0_PT_PKiS8_S8_iillllPKfS8_, .Lfunc_end42-_ZN4vllm30gather_and_maybe_dequant_cacheIfhLNS_18Fp8KVCacheDataTypeE1ELi576ELi64EEEvPKT0_PT_PKiS8_S8_iillllPKfS8_
                                        ; -- End function
	.section	.AMDGPU.csdata,"",@progbits
; Kernel info:
; codeLenInByte = 1796
; NumSgprs: 38
; NumVgprs: 53
; ScratchSize: 64
; MemoryBound: 0
; FloatMode: 240
; IeeeMode: 1
; LDSByteSize: 0 bytes/workgroup (compile time only)
; SGPRBlocks: 4
; VGPRBlocks: 6
; NumSGPRsForWavesPerEU: 38
; NumVGPRsForWavesPerEU: 53
; Occupancy: 16
; WaveLimiterHint : 1
; COMPUTE_PGM_RSRC2:SCRATCH_EN: 1
; COMPUTE_PGM_RSRC2:USER_SGPR: 15
; COMPUTE_PGM_RSRC2:TRAP_HANDLER: 0
; COMPUTE_PGM_RSRC2:TGID_X_EN: 1
; COMPUTE_PGM_RSRC2:TGID_Y_EN: 0
; COMPUTE_PGM_RSRC2:TGID_Z_EN: 0
; COMPUTE_PGM_RSRC2:TIDIG_COMP_CNT: 0
	.section	.text._ZN4vllm30gather_and_maybe_dequant_cacheIthLNS_18Fp8KVCacheDataTypeE1ELi576ELi64EEEvPKT0_PT_PKiS8_S8_iillllPKfS8_,"axG",@progbits,_ZN4vllm30gather_and_maybe_dequant_cacheIthLNS_18Fp8KVCacheDataTypeE1ELi576ELi64EEEvPKT0_PT_PKiS8_S8_iillllPKfS8_,comdat
	.protected	_ZN4vllm30gather_and_maybe_dequant_cacheIthLNS_18Fp8KVCacheDataTypeE1ELi576ELi64EEEvPKT0_PT_PKiS8_S8_iillllPKfS8_ ; -- Begin function _ZN4vllm30gather_and_maybe_dequant_cacheIthLNS_18Fp8KVCacheDataTypeE1ELi576ELi64EEEvPKT0_PT_PKiS8_S8_iillllPKfS8_
	.globl	_ZN4vllm30gather_and_maybe_dequant_cacheIthLNS_18Fp8KVCacheDataTypeE1ELi576ELi64EEEvPKT0_PT_PKiS8_S8_iillllPKfS8_
	.p2align	8
	.type	_ZN4vllm30gather_and_maybe_dequant_cacheIthLNS_18Fp8KVCacheDataTypeE1ELi576ELi64EEEvPKT0_PT_PKiS8_S8_iillllPKfS8_,@function
_ZN4vllm30gather_and_maybe_dequant_cacheIthLNS_18Fp8KVCacheDataTypeE1ELi576ELi64EEEvPKT0_PT_PKiS8_S8_iillllPKfS8_: ; @_ZN4vllm30gather_and_maybe_dequant_cacheIthLNS_18Fp8KVCacheDataTypeE1ELi576ELi64EEEvPKT0_PT_PKiS8_S8_iillllPKfS8_
; %bb.0:
	s_mov_b64 s[18:19], s[0:1]
	s_load_b32 s0, s[0:1], 0x6c
	v_mov_b32_e32 v41, v0
	s_add_u32 s28, s18, 0x60
	s_mov_b32 s24, s15
	s_addc_u32 s29, s19, 0
	s_mov_b32 s32, 0
	s_waitcnt lgkmcnt(0)
	v_cmp_eq_u16_e64 s0, s0, 64
	s_delay_alu instid0(VALU_DEP_1)
	s_and_b32 vcc_lo, exec_lo, s0
	s_mov_b32 s0, -1
	s_cbranch_vccnz .LBB43_2
; %bb.1:
	s_add_u32 s8, s18, 0x60
	s_addc_u32 s9, s19, 0
	s_getpc_b64 s[0:1]
	s_add_u32 s0, s0, .str.2@rel32@lo+4
	s_addc_u32 s1, s1, .str.2@rel32@hi+12
	s_getpc_b64 s[2:3]
	s_add_u32 s2, s2, .str.3@rel32@lo+4
	s_addc_u32 s3, s3, .str.3@rel32@hi+12
	s_getpc_b64 s[4:5]
	s_add_u32 s4, s4, __PRETTY_FUNCTION__._ZN4vllm30gather_and_maybe_dequant_cacheIthLNS_18Fp8KVCacheDataTypeE1ELi576ELi64EEEvPKT0_PT_PKiS8_S8_iillllPKfS8_@rel32@lo+4
	s_addc_u32 s5, s5, __PRETTY_FUNCTION__._ZN4vllm30gather_and_maybe_dequant_cacheIthLNS_18Fp8KVCacheDataTypeE1ELi576ELi64EEEvPKT0_PT_PKiS8_S8_iillllPKfS8_@rel32@hi+12
	v_dual_mov_b32 v0, s0 :: v_dual_mov_b32 v1, s1
	v_dual_mov_b32 v2, s2 :: v_dual_mov_b32 v3, s3
	;; [unrolled: 1-line block ×3, first 2 shown]
	v_mov_b32_e32 v6, s5
	s_getpc_b64 s[6:7]
	s_add_u32 s6, s6, __assert_fail@rel32@lo+4
	s_addc_u32 s7, s7, __assert_fail@rel32@hi+12
	s_delay_alu instid0(SALU_CYCLE_1)
	s_swappc_b64 s[30:31], s[6:7]
	; divergent unreachable
	s_mov_b32 s0, 0
.LBB43_2:
	s_delay_alu instid0(SALU_CYCLE_1)
	s_and_not1_b32 vcc_lo, exec_lo, s0
	s_cbranch_vccnz .LBB43_77
; %bb.3:
	s_load_b64 s[2:3], s[18:19], 0x28
	s_waitcnt lgkmcnt(0)
	s_cmp_ge_i32 s24, s2
	s_cbranch_scc1 .LBB43_77
; %bb.4:
	s_clause 0x2
	s_load_b128 s[20:23], s[18:19], 0x50
	s_load_b256 s[4:11], s[18:19], 0x0
	s_load_b64 s[26:27], s[18:19], 0x20
	s_load_b32 s35, s[28:29], 0x0
	s_load_b256 s[12:19], s[18:19], 0x30
	v_dual_mov_b32 v1, 0 :: v_dual_lshlrev_b32 v2, 3, v41
	v_cmp_gt_u32_e64 s0, 0x48, v41
	v_subrev_nc_u32_e32 v14, 64, v41
	s_mov_b32 s28, -1
	s_mov_b32 s29, 0xffffff
	v_lshlrev_b32_e32 v3, 4, v41
	s_waitcnt lgkmcnt(0)
	s_cmp_lg_u64 s[22:23], 0
	v_add_co_u32 v15, s1, s4, v2
	s_cselect_b32 s33, -1, 0
	s_abs_i32 s34, s3
	v_add_co_ci_u32_e64 v16, null, s5, 0, s1
	v_cvt_f32_u32_e32 v0, s34
	s_ashr_i32 s13, s3, 31
	s_delay_alu instid0(VALU_DEP_1) | instskip(SKIP_2) | instid1(VALU_DEP_1)
	v_rcp_iflag_f32_e32 v0, v0
	s_waitcnt_depctr 0xfff
	v_mul_f32_e32 v0, 0x4f7ffffe, v0
	v_cvt_u32_f32_e32 v0, v0
	s_delay_alu instid0(VALU_DEP_1) | instskip(SKIP_1) | instid1(VALU_DEP_1)
	v_readfirstlane_b32 s1, v0
	v_add_co_u32 v0, s4, v3, s6
	v_add_co_ci_u32_e64 v3, null, 0, s7, s4
	s_sub_i32 s4, 0, s34
	s_delay_alu instid0(VALU_DEP_2) | instskip(SKIP_1) | instid1(VALU_DEP_2)
	v_add_co_u32 v2, vcc_lo, v0, 14
	s_mul_i32 s4, s4, s1
	v_add_co_ci_u32_e32 v3, vcc_lo, 0, v3, vcc_lo
	s_mul_hi_u32 s4, s1, s4
	s_delay_alu instid0(SALU_CYCLE_1)
	s_add_i32 s36, s1, s4
	s_lshl_b64 s[4:5], s[18:19], 1
	s_branch .LBB43_7
.LBB43_5:                               ;   in Loop: Header=BB43_7 Depth=1
	s_or_b32 exec_lo, exec_lo, s7
	s_add_i32 s24, s24, s35
	s_delay_alu instid0(SALU_CYCLE_1)
	s_cmp_ge_i32 s24, s2
	s_waitcnt lgkmcnt(0)
	s_cselect_b32 s1, -1, 0
.LBB43_6:                               ;   in Loop: Header=BB43_7 Depth=1
	s_delay_alu instid0(SALU_CYCLE_1)
	s_and_b32 vcc_lo, exec_lo, s1
	s_cbranch_vccnz .LBB43_77
.LBB43_7:                               ; =>This Loop Header: Depth=1
                                        ;     Child Loop BB43_16 Depth 2
	s_ashr_i32 s25, s24, 31
	s_mov_b32 s1, s28
	s_lshl_b64 s[6:7], s[24:25], 2
	s_delay_alu instid0(SALU_CYCLE_1) | instskip(SKIP_4) | instid1(SALU_CYCLE_1)
	s_add_u32 s6, s26, s6
	s_addc_u32 s7, s27, s7
	s_load_b32 s6, s[6:7], 0x0
	s_waitcnt lgkmcnt(0)
	s_ashr_i32 s7, s6, 31
	s_lshl_b64 s[30:31], s[6:7], 2
	s_delay_alu instid0(SALU_CYCLE_1)
	s_add_u32 s18, s10, s30
	s_addc_u32 s19, s11, s31
	s_load_b64 s[18:19], s[18:19], 0x0
	s_waitcnt lgkmcnt(0)
	s_cmp_ge_i32 s24, s19
	s_cbranch_scc1 .LBB43_6
; %bb.8:                                ;   in Loop: Header=BB43_7 Depth=1
	s_and_not1_b32 vcc_lo, exec_lo, s33
	s_cbranch_vccnz .LBB43_10
; %bb.9:                                ;   in Loop: Header=BB43_7 Depth=1
	s_add_u32 s30, s22, s30
	s_addc_u32 s31, s23, s31
	s_load_b32 s1, s[30:31], 0x0
	s_and_saveexec_b32 s7, s0
	s_cbranch_execz .LBB43_5
	s_branch .LBB43_11
.LBB43_10:                              ;   in Loop: Header=BB43_7 Depth=1
	s_mov_b32 s1, 0
	s_and_saveexec_b32 s7, s0
	s_cbranch_execz .LBB43_5
.LBB43_11:                              ;   in Loop: Header=BB43_7 Depth=1
	s_sub_i32 s18, s24, s18
	s_mul_i32 s6, s6, s12
	s_waitcnt lgkmcnt(0)
	s_add_i32 s1, s1, s18
	v_mad_u64_u32 v[4:5], null, s4, s24, v[2:3]
	s_abs_i32 s18, s1
	s_ashr_i32 s30, s1, 31
	s_mul_hi_u32 s19, s18, s36
	s_xor_b32 s30, s30, s13
	s_mul_i32 s31, s19, s34
	s_mul_i32 s25, s4, s25
	s_sub_i32 s18, s18, s31
	s_add_i32 s31, s19, 1
	s_sub_i32 s37, s18, s34
	s_cmp_ge_u32 s18, s34
	v_mov_b32_e32 v17, v14
	s_cselect_b32 s19, s31, s19
	s_cselect_b32 s18, s37, s18
	s_add_i32 s31, s19, 1
	s_cmp_ge_u32 s18, s34
	s_cselect_b32 s18, s31, s19
	s_delay_alu instid0(SALU_CYCLE_1) | instskip(NEXT) | instid1(SALU_CYCLE_1)
	s_xor_b32 s18, s18, s30
	s_sub_i32 s30, s18, s30
	s_delay_alu instid0(SALU_CYCLE_1)
	s_add_i32 s18, s30, s6
	s_mul_i32 s30, s30, s3
	s_ashr_i32 s19, s18, 31
	s_sub_i32 s1, s1, s30
	s_lshl_b64 s[18:19], s[18:19], 2
	s_load_b32 s6, s[20:21], 0x0
	s_add_u32 s18, s8, s18
	s_addc_u32 s19, s9, s19
	s_ashr_i32 s30, s1, 31
	s_load_b32 s18, s[18:19], 0x0
	s_mul_i32 s19, s5, s24
	s_mul_i32 s30, s30, s16
	v_add3_u32 v5, s25, s19, v5
	s_mul_i32 s19, s1, s17
	s_mul_hi_u32 s25, s1, s16
	s_mul_i32 s1, s1, s16
	s_add_i32 s19, s25, s19
	s_delay_alu instid0(SALU_CYCLE_1)
	s_add_i32 s19, s19, s30
	s_waitcnt lgkmcnt(0)
	s_mul_i32 s25, s18, s15
	s_mul_hi_u32 s30, s18, s14
	s_ashr_i32 s31, s18, 31
	s_add_i32 s25, s30, s25
	s_mul_i32 s31, s31, s14
	s_mul_i32 s18, s18, s14
	s_add_i32 s25, s25, s31
	s_add_u32 s1, s18, s1
	s_addc_u32 s18, s25, s19
	v_add_co_u32 v6, vcc_lo, v15, s1
	v_add_co_ci_u32_e32 v7, vcc_lo, s18, v16, vcc_lo
	s_mov_b32 s18, 0
	s_branch .LBB43_16
.LBB43_12:                              ;   in Loop: Header=BB43_16 Depth=2
	s_or_b32 exec_lo, exec_lo, s30
	s_delay_alu instid0(VALU_DEP_1) | instskip(SKIP_2) | instid1(VALU_DEP_3)
	v_lshlrev_b32_e32 v0, 20, v10
	v_and_b32_e32 v9, 0x80000000, v9
	v_lshl_add_u32 v8, v8, 23, 0x3c000000
	v_and_b32_e32 v0, 0x700000, v0
	s_delay_alu instid0(VALU_DEP_1)
	v_or3_b32 v22, v0, v9, v8
.LBB43_13:                              ;   in Loop: Header=BB43_16 Depth=2
	s_or_b32 exec_lo, exec_lo, s25
.LBB43_14:                              ;   in Loop: Header=BB43_16 Depth=2
	s_delay_alu instid0(SALU_CYCLE_1)
	s_or_b32 exec_lo, exec_lo, s19
.LBB43_15:                              ;   in Loop: Header=BB43_16 Depth=2
	s_delay_alu instid0(SALU_CYCLE_1)
	s_or_b32 exec_lo, exec_lo, s1
	v_fma_mixlo_f16 v11, s6, v23, 0
	v_fma_mixlo_f16 v10, s6, v13, 0
	;; [unrolled: 1-line block ×4, first 2 shown]
	v_add_nc_u32_e32 v17, 64, v17
	v_fma_mixhi_f16 v11, s6, v22, 0
	v_fma_mixhi_f16 v10, s6, v12, 0
	;; [unrolled: 1-line block ×4, first 2 shown]
	v_add_co_u32 v6, vcc_lo, 0x200, v6
	v_add_co_ci_u32_e32 v7, vcc_lo, 0, v7, vcc_lo
	global_store_b128 v[4:5], v[8:11], off offset:-14
	v_cmp_lt_u32_e32 vcc_lo, 7, v17
	v_add_co_u32 v4, s1, 0x400, v4
	s_delay_alu instid0(VALU_DEP_1) | instskip(SKIP_1) | instid1(SALU_CYCLE_1)
	v_add_co_ci_u32_e64 v5, s1, 0, v5, s1
	s_or_b32 s18, vcc_lo, s18
	s_and_not1_b32 exec_lo, exec_lo, s18
	s_cbranch_execz .LBB43_5
.LBB43_16:                              ;   Parent Loop BB43_7 Depth=1
                                        ; =>  This Inner Loop Header: Depth=2
	global_load_b64 v[8:9], v[6:7], off
	v_mov_b32_e32 v18, 0
	s_mov_b32 s1, exec_lo
	s_waitcnt vmcnt(0)
	v_dual_mov_b32 v19, 0 :: v_dual_and_b32 v0, 0xff, v8
	s_delay_alu instid0(VALU_DEP_1)
	v_cmpx_ne_u16_e32 0, v0
	s_cbranch_execz .LBB43_24
; %bb.17:                               ;   in Loop: Header=BB43_16 Depth=2
	v_bfrev_b32_e32 v19, 1
	s_mov_b32 s19, exec_lo
	v_cmpx_ne_u16_e32 0x80, v0
	s_cbranch_execz .LBB43_23
; %bb.18:                               ;   in Loop: Header=BB43_16 Depth=2
	v_and_b32_e32 v10, 0x7f, v8
	v_mov_b32_e32 v19, 0x7f800001
	s_mov_b32 s25, exec_lo
	s_delay_alu instid0(VALU_DEP_2)
	v_cmpx_ne_u32_e32 0x7f, v10
	s_cbranch_execz .LBB43_22
; %bb.19:                               ;   in Loop: Header=BB43_16 Depth=2
	v_lshrrev_b32_e32 v0, 3, v10
	v_cmp_gt_u32_e32 vcc_lo, 8, v10
	v_dual_mov_b32 v11, v9 :: v_dual_mov_b32 v10, v8
	s_and_saveexec_b32 s30, vcc_lo
; %bb.20:                               ;   in Loop: Header=BB43_16 Depth=2
	v_and_b32_e32 v0, 7, v8
	s_delay_alu instid0(VALU_DEP_1) | instskip(NEXT) | instid1(VALU_DEP_1)
	v_clz_i32_u32_e32 v0, v0
	v_min_u32_e32 v0, 32, v0
	s_delay_alu instid0(VALU_DEP_1) | instskip(SKIP_1) | instid1(VALU_DEP_2)
	v_subrev_nc_u32_e32 v10, 28, v0
	v_sub_nc_u32_e32 v0, 29, v0
	v_lshlrev_b64 v[10:11], v10, v[8:9]
; %bb.21:                               ;   in Loop: Header=BB43_16 Depth=2
	s_or_b32 exec_lo, exec_lo, s30
	s_delay_alu instid0(VALU_DEP_1) | instskip(SKIP_2) | instid1(VALU_DEP_3)
	v_lshlrev_b32_e32 v10, 20, v10
	v_lshlrev_b32_e32 v11, 24, v8
	v_lshl_add_u32 v0, v0, 23, 0x3c000000
	v_and_b32_e32 v10, 0x700000, v10
	s_delay_alu instid0(VALU_DEP_3) | instskip(NEXT) | instid1(VALU_DEP_1)
	v_and_b32_e32 v11, 0x80000000, v11
	v_or3_b32 v19, v10, v11, v0
.LBB43_22:                              ;   in Loop: Header=BB43_16 Depth=2
	s_or_b32 exec_lo, exec_lo, s25
.LBB43_23:                              ;   in Loop: Header=BB43_16 Depth=2
	s_delay_alu instid0(SALU_CYCLE_1)
	s_or_b32 exec_lo, exec_lo, s19
.LBB43_24:                              ;   in Loop: Header=BB43_16 Depth=2
	s_delay_alu instid0(SALU_CYCLE_1) | instskip(SKIP_2) | instid1(VALU_DEP_1)
	s_or_b32 exec_lo, exec_lo, s1
	v_lshrrev_b32_e32 v0, 8, v8
	s_mov_b32 s1, exec_lo
	v_and_b32_e32 v0, 0xff, v0
	s_delay_alu instid0(VALU_DEP_1)
	v_cmpx_ne_u16_e32 0, v0
	s_cbranch_execz .LBB43_32
; %bb.25:                               ;   in Loop: Header=BB43_16 Depth=2
	v_bfrev_b32_e32 v18, 1
	s_mov_b32 s19, exec_lo
	v_cmpx_ne_u16_e32 0x80, v0
	s_cbranch_execz .LBB43_31
; %bb.26:                               ;   in Loop: Header=BB43_16 Depth=2
	v_alignbit_b32 v0, v9, v8, 8
	v_mov_b32_e32 v18, 0x7f800001
	s_mov_b32 s25, exec_lo
	s_delay_alu instid0(VALU_DEP_2) | instskip(NEXT) | instid1(VALU_DEP_1)
	v_and_b32_e32 v12, 0x7f, v0
	v_cmpx_ne_u32_e32 0x7f, v12
	s_cbranch_execz .LBB43_30
; %bb.27:                               ;   in Loop: Header=BB43_16 Depth=2
	v_lshrrev_b64 v[10:11], 8, v[8:9]
	v_lshrrev_b32_e32 v18, 3, v12
	v_cmp_gt_u32_e32 vcc_lo, 8, v12
	s_delay_alu instid0(VALU_DEP_3)
	v_dual_mov_b32 v13, v11 :: v_dual_mov_b32 v12, v10
	s_and_saveexec_b32 s30, vcc_lo
; %bb.28:                               ;   in Loop: Header=BB43_16 Depth=2
	v_and_b32_e32 v0, 7, v0
	s_delay_alu instid0(VALU_DEP_1) | instskip(NEXT) | instid1(VALU_DEP_1)
	v_clz_i32_u32_e32 v0, v0
	v_min_u32_e32 v0, 32, v0
	s_delay_alu instid0(VALU_DEP_1) | instskip(SKIP_1) | instid1(VALU_DEP_2)
	v_subrev_nc_u32_e32 v12, 28, v0
	v_sub_nc_u32_e32 v18, 29, v0
	v_lshlrev_b64 v[12:13], v12, v[10:11]
; %bb.29:                               ;   in Loop: Header=BB43_16 Depth=2
	s_or_b32 exec_lo, exec_lo, s30
	s_delay_alu instid0(VALU_DEP_1) | instskip(SKIP_2) | instid1(VALU_DEP_3)
	v_lshlrev_b32_e32 v0, 20, v12
	v_lshlrev_b32_e32 v10, 24, v10
	v_lshl_add_u32 v11, v18, 23, 0x3c000000
	v_and_b32_e32 v0, 0x700000, v0
	s_delay_alu instid0(VALU_DEP_3) | instskip(NEXT) | instid1(VALU_DEP_1)
	v_and_b32_e32 v10, 0x80000000, v10
	v_or3_b32 v18, v0, v10, v11
.LBB43_30:                              ;   in Loop: Header=BB43_16 Depth=2
	s_or_b32 exec_lo, exec_lo, s25
.LBB43_31:                              ;   in Loop: Header=BB43_16 Depth=2
	s_delay_alu instid0(SALU_CYCLE_1)
	s_or_b32 exec_lo, exec_lo, s19
.LBB43_32:                              ;   in Loop: Header=BB43_16 Depth=2
	s_delay_alu instid0(SALU_CYCLE_1) | instskip(SKIP_3) | instid1(VALU_DEP_2)
	s_or_b32 exec_lo, exec_lo, s1
	v_lshrrev_b32_e32 v0, 16, v8
	v_mov_b32_e32 v20, 0
	s_mov_b32 s1, exec_lo
	v_dual_mov_b32 v21, 0 :: v_dual_and_b32 v0, 0xff, v0
	s_delay_alu instid0(VALU_DEP_1)
	v_cmpx_ne_u16_e32 0, v0
	s_cbranch_execz .LBB43_40
; %bb.33:                               ;   in Loop: Header=BB43_16 Depth=2
	v_bfrev_b32_e32 v21, 1
	s_mov_b32 s19, exec_lo
	v_cmpx_ne_u16_e32 0x80, v0
	s_cbranch_execz .LBB43_39
; %bb.34:                               ;   in Loop: Header=BB43_16 Depth=2
	v_alignbit_b32 v0, v9, v8, 16
	v_mov_b32_e32 v21, 0x7f800001
	s_mov_b32 s25, exec_lo
	s_delay_alu instid0(VALU_DEP_2) | instskip(NEXT) | instid1(VALU_DEP_1)
	v_and_b32_e32 v12, 0x7f, v0
	v_cmpx_ne_u32_e32 0x7f, v12
	s_cbranch_execz .LBB43_38
; %bb.35:                               ;   in Loop: Header=BB43_16 Depth=2
	v_lshrrev_b64 v[10:11], 16, v[8:9]
	v_lshrrev_b32_e32 v21, 3, v12
	v_cmp_gt_u32_e32 vcc_lo, 8, v12
	s_delay_alu instid0(VALU_DEP_3)
	v_dual_mov_b32 v13, v11 :: v_dual_mov_b32 v12, v10
	s_and_saveexec_b32 s30, vcc_lo
; %bb.36:                               ;   in Loop: Header=BB43_16 Depth=2
	v_and_b32_e32 v0, 7, v0
	s_delay_alu instid0(VALU_DEP_1) | instskip(NEXT) | instid1(VALU_DEP_1)
	v_clz_i32_u32_e32 v0, v0
	v_min_u32_e32 v0, 32, v0
	s_delay_alu instid0(VALU_DEP_1) | instskip(SKIP_1) | instid1(VALU_DEP_2)
	v_subrev_nc_u32_e32 v12, 28, v0
	v_sub_nc_u32_e32 v21, 29, v0
	v_lshlrev_b64 v[12:13], v12, v[10:11]
; %bb.37:                               ;   in Loop: Header=BB43_16 Depth=2
	s_or_b32 exec_lo, exec_lo, s30
	s_delay_alu instid0(VALU_DEP_1) | instskip(SKIP_2) | instid1(VALU_DEP_3)
	v_lshlrev_b32_e32 v0, 20, v12
	v_lshlrev_b32_e32 v10, 24, v10
	v_lshl_add_u32 v11, v21, 23, 0x3c000000
	v_and_b32_e32 v0, 0x700000, v0
	s_delay_alu instid0(VALU_DEP_3) | instskip(NEXT) | instid1(VALU_DEP_1)
	v_and_b32_e32 v10, 0x80000000, v10
	v_or3_b32 v21, v0, v10, v11
.LBB43_38:                              ;   in Loop: Header=BB43_16 Depth=2
	s_or_b32 exec_lo, exec_lo, s25
.LBB43_39:                              ;   in Loop: Header=BB43_16 Depth=2
	s_delay_alu instid0(SALU_CYCLE_1)
	s_or_b32 exec_lo, exec_lo, s19
.LBB43_40:                              ;   in Loop: Header=BB43_16 Depth=2
	s_delay_alu instid0(SALU_CYCLE_1) | instskip(SKIP_2) | instid1(VALU_DEP_1)
	s_or_b32 exec_lo, exec_lo, s1
	v_lshrrev_b32_e32 v0, 24, v8
	s_mov_b32 s1, exec_lo
	v_cmpx_ne_u16_e32 0, v0
	s_cbranch_execz .LBB43_48
; %bb.41:                               ;   in Loop: Header=BB43_16 Depth=2
	v_bfrev_b32_e32 v20, 1
	s_mov_b32 s19, exec_lo
	v_cmpx_ne_u16_e32 0x80, v0
	s_cbranch_execz .LBB43_47
; %bb.42:                               ;   in Loop: Header=BB43_16 Depth=2
	v_alignbit_b32 v0, v9, v8, 24
	v_mov_b32_e32 v20, 0x7f800001
	s_mov_b32 s25, exec_lo
	s_delay_alu instid0(VALU_DEP_2) | instskip(NEXT) | instid1(VALU_DEP_1)
	v_and_b32_e32 v12, 0x7f, v0
	v_cmpx_ne_u32_e32 0x7f, v12
	s_cbranch_execz .LBB43_46
; %bb.43:                               ;   in Loop: Header=BB43_16 Depth=2
	v_lshrrev_b64 v[10:11], 24, v[8:9]
	v_lshrrev_b32_e32 v20, 3, v12
	v_cmp_gt_u32_e32 vcc_lo, 8, v12
	s_delay_alu instid0(VALU_DEP_3)
	v_dual_mov_b32 v13, v11 :: v_dual_mov_b32 v12, v10
	s_and_saveexec_b32 s30, vcc_lo
; %bb.44:                               ;   in Loop: Header=BB43_16 Depth=2
	v_and_b32_e32 v0, 7, v0
	s_delay_alu instid0(VALU_DEP_1) | instskip(NEXT) | instid1(VALU_DEP_1)
	v_clz_i32_u32_e32 v0, v0
	v_min_u32_e32 v0, 32, v0
	s_delay_alu instid0(VALU_DEP_1) | instskip(SKIP_1) | instid1(VALU_DEP_2)
	v_subrev_nc_u32_e32 v12, 28, v0
	v_sub_nc_u32_e32 v20, 29, v0
	v_lshlrev_b64 v[12:13], v12, v[10:11]
; %bb.45:                               ;   in Loop: Header=BB43_16 Depth=2
	s_or_b32 exec_lo, exec_lo, s30
	s_delay_alu instid0(VALU_DEP_1) | instskip(SKIP_2) | instid1(VALU_DEP_3)
	v_lshlrev_b32_e32 v0, 20, v12
	v_lshlrev_b32_e32 v10, 24, v10
	v_lshl_add_u32 v11, v20, 23, 0x3c000000
	v_and_b32_e32 v0, 0x700000, v0
	s_delay_alu instid0(VALU_DEP_3) | instskip(NEXT) | instid1(VALU_DEP_1)
	v_and_b32_e32 v10, 0x80000000, v10
	v_or3_b32 v20, v0, v10, v11
.LBB43_46:                              ;   in Loop: Header=BB43_16 Depth=2
	s_or_b32 exec_lo, exec_lo, s25
.LBB43_47:                              ;   in Loop: Header=BB43_16 Depth=2
	s_delay_alu instid0(SALU_CYCLE_1)
	s_or_b32 exec_lo, exec_lo, s19
.LBB43_48:                              ;   in Loop: Header=BB43_16 Depth=2
	s_delay_alu instid0(SALU_CYCLE_1) | instskip(SKIP_3) | instid1(VALU_DEP_2)
	s_or_b32 exec_lo, exec_lo, s1
	v_dual_mov_b32 v13, 0 :: v_dual_and_b32 v0, 0xff, v9
	v_mov_b32_e32 v12, 0
	s_mov_b32 s1, exec_lo
	v_cmpx_ne_u16_e32 0, v0
	s_cbranch_execz .LBB43_56
; %bb.49:                               ;   in Loop: Header=BB43_16 Depth=2
	v_bfrev_b32_e32 v13, 1
	s_mov_b32 s19, exec_lo
	v_cmpx_ne_u16_e32 0x80, v0
	s_cbranch_execz .LBB43_55
; %bb.50:                               ;   in Loop: Header=BB43_16 Depth=2
	v_and_b32_e32 v10, 0x7f, v9
	v_mov_b32_e32 v13, 0x7f800001
	s_mov_b32 s25, exec_lo
	s_delay_alu instid0(VALU_DEP_2)
	v_cmpx_ne_u32_e32 0x7f, v10
	s_cbranch_execz .LBB43_54
; %bb.51:                               ;   in Loop: Header=BB43_16 Depth=2
	v_mov_b32_e32 v0, v9
	v_lshrrev_b32_e32 v13, 3, v10
	v_cmp_gt_u32_e32 vcc_lo, 8, v10
	s_delay_alu instid0(VALU_DEP_3)
	v_dual_mov_b32 v11, v1 :: v_dual_mov_b32 v10, v0
	s_and_saveexec_b32 s30, vcc_lo
; %bb.52:                               ;   in Loop: Header=BB43_16 Depth=2
	v_and_b32_e32 v10, 7, v9
	s_delay_alu instid0(VALU_DEP_1) | instskip(NEXT) | instid1(VALU_DEP_1)
	v_clz_i32_u32_e32 v10, v10
	v_min_u32_e32 v13, 32, v10
	s_delay_alu instid0(VALU_DEP_1) | instskip(SKIP_1) | instid1(VALU_DEP_2)
	v_subrev_nc_u32_e32 v10, 28, v13
	v_sub_nc_u32_e32 v13, 29, v13
	v_lshlrev_b64 v[10:11], v10, v[0:1]
; %bb.53:                               ;   in Loop: Header=BB43_16 Depth=2
	s_or_b32 exec_lo, exec_lo, s30
	s_delay_alu instid0(VALU_DEP_1) | instskip(SKIP_2) | instid1(VALU_DEP_3)
	v_lshlrev_b32_e32 v10, 20, v10
	v_lshlrev_b32_e32 v0, 24, v0
	v_lshl_add_u32 v11, v13, 23, 0x3c000000
	v_and_b32_e32 v10, 0x700000, v10
	s_delay_alu instid0(VALU_DEP_3) | instskip(NEXT) | instid1(VALU_DEP_1)
	v_and_b32_e32 v0, 0x80000000, v0
	v_or3_b32 v13, v10, v0, v11
.LBB43_54:                              ;   in Loop: Header=BB43_16 Depth=2
	s_or_b32 exec_lo, exec_lo, s25
.LBB43_55:                              ;   in Loop: Header=BB43_16 Depth=2
	s_delay_alu instid0(SALU_CYCLE_1)
	s_or_b32 exec_lo, exec_lo, s19
.LBB43_56:                              ;   in Loop: Header=BB43_16 Depth=2
	s_delay_alu instid0(SALU_CYCLE_1) | instskip(SKIP_2) | instid1(VALU_DEP_1)
	s_or_b32 exec_lo, exec_lo, s1
	v_lshrrev_b32_e32 v0, 8, v9
	s_mov_b32 s1, exec_lo
	v_and_b32_e32 v10, 0xff, v0
	s_delay_alu instid0(VALU_DEP_1)
	v_cmpx_ne_u16_e32 0, v10
	s_cbranch_execz .LBB43_64
; %bb.57:                               ;   in Loop: Header=BB43_16 Depth=2
	v_bfrev_b32_e32 v12, 1
	s_mov_b32 s19, exec_lo
	v_cmpx_ne_u16_e32 0x80, v10
	s_cbranch_execz .LBB43_63
; %bb.58:                               ;   in Loop: Header=BB43_16 Depth=2
	v_bfe_u32 v10, v9, 8, 7
	v_mov_b32_e32 v12, 0x7f800001
	s_mov_b32 s25, exec_lo
	s_delay_alu instid0(VALU_DEP_2)
	v_cmpx_ne_u32_e32 0x7f, v10
	s_cbranch_execz .LBB43_62
; %bb.59:                               ;   in Loop: Header=BB43_16 Depth=2
	v_lshrrev_b32_e32 v12, 3, v10
	v_cmp_gt_u32_e32 vcc_lo, 8, v10
	v_dual_mov_b32 v11, v1 :: v_dual_mov_b32 v10, v0
	s_and_saveexec_b32 s30, vcc_lo
; %bb.60:                               ;   in Loop: Header=BB43_16 Depth=2
	v_and_b32_e32 v10, 7, v0
	s_delay_alu instid0(VALU_DEP_1) | instskip(NEXT) | instid1(VALU_DEP_1)
	v_clz_i32_u32_e32 v10, v10
	v_min_u32_e32 v12, 32, v10
	s_delay_alu instid0(VALU_DEP_1) | instskip(SKIP_1) | instid1(VALU_DEP_2)
	v_subrev_nc_u32_e32 v10, 28, v12
	v_sub_nc_u32_e32 v12, 29, v12
	v_lshlrev_b64 v[10:11], v10, v[0:1]
; %bb.61:                               ;   in Loop: Header=BB43_16 Depth=2
	s_or_b32 exec_lo, exec_lo, s30
	s_delay_alu instid0(VALU_DEP_1) | instskip(SKIP_2) | instid1(VALU_DEP_3)
	v_lshlrev_b32_e32 v10, 20, v10
	v_lshlrev_b32_e32 v0, 24, v0
	v_lshl_add_u32 v11, v12, 23, 0x3c000000
	v_and_b32_e32 v10, 0x700000, v10
	s_delay_alu instid0(VALU_DEP_3) | instskip(NEXT) | instid1(VALU_DEP_1)
	v_and_b32_e32 v0, 0x80000000, v0
	v_or3_b32 v12, v10, v0, v11
.LBB43_62:                              ;   in Loop: Header=BB43_16 Depth=2
	s_or_b32 exec_lo, exec_lo, s25
.LBB43_63:                              ;   in Loop: Header=BB43_16 Depth=2
	s_delay_alu instid0(SALU_CYCLE_1)
	s_or_b32 exec_lo, exec_lo, s19
.LBB43_64:                              ;   in Loop: Header=BB43_16 Depth=2
	s_delay_alu instid0(SALU_CYCLE_1) | instskip(SKIP_3) | instid1(VALU_DEP_2)
	s_or_b32 exec_lo, exec_lo, s1
	v_lshrrev_b32_e32 v0, 16, v9
	v_mov_b32_e32 v22, 0
	s_mov_b32 s1, exec_lo
	v_dual_mov_b32 v23, 0 :: v_dual_and_b32 v10, 0xff, v0
	s_delay_alu instid0(VALU_DEP_1)
	v_cmpx_ne_u16_e32 0, v10
	s_cbranch_execz .LBB43_72
; %bb.65:                               ;   in Loop: Header=BB43_16 Depth=2
	v_bfrev_b32_e32 v23, 1
	s_mov_b32 s19, exec_lo
	v_cmpx_ne_u16_e32 0x80, v10
	s_cbranch_execz .LBB43_71
; %bb.66:                               ;   in Loop: Header=BB43_16 Depth=2
	v_bfe_u32 v10, v9, 16, 7
	v_mov_b32_e32 v23, 0x7f800001
	s_mov_b32 s25, exec_lo
	s_delay_alu instid0(VALU_DEP_2)
	v_cmpx_ne_u32_e32 0x7f, v10
	s_cbranch_execz .LBB43_70
; %bb.67:                               ;   in Loop: Header=BB43_16 Depth=2
	v_lshrrev_b32_e32 v23, 3, v10
	v_cmp_gt_u32_e32 vcc_lo, 8, v10
	v_dual_mov_b32 v11, v1 :: v_dual_mov_b32 v10, v0
	s_and_saveexec_b32 s30, vcc_lo
; %bb.68:                               ;   in Loop: Header=BB43_16 Depth=2
	v_and_b32_e32 v10, 7, v0
	s_delay_alu instid0(VALU_DEP_1) | instskip(NEXT) | instid1(VALU_DEP_1)
	v_clz_i32_u32_e32 v10, v10
	v_min_u32_e32 v23, 32, v10
	s_delay_alu instid0(VALU_DEP_1) | instskip(SKIP_1) | instid1(VALU_DEP_2)
	v_subrev_nc_u32_e32 v10, 28, v23
	v_sub_nc_u32_e32 v23, 29, v23
	v_lshlrev_b64 v[10:11], v10, v[0:1]
; %bb.69:                               ;   in Loop: Header=BB43_16 Depth=2
	s_or_b32 exec_lo, exec_lo, s30
	s_delay_alu instid0(VALU_DEP_1) | instskip(SKIP_2) | instid1(VALU_DEP_3)
	v_lshlrev_b32_e32 v10, 20, v10
	v_lshlrev_b32_e32 v0, 24, v0
	v_lshl_add_u32 v11, v23, 23, 0x3c000000
	v_and_b32_e32 v10, 0x700000, v10
	s_delay_alu instid0(VALU_DEP_3) | instskip(NEXT) | instid1(VALU_DEP_1)
	v_and_b32_e32 v0, 0x80000000, v0
	v_or3_b32 v23, v10, v0, v11
.LBB43_70:                              ;   in Loop: Header=BB43_16 Depth=2
	s_or_b32 exec_lo, exec_lo, s25
.LBB43_71:                              ;   in Loop: Header=BB43_16 Depth=2
	s_delay_alu instid0(SALU_CYCLE_1)
	s_or_b32 exec_lo, exec_lo, s19
.LBB43_72:                              ;   in Loop: Header=BB43_16 Depth=2
	s_delay_alu instid0(SALU_CYCLE_1) | instskip(NEXT) | instid1(SALU_CYCLE_1)
	s_or_b32 exec_lo, exec_lo, s1
	s_mov_b32 s1, exec_lo
	v_cmpx_lt_u64_e64 s[28:29], v[8:9]
	s_cbranch_execz .LBB43_15
; %bb.73:                               ;   in Loop: Header=BB43_16 Depth=2
	v_lshrrev_b32_e32 v0, 24, v9
	v_bfrev_b32_e32 v22, 1
	s_mov_b32 s19, exec_lo
	s_delay_alu instid0(VALU_DEP_2)
	v_cmpx_ne_u64_e32 0x80, v[0:1]
	s_cbranch_execz .LBB43_14
; %bb.74:                               ;   in Loop: Header=BB43_16 Depth=2
	v_bfe_u32 v10, v9, 24, 7
	v_mov_b32_e32 v22, 0x7f800001
	s_mov_b32 s25, exec_lo
	s_delay_alu instid0(VALU_DEP_2)
	v_cmpx_ne_u32_e32 0x7f, v10
	s_cbranch_execz .LBB43_13
; %bb.75:                               ;   in Loop: Header=BB43_16 Depth=2
	v_lshrrev_b32_e32 v8, 3, v10
	v_cmp_gt_u32_e32 vcc_lo, 8, v10
	v_dual_mov_b32 v11, v1 :: v_dual_mov_b32 v10, v0
	s_and_saveexec_b32 s30, vcc_lo
	s_cbranch_execz .LBB43_12
; %bb.76:                               ;   in Loop: Header=BB43_16 Depth=2
	v_and_b32_e32 v8, 7, v0
	s_delay_alu instid0(VALU_DEP_1) | instskip(NEXT) | instid1(VALU_DEP_1)
	v_clz_i32_u32_e32 v8, v8
	v_min_u32_e32 v8, 32, v8
	s_delay_alu instid0(VALU_DEP_1) | instskip(SKIP_1) | instid1(VALU_DEP_2)
	v_subrev_nc_u32_e32 v10, 28, v8
	v_sub_nc_u32_e32 v8, 29, v8
	v_lshlrev_b64 v[10:11], v10, v[0:1]
	s_branch .LBB43_12
.LBB43_77:
	s_endpgm
	.section	.rodata,"a",@progbits
	.p2align	6, 0x0
	.amdhsa_kernel _ZN4vllm30gather_and_maybe_dequant_cacheIthLNS_18Fp8KVCacheDataTypeE1ELi576ELi64EEEvPKT0_PT_PKiS8_S8_iillllPKfS8_
		.amdhsa_group_segment_fixed_size 0
		.amdhsa_private_segment_fixed_size 64
		.amdhsa_kernarg_size 352
		.amdhsa_user_sgpr_count 15
		.amdhsa_user_sgpr_dispatch_ptr 0
		.amdhsa_user_sgpr_queue_ptr 0
		.amdhsa_user_sgpr_kernarg_segment_ptr 1
		.amdhsa_user_sgpr_dispatch_id 0
		.amdhsa_user_sgpr_private_segment_size 0
		.amdhsa_wavefront_size32 1
		.amdhsa_uses_dynamic_stack 0
		.amdhsa_enable_private_segment 1
		.amdhsa_system_sgpr_workgroup_id_x 1
		.amdhsa_system_sgpr_workgroup_id_y 0
		.amdhsa_system_sgpr_workgroup_id_z 0
		.amdhsa_system_sgpr_workgroup_info 0
		.amdhsa_system_vgpr_workitem_id 0
		.amdhsa_next_free_vgpr 53
		.amdhsa_next_free_sgpr 38
		.amdhsa_reserve_vcc 1
		.amdhsa_float_round_mode_32 0
		.amdhsa_float_round_mode_16_64 0
		.amdhsa_float_denorm_mode_32 3
		.amdhsa_float_denorm_mode_16_64 3
		.amdhsa_dx10_clamp 1
		.amdhsa_ieee_mode 1
		.amdhsa_fp16_overflow 0
		.amdhsa_workgroup_processor_mode 1
		.amdhsa_memory_ordered 1
		.amdhsa_forward_progress 0
		.amdhsa_shared_vgpr_count 0
		.amdhsa_exception_fp_ieee_invalid_op 0
		.amdhsa_exception_fp_denorm_src 0
		.amdhsa_exception_fp_ieee_div_zero 0
		.amdhsa_exception_fp_ieee_overflow 0
		.amdhsa_exception_fp_ieee_underflow 0
		.amdhsa_exception_fp_ieee_inexact 0
		.amdhsa_exception_int_div_zero 0
	.end_amdhsa_kernel
	.section	.text._ZN4vllm30gather_and_maybe_dequant_cacheIthLNS_18Fp8KVCacheDataTypeE1ELi576ELi64EEEvPKT0_PT_PKiS8_S8_iillllPKfS8_,"axG",@progbits,_ZN4vllm30gather_and_maybe_dequant_cacheIthLNS_18Fp8KVCacheDataTypeE1ELi576ELi64EEEvPKT0_PT_PKiS8_S8_iillllPKfS8_,comdat
.Lfunc_end43:
	.size	_ZN4vllm30gather_and_maybe_dequant_cacheIthLNS_18Fp8KVCacheDataTypeE1ELi576ELi64EEEvPKT0_PT_PKiS8_S8_iillllPKfS8_, .Lfunc_end43-_ZN4vllm30gather_and_maybe_dequant_cacheIthLNS_18Fp8KVCacheDataTypeE1ELi576ELi64EEEvPKT0_PT_PKiS8_S8_iillllPKfS8_
                                        ; -- End function
	.section	.AMDGPU.csdata,"",@progbits
; Kernel info:
; codeLenInByte = 2812
; NumSgprs: 40
; NumVgprs: 53
; ScratchSize: 64
; MemoryBound: 0
; FloatMode: 240
; IeeeMode: 1
; LDSByteSize: 0 bytes/workgroup (compile time only)
; SGPRBlocks: 4
; VGPRBlocks: 6
; NumSGPRsForWavesPerEU: 40
; NumVGPRsForWavesPerEU: 53
; Occupancy: 16
; WaveLimiterHint : 1
; COMPUTE_PGM_RSRC2:SCRATCH_EN: 1
; COMPUTE_PGM_RSRC2:USER_SGPR: 15
; COMPUTE_PGM_RSRC2:TRAP_HANDLER: 0
; COMPUTE_PGM_RSRC2:TGID_X_EN: 1
; COMPUTE_PGM_RSRC2:TGID_Y_EN: 0
; COMPUTE_PGM_RSRC2:TGID_Z_EN: 0
; COMPUTE_PGM_RSRC2:TIDIG_COMP_CNT: 0
	.section	.text._ZN4vllm30gather_and_maybe_dequant_cacheI14__hip_bfloat16hLNS_18Fp8KVCacheDataTypeE1ELi576ELi64EEEvPKT0_PT_PKiS9_S9_iillllPKfS9_,"axG",@progbits,_ZN4vllm30gather_and_maybe_dequant_cacheI14__hip_bfloat16hLNS_18Fp8KVCacheDataTypeE1ELi576ELi64EEEvPKT0_PT_PKiS9_S9_iillllPKfS9_,comdat
	.protected	_ZN4vllm30gather_and_maybe_dequant_cacheI14__hip_bfloat16hLNS_18Fp8KVCacheDataTypeE1ELi576ELi64EEEvPKT0_PT_PKiS9_S9_iillllPKfS9_ ; -- Begin function _ZN4vllm30gather_and_maybe_dequant_cacheI14__hip_bfloat16hLNS_18Fp8KVCacheDataTypeE1ELi576ELi64EEEvPKT0_PT_PKiS9_S9_iillllPKfS9_
	.globl	_ZN4vllm30gather_and_maybe_dequant_cacheI14__hip_bfloat16hLNS_18Fp8KVCacheDataTypeE1ELi576ELi64EEEvPKT0_PT_PKiS9_S9_iillllPKfS9_
	.p2align	8
	.type	_ZN4vllm30gather_and_maybe_dequant_cacheI14__hip_bfloat16hLNS_18Fp8KVCacheDataTypeE1ELi576ELi64EEEvPKT0_PT_PKiS9_S9_iillllPKfS9_,@function
_ZN4vllm30gather_and_maybe_dequant_cacheI14__hip_bfloat16hLNS_18Fp8KVCacheDataTypeE1ELi576ELi64EEEvPKT0_PT_PKiS9_S9_iillllPKfS9_: ; @_ZN4vllm30gather_and_maybe_dequant_cacheI14__hip_bfloat16hLNS_18Fp8KVCacheDataTypeE1ELi576ELi64EEEvPKT0_PT_PKiS9_S9_iillllPKfS9_
; %bb.0:
	s_mov_b64 s[18:19], s[0:1]
	s_load_b32 s0, s[0:1], 0x6c
	v_mov_b32_e32 v41, v0
	s_add_u32 s28, s18, 0x60
	s_mov_b32 s24, s15
	s_addc_u32 s29, s19, 0
	s_mov_b32 s32, 0
	s_waitcnt lgkmcnt(0)
	v_cmp_eq_u16_e64 s0, s0, 64
	s_delay_alu instid0(VALU_DEP_1)
	s_and_b32 vcc_lo, exec_lo, s0
	s_mov_b32 s0, -1
	s_cbranch_vccnz .LBB44_2
; %bb.1:
	s_add_u32 s8, s18, 0x60
	s_addc_u32 s9, s19, 0
	s_getpc_b64 s[0:1]
	s_add_u32 s0, s0, .str.2@rel32@lo+4
	s_addc_u32 s1, s1, .str.2@rel32@hi+12
	s_getpc_b64 s[2:3]
	s_add_u32 s2, s2, .str.3@rel32@lo+4
	s_addc_u32 s3, s3, .str.3@rel32@hi+12
	s_getpc_b64 s[4:5]
	s_add_u32 s4, s4, __PRETTY_FUNCTION__._ZN4vllm30gather_and_maybe_dequant_cacheI14__hip_bfloat16hLNS_18Fp8KVCacheDataTypeE1ELi576ELi64EEEvPKT0_PT_PKiS9_S9_iillllPKfS9_@rel32@lo+4
	s_addc_u32 s5, s5, __PRETTY_FUNCTION__._ZN4vllm30gather_and_maybe_dequant_cacheI14__hip_bfloat16hLNS_18Fp8KVCacheDataTypeE1ELi576ELi64EEEvPKT0_PT_PKiS9_S9_iillllPKfS9_@rel32@hi+12
	v_dual_mov_b32 v0, s0 :: v_dual_mov_b32 v1, s1
	v_dual_mov_b32 v2, s2 :: v_dual_mov_b32 v3, s3
	;; [unrolled: 1-line block ×3, first 2 shown]
	v_mov_b32_e32 v6, s5
	s_getpc_b64 s[6:7]
	s_add_u32 s6, s6, __assert_fail@rel32@lo+4
	s_addc_u32 s7, s7, __assert_fail@rel32@hi+12
	s_delay_alu instid0(SALU_CYCLE_1)
	s_swappc_b64 s[30:31], s[6:7]
	; divergent unreachable
	s_mov_b32 s0, 0
.LBB44_2:
	s_delay_alu instid0(SALU_CYCLE_1)
	s_and_not1_b32 vcc_lo, exec_lo, s0
	s_cbranch_vccnz .LBB44_109
; %bb.3:
	s_load_b64 s[2:3], s[18:19], 0x28
	s_waitcnt lgkmcnt(0)
	s_cmp_ge_i32 s24, s2
	s_cbranch_scc1 .LBB44_109
; %bb.4:
	s_clause 0x2
	s_load_b128 s[20:23], s[18:19], 0x50
	s_load_b256 s[4:11], s[18:19], 0x0
	s_load_b64 s[26:27], s[18:19], 0x20
	s_load_b32 s35, s[28:29], 0x0
	s_load_b256 s[12:19], s[18:19], 0x30
	v_dual_mov_b32 v1, 0 :: v_dual_lshlrev_b32 v2, 3, v41
	v_cmp_gt_u32_e64 s0, 0x48, v41
	v_subrev_nc_u32_e32 v14, 64, v41
	s_mov_b32 s28, -1
	s_mov_b32 s29, 0xffffff
	v_lshlrev_b32_e32 v3, 4, v41
	s_waitcnt lgkmcnt(0)
	s_cmp_lg_u64 s[22:23], 0
	v_add_co_u32 v15, s1, s4, v2
	s_cselect_b32 s33, -1, 0
	s_abs_i32 s34, s3
	v_add_co_ci_u32_e64 v16, null, s5, 0, s1
	v_cvt_f32_u32_e32 v0, s34
	s_ashr_i32 s13, s3, 31
	s_delay_alu instid0(VALU_DEP_1) | instskip(SKIP_2) | instid1(VALU_DEP_1)
	v_rcp_iflag_f32_e32 v0, v0
	s_waitcnt_depctr 0xfff
	v_mul_f32_e32 v0, 0x4f7ffffe, v0
	v_cvt_u32_f32_e32 v0, v0
	s_delay_alu instid0(VALU_DEP_1) | instskip(SKIP_1) | instid1(VALU_DEP_1)
	v_readfirstlane_b32 s1, v0
	v_add_co_u32 v0, s4, v3, s6
	v_add_co_ci_u32_e64 v3, null, 0, s7, s4
	s_sub_i32 s4, 0, s34
	s_delay_alu instid0(VALU_DEP_2) | instskip(SKIP_1) | instid1(VALU_DEP_2)
	v_add_co_u32 v2, vcc_lo, v0, 14
	s_mul_i32 s4, s4, s1
	v_add_co_ci_u32_e32 v3, vcc_lo, 0, v3, vcc_lo
	s_mul_hi_u32 s4, s1, s4
	s_delay_alu instid0(SALU_CYCLE_1)
	s_add_i32 s36, s1, s4
	s_lshl_b64 s[4:5], s[18:19], 1
	s_branch .LBB44_7
.LBB44_5:                               ;   in Loop: Header=BB44_7 Depth=1
	s_or_b32 exec_lo, exec_lo, s7
	s_add_i32 s24, s24, s35
	s_delay_alu instid0(SALU_CYCLE_1)
	s_cmp_ge_i32 s24, s2
	s_waitcnt lgkmcnt(0)
	s_cselect_b32 s1, -1, 0
.LBB44_6:                               ;   in Loop: Header=BB44_7 Depth=1
	s_delay_alu instid0(SALU_CYCLE_1)
	s_and_b32 vcc_lo, exec_lo, s1
	s_cbranch_vccnz .LBB44_109
.LBB44_7:                               ; =>This Loop Header: Depth=1
                                        ;     Child Loop BB44_13 Depth 2
	s_ashr_i32 s25, s24, 31
	s_mov_b32 s1, s28
	s_lshl_b64 s[6:7], s[24:25], 2
	s_delay_alu instid0(SALU_CYCLE_1) | instskip(SKIP_4) | instid1(SALU_CYCLE_1)
	s_add_u32 s6, s26, s6
	s_addc_u32 s7, s27, s7
	s_load_b32 s6, s[6:7], 0x0
	s_waitcnt lgkmcnt(0)
	s_ashr_i32 s7, s6, 31
	s_lshl_b64 s[30:31], s[6:7], 2
	s_delay_alu instid0(SALU_CYCLE_1)
	s_add_u32 s18, s10, s30
	s_addc_u32 s19, s11, s31
	s_load_b64 s[18:19], s[18:19], 0x0
	s_waitcnt lgkmcnt(0)
	s_cmp_ge_i32 s24, s19
	s_cbranch_scc1 .LBB44_6
; %bb.8:                                ;   in Loop: Header=BB44_7 Depth=1
	s_and_not1_b32 vcc_lo, exec_lo, s33
	s_cbranch_vccnz .LBB44_10
; %bb.9:                                ;   in Loop: Header=BB44_7 Depth=1
	s_add_u32 s30, s22, s30
	s_addc_u32 s31, s23, s31
	s_load_b32 s1, s[30:31], 0x0
	s_and_saveexec_b32 s7, s0
	s_cbranch_execz .LBB44_5
	s_branch .LBB44_11
.LBB44_10:                              ;   in Loop: Header=BB44_7 Depth=1
	s_mov_b32 s1, 0
	s_and_saveexec_b32 s7, s0
	s_cbranch_execz .LBB44_5
.LBB44_11:                              ;   in Loop: Header=BB44_7 Depth=1
	s_sub_i32 s18, s24, s18
	s_mul_i32 s6, s6, s12
	s_waitcnt lgkmcnt(0)
	s_add_i32 s1, s1, s18
	v_mad_u64_u32 v[4:5], null, s4, s24, v[2:3]
	s_abs_i32 s18, s1
	s_ashr_i32 s30, s1, 31
	s_mul_hi_u32 s19, s18, s36
	s_xor_b32 s30, s30, s13
	s_mul_i32 s31, s19, s34
	s_mul_i32 s25, s4, s25
	s_sub_i32 s18, s18, s31
	s_add_i32 s31, s19, 1
	s_sub_i32 s37, s18, s34
	s_cmp_ge_u32 s18, s34
	v_mov_b32_e32 v17, v14
	s_cselect_b32 s19, s31, s19
	s_cselect_b32 s18, s37, s18
	s_add_i32 s31, s19, 1
	s_cmp_ge_u32 s18, s34
	s_cselect_b32 s18, s31, s19
	s_delay_alu instid0(SALU_CYCLE_1) | instskip(NEXT) | instid1(SALU_CYCLE_1)
	s_xor_b32 s18, s18, s30
	s_sub_i32 s30, s18, s30
	s_delay_alu instid0(SALU_CYCLE_1)
	s_add_i32 s18, s30, s6
	s_mul_i32 s30, s30, s3
	s_ashr_i32 s19, s18, 31
	s_sub_i32 s1, s1, s30
	s_lshl_b64 s[18:19], s[18:19], 2
	s_load_b32 s6, s[20:21], 0x0
	s_add_u32 s18, s8, s18
	s_addc_u32 s19, s9, s19
	s_ashr_i32 s30, s1, 31
	s_load_b32 s18, s[18:19], 0x0
	s_mul_i32 s19, s5, s24
	s_mul_i32 s30, s30, s16
	v_add3_u32 v5, s25, s19, v5
	s_mul_i32 s19, s1, s17
	s_mul_hi_u32 s25, s1, s16
	s_mul_i32 s1, s1, s16
	s_add_i32 s19, s25, s19
	s_delay_alu instid0(SALU_CYCLE_1)
	s_add_i32 s19, s19, s30
	s_waitcnt lgkmcnt(0)
	s_mul_i32 s25, s18, s15
	s_mul_hi_u32 s30, s18, s14
	s_ashr_i32 s31, s18, 31
	s_add_i32 s25, s30, s25
	s_mul_i32 s31, s31, s14
	s_mul_i32 s18, s18, s14
	s_add_i32 s25, s25, s31
	s_add_u32 s1, s18, s1
	s_addc_u32 s18, s25, s19
	v_add_co_u32 v6, vcc_lo, v15, s1
	v_add_co_ci_u32_e32 v7, vcc_lo, s18, v16, vcc_lo
	s_mov_b32 s18, 0
	s_branch .LBB44_13
.LBB44_12:                              ;   in Loop: Header=BB44_13 Depth=2
	s_or_b32 exec_lo, exec_lo, s1
	s_delay_alu instid0(VALU_DEP_1)
	v_perm_b32 v11, v8, v22, 0x7060302
	v_perm_b32 v10, v21, v13, 0x7060302
	;; [unrolled: 1-line block ×4, first 2 shown]
	v_add_nc_u32_e32 v17, 64, v17
	v_add_co_u32 v6, vcc_lo, 0x200, v6
	v_add_co_ci_u32_e32 v7, vcc_lo, 0, v7, vcc_lo
	global_store_b128 v[4:5], v[8:11], off offset:-14
	v_cmp_lt_u32_e32 vcc_lo, 7, v17
	v_add_co_u32 v4, s1, 0x400, v4
	s_delay_alu instid0(VALU_DEP_1) | instskip(SKIP_1) | instid1(SALU_CYCLE_1)
	v_add_co_ci_u32_e64 v5, s1, 0, v5, s1
	s_or_b32 s18, vcc_lo, s18
	s_and_not1_b32 exec_lo, exec_lo, s18
	s_cbranch_execz .LBB44_5
.LBB44_13:                              ;   Parent Loop BB44_7 Depth=1
                                        ; =>  This Inner Loop Header: Depth=2
	global_load_b64 v[8:9], v[6:7], off
	v_mov_b32_e32 v0, 0
	s_mov_b32 s1, exec_lo
	s_waitcnt vmcnt(0)
	v_and_b32_e32 v10, 0xff, v8
	s_delay_alu instid0(VALU_DEP_1)
	v_cmpx_ne_u16_e32 0, v10
	s_cbranch_execz .LBB44_21
; %bb.14:                               ;   in Loop: Header=BB44_13 Depth=2
	v_bfrev_b32_e32 v0, 1
	s_mov_b32 s19, exec_lo
	v_cmpx_ne_u16_e32 0x80, v10
	s_cbranch_execz .LBB44_20
; %bb.15:                               ;   in Loop: Header=BB44_13 Depth=2
	v_and_b32_e32 v10, 0x7f, v8
	v_mov_b32_e32 v0, 0x7f800001
	s_mov_b32 s25, exec_lo
	s_delay_alu instid0(VALU_DEP_2)
	v_cmpx_ne_u32_e32 0x7f, v10
	s_cbranch_execz .LBB44_19
; %bb.16:                               ;   in Loop: Header=BB44_13 Depth=2
	v_lshrrev_b32_e32 v0, 3, v10
	v_cmp_gt_u32_e32 vcc_lo, 8, v10
	v_dual_mov_b32 v11, v9 :: v_dual_mov_b32 v10, v8
	s_and_saveexec_b32 s30, vcc_lo
; %bb.17:                               ;   in Loop: Header=BB44_13 Depth=2
	v_and_b32_e32 v0, 7, v8
	s_delay_alu instid0(VALU_DEP_1) | instskip(NEXT) | instid1(VALU_DEP_1)
	v_clz_i32_u32_e32 v0, v0
	v_min_u32_e32 v0, 32, v0
	s_delay_alu instid0(VALU_DEP_1) | instskip(SKIP_1) | instid1(VALU_DEP_2)
	v_subrev_nc_u32_e32 v10, 28, v0
	v_sub_nc_u32_e32 v0, 29, v0
	v_lshlrev_b64 v[10:11], v10, v[8:9]
; %bb.18:                               ;   in Loop: Header=BB44_13 Depth=2
	s_or_b32 exec_lo, exec_lo, s30
	s_delay_alu instid0(VALU_DEP_1) | instskip(SKIP_2) | instid1(VALU_DEP_3)
	v_lshlrev_b32_e32 v10, 20, v10
	v_lshlrev_b32_e32 v11, 24, v8
	v_lshl_add_u32 v0, v0, 23, 0x3c000000
	v_and_b32_e32 v10, 0x700000, v10
	s_delay_alu instid0(VALU_DEP_3) | instskip(NEXT) | instid1(VALU_DEP_1)
	v_and_b32_e32 v11, 0x80000000, v11
	v_or3_b32 v0, v10, v11, v0
.LBB44_19:                              ;   in Loop: Header=BB44_13 Depth=2
	s_or_b32 exec_lo, exec_lo, s25
.LBB44_20:                              ;   in Loop: Header=BB44_13 Depth=2
	s_delay_alu instid0(SALU_CYCLE_1)
	s_or_b32 exec_lo, exec_lo, s19
.LBB44_21:                              ;   in Loop: Header=BB44_13 Depth=2
	s_delay_alu instid0(SALU_CYCLE_1) | instskip(NEXT) | instid1(VALU_DEP_1)
	s_or_b32 exec_lo, exec_lo, s1
	v_mul_f32_e32 v0, s6, v0
	s_mov_b32 s1, exec_lo
                                        ; implicit-def: $vgpr18
	s_delay_alu instid0(VALU_DEP_1) | instskip(NEXT) | instid1(VALU_DEP_1)
	v_and_b32_e32 v10, 0x7f800000, v0
	v_cmpx_ne_u32_e32 0x7f800000, v10
	s_xor_b32 s1, exec_lo, s1
; %bb.22:                               ;   in Loop: Header=BB44_13 Depth=2
	v_bfe_u32 v10, v0, 16, 1
	s_delay_alu instid0(VALU_DEP_1)
	v_add3_u32 v18, v0, v10, 0x7fff
                                        ; implicit-def: $vgpr0
; %bb.23:                               ;   in Loop: Header=BB44_13 Depth=2
	s_and_not1_saveexec_b32 s1, s1
; %bb.24:                               ;   in Loop: Header=BB44_13 Depth=2
	v_and_b32_e32 v10, 0xffff, v0
	v_or_b32_e32 v11, 0x10000, v0
	s_delay_alu instid0(VALU_DEP_2) | instskip(NEXT) | instid1(VALU_DEP_2)
	v_cmp_eq_u32_e32 vcc_lo, 0, v10
	v_cndmask_b32_e32 v18, v11, v0, vcc_lo
; %bb.25:                               ;   in Loop: Header=BB44_13 Depth=2
	s_or_b32 exec_lo, exec_lo, s1
	v_lshrrev_b32_e32 v0, 8, v8
	s_mov_b32 s1, exec_lo
	s_delay_alu instid0(VALU_DEP_1) | instskip(SKIP_1) | instid1(VALU_DEP_2)
	v_and_b32_e32 v10, 0xff, v0
	v_mov_b32_e32 v0, 0
	v_cmpx_ne_u16_e32 0, v10
	s_cbranch_execz .LBB44_33
; %bb.26:                               ;   in Loop: Header=BB44_13 Depth=2
	v_bfrev_b32_e32 v0, 1
	s_mov_b32 s19, exec_lo
	v_cmpx_ne_u16_e32 0x80, v10
	s_cbranch_execz .LBB44_32
; %bb.27:                               ;   in Loop: Header=BB44_13 Depth=2
	v_alignbit_b32 v19, v9, v8, 8
	v_mov_b32_e32 v0, 0x7f800001
	s_mov_b32 s25, exec_lo
	s_delay_alu instid0(VALU_DEP_2) | instskip(NEXT) | instid1(VALU_DEP_1)
	v_and_b32_e32 v12, 0x7f, v19
	v_cmpx_ne_u32_e32 0x7f, v12
	s_cbranch_execz .LBB44_31
; %bb.28:                               ;   in Loop: Header=BB44_13 Depth=2
	v_lshrrev_b64 v[10:11], 8, v[8:9]
	v_lshrrev_b32_e32 v0, 3, v12
	v_cmp_gt_u32_e32 vcc_lo, 8, v12
	s_delay_alu instid0(VALU_DEP_3)
	v_dual_mov_b32 v13, v11 :: v_dual_mov_b32 v12, v10
	s_and_saveexec_b32 s30, vcc_lo
; %bb.29:                               ;   in Loop: Header=BB44_13 Depth=2
	v_and_b32_e32 v0, 7, v19
	s_delay_alu instid0(VALU_DEP_1) | instskip(NEXT) | instid1(VALU_DEP_1)
	v_clz_i32_u32_e32 v0, v0
	v_min_u32_e32 v0, 32, v0
	s_delay_alu instid0(VALU_DEP_1) | instskip(SKIP_1) | instid1(VALU_DEP_2)
	v_subrev_nc_u32_e32 v12, 28, v0
	v_sub_nc_u32_e32 v0, 29, v0
	v_lshlrev_b64 v[12:13], v12, v[10:11]
; %bb.30:                               ;   in Loop: Header=BB44_13 Depth=2
	s_or_b32 exec_lo, exec_lo, s30
	s_delay_alu instid0(VALU_DEP_1) | instskip(SKIP_2) | instid1(VALU_DEP_3)
	v_lshlrev_b32_e32 v11, 20, v12
	v_lshlrev_b32_e32 v10, 24, v10
	v_lshl_add_u32 v0, v0, 23, 0x3c000000
	v_and_b32_e32 v11, 0x700000, v11
	s_delay_alu instid0(VALU_DEP_3) | instskip(NEXT) | instid1(VALU_DEP_1)
	v_and_b32_e32 v10, 0x80000000, v10
	v_or3_b32 v0, v11, v10, v0
.LBB44_31:                              ;   in Loop: Header=BB44_13 Depth=2
	s_or_b32 exec_lo, exec_lo, s25
.LBB44_32:                              ;   in Loop: Header=BB44_13 Depth=2
	s_delay_alu instid0(SALU_CYCLE_1)
	s_or_b32 exec_lo, exec_lo, s19
.LBB44_33:                              ;   in Loop: Header=BB44_13 Depth=2
	s_delay_alu instid0(SALU_CYCLE_1) | instskip(NEXT) | instid1(VALU_DEP_1)
	s_or_b32 exec_lo, exec_lo, s1
	v_mul_f32_e32 v0, s6, v0
	s_mov_b32 s1, exec_lo
                                        ; implicit-def: $vgpr19
	s_delay_alu instid0(VALU_DEP_1) | instskip(NEXT) | instid1(VALU_DEP_1)
	v_and_b32_e32 v10, 0x7f800000, v0
	v_cmpx_ne_u32_e32 0x7f800000, v10
	s_xor_b32 s1, exec_lo, s1
; %bb.34:                               ;   in Loop: Header=BB44_13 Depth=2
	v_bfe_u32 v10, v0, 16, 1
	s_delay_alu instid0(VALU_DEP_1)
	v_add3_u32 v19, v0, v10, 0x7fff
                                        ; implicit-def: $vgpr0
; %bb.35:                               ;   in Loop: Header=BB44_13 Depth=2
	s_and_not1_saveexec_b32 s1, s1
; %bb.36:                               ;   in Loop: Header=BB44_13 Depth=2
	v_and_b32_e32 v10, 0xffff, v0
	v_or_b32_e32 v11, 0x10000, v0
	s_delay_alu instid0(VALU_DEP_2) | instskip(NEXT) | instid1(VALU_DEP_2)
	v_cmp_eq_u32_e32 vcc_lo, 0, v10
	v_cndmask_b32_e32 v19, v11, v0, vcc_lo
; %bb.37:                               ;   in Loop: Header=BB44_13 Depth=2
	s_or_b32 exec_lo, exec_lo, s1
	v_lshrrev_b32_e32 v0, 16, v8
	s_mov_b32 s1, exec_lo
	s_delay_alu instid0(VALU_DEP_1) | instskip(SKIP_1) | instid1(VALU_DEP_2)
	v_and_b32_e32 v10, 0xff, v0
	v_mov_b32_e32 v0, 0
	v_cmpx_ne_u16_e32 0, v10
	s_cbranch_execz .LBB44_45
; %bb.38:                               ;   in Loop: Header=BB44_13 Depth=2
	v_bfrev_b32_e32 v0, 1
	s_mov_b32 s19, exec_lo
	v_cmpx_ne_u16_e32 0x80, v10
	s_cbranch_execz .LBB44_44
; %bb.39:                               ;   in Loop: Header=BB44_13 Depth=2
	v_alignbit_b32 v20, v9, v8, 16
	v_mov_b32_e32 v0, 0x7f800001
	s_mov_b32 s25, exec_lo
	s_delay_alu instid0(VALU_DEP_2) | instskip(NEXT) | instid1(VALU_DEP_1)
	v_and_b32_e32 v12, 0x7f, v20
	v_cmpx_ne_u32_e32 0x7f, v12
	s_cbranch_execz .LBB44_43
; %bb.40:                               ;   in Loop: Header=BB44_13 Depth=2
	v_lshrrev_b64 v[10:11], 16, v[8:9]
	v_lshrrev_b32_e32 v0, 3, v12
	v_cmp_gt_u32_e32 vcc_lo, 8, v12
	s_delay_alu instid0(VALU_DEP_3)
	v_dual_mov_b32 v13, v11 :: v_dual_mov_b32 v12, v10
	s_and_saveexec_b32 s30, vcc_lo
; %bb.41:                               ;   in Loop: Header=BB44_13 Depth=2
	v_and_b32_e32 v0, 7, v20
	s_delay_alu instid0(VALU_DEP_1) | instskip(NEXT) | instid1(VALU_DEP_1)
	v_clz_i32_u32_e32 v0, v0
	v_min_u32_e32 v0, 32, v0
	s_delay_alu instid0(VALU_DEP_1) | instskip(SKIP_1) | instid1(VALU_DEP_2)
	v_subrev_nc_u32_e32 v12, 28, v0
	v_sub_nc_u32_e32 v0, 29, v0
	v_lshlrev_b64 v[12:13], v12, v[10:11]
; %bb.42:                               ;   in Loop: Header=BB44_13 Depth=2
	s_or_b32 exec_lo, exec_lo, s30
	s_delay_alu instid0(VALU_DEP_1) | instskip(SKIP_2) | instid1(VALU_DEP_3)
	v_lshlrev_b32_e32 v11, 20, v12
	v_lshlrev_b32_e32 v10, 24, v10
	v_lshl_add_u32 v0, v0, 23, 0x3c000000
	v_and_b32_e32 v11, 0x700000, v11
	s_delay_alu instid0(VALU_DEP_3) | instskip(NEXT) | instid1(VALU_DEP_1)
	v_and_b32_e32 v10, 0x80000000, v10
	v_or3_b32 v0, v11, v10, v0
.LBB44_43:                              ;   in Loop: Header=BB44_13 Depth=2
	s_or_b32 exec_lo, exec_lo, s25
.LBB44_44:                              ;   in Loop: Header=BB44_13 Depth=2
	s_delay_alu instid0(SALU_CYCLE_1)
	s_or_b32 exec_lo, exec_lo, s19
.LBB44_45:                              ;   in Loop: Header=BB44_13 Depth=2
	s_delay_alu instid0(SALU_CYCLE_1) | instskip(NEXT) | instid1(VALU_DEP_1)
	s_or_b32 exec_lo, exec_lo, s1
	v_mul_f32_e32 v0, s6, v0
	s_mov_b32 s1, exec_lo
                                        ; implicit-def: $vgpr20
	s_delay_alu instid0(VALU_DEP_1) | instskip(NEXT) | instid1(VALU_DEP_1)
	v_and_b32_e32 v10, 0x7f800000, v0
	v_cmpx_ne_u32_e32 0x7f800000, v10
	s_xor_b32 s1, exec_lo, s1
; %bb.46:                               ;   in Loop: Header=BB44_13 Depth=2
	v_bfe_u32 v10, v0, 16, 1
	s_delay_alu instid0(VALU_DEP_1)
	v_add3_u32 v20, v0, v10, 0x7fff
                                        ; implicit-def: $vgpr0
; %bb.47:                               ;   in Loop: Header=BB44_13 Depth=2
	s_and_not1_saveexec_b32 s1, s1
; %bb.48:                               ;   in Loop: Header=BB44_13 Depth=2
	v_and_b32_e32 v10, 0xffff, v0
	v_or_b32_e32 v11, 0x10000, v0
	s_delay_alu instid0(VALU_DEP_2) | instskip(NEXT) | instid1(VALU_DEP_2)
	v_cmp_eq_u32_e32 vcc_lo, 0, v10
	v_cndmask_b32_e32 v20, v11, v0, vcc_lo
; %bb.49:                               ;   in Loop: Header=BB44_13 Depth=2
	s_or_b32 exec_lo, exec_lo, s1
	v_lshrrev_b32_e32 v10, 24, v8
	v_mov_b32_e32 v0, 0
	s_mov_b32 s1, exec_lo
	s_delay_alu instid0(VALU_DEP_2)
	v_cmpx_ne_u16_e32 0, v10
	s_cbranch_execz .LBB44_57
; %bb.50:                               ;   in Loop: Header=BB44_13 Depth=2
	v_bfrev_b32_e32 v0, 1
	s_mov_b32 s19, exec_lo
	v_cmpx_ne_u16_e32 0x80, v10
	s_cbranch_execz .LBB44_56
; %bb.51:                               ;   in Loop: Header=BB44_13 Depth=2
	v_alignbit_b32 v21, v9, v8, 24
	v_mov_b32_e32 v0, 0x7f800001
	s_mov_b32 s25, exec_lo
	s_delay_alu instid0(VALU_DEP_2) | instskip(NEXT) | instid1(VALU_DEP_1)
	v_and_b32_e32 v12, 0x7f, v21
	v_cmpx_ne_u32_e32 0x7f, v12
	s_cbranch_execz .LBB44_55
; %bb.52:                               ;   in Loop: Header=BB44_13 Depth=2
	v_lshrrev_b64 v[10:11], 24, v[8:9]
	v_lshrrev_b32_e32 v0, 3, v12
	v_cmp_gt_u32_e32 vcc_lo, 8, v12
	s_delay_alu instid0(VALU_DEP_3)
	v_dual_mov_b32 v13, v11 :: v_dual_mov_b32 v12, v10
	s_and_saveexec_b32 s30, vcc_lo
; %bb.53:                               ;   in Loop: Header=BB44_13 Depth=2
	v_and_b32_e32 v0, 7, v21
	s_delay_alu instid0(VALU_DEP_1) | instskip(NEXT) | instid1(VALU_DEP_1)
	v_clz_i32_u32_e32 v0, v0
	v_min_u32_e32 v0, 32, v0
	s_delay_alu instid0(VALU_DEP_1) | instskip(SKIP_1) | instid1(VALU_DEP_2)
	v_subrev_nc_u32_e32 v12, 28, v0
	v_sub_nc_u32_e32 v0, 29, v0
	v_lshlrev_b64 v[12:13], v12, v[10:11]
; %bb.54:                               ;   in Loop: Header=BB44_13 Depth=2
	s_or_b32 exec_lo, exec_lo, s30
	s_delay_alu instid0(VALU_DEP_1) | instskip(SKIP_2) | instid1(VALU_DEP_3)
	v_lshlrev_b32_e32 v11, 20, v12
	v_lshlrev_b32_e32 v10, 24, v10
	v_lshl_add_u32 v0, v0, 23, 0x3c000000
	v_and_b32_e32 v11, 0x700000, v11
	s_delay_alu instid0(VALU_DEP_3) | instskip(NEXT) | instid1(VALU_DEP_1)
	v_and_b32_e32 v10, 0x80000000, v10
	v_or3_b32 v0, v11, v10, v0
.LBB44_55:                              ;   in Loop: Header=BB44_13 Depth=2
	s_or_b32 exec_lo, exec_lo, s25
.LBB44_56:                              ;   in Loop: Header=BB44_13 Depth=2
	s_delay_alu instid0(SALU_CYCLE_1)
	s_or_b32 exec_lo, exec_lo, s19
.LBB44_57:                              ;   in Loop: Header=BB44_13 Depth=2
	s_delay_alu instid0(SALU_CYCLE_1) | instskip(NEXT) | instid1(VALU_DEP_1)
	s_or_b32 exec_lo, exec_lo, s1
	v_mul_f32_e32 v0, s6, v0
	s_mov_b32 s1, exec_lo
                                        ; implicit-def: $vgpr12
	s_delay_alu instid0(VALU_DEP_1) | instskip(NEXT) | instid1(VALU_DEP_1)
	v_and_b32_e32 v10, 0x7f800000, v0
	v_cmpx_ne_u32_e32 0x7f800000, v10
	s_xor_b32 s1, exec_lo, s1
; %bb.58:                               ;   in Loop: Header=BB44_13 Depth=2
	v_bfe_u32 v10, v0, 16, 1
	s_delay_alu instid0(VALU_DEP_1)
	v_add3_u32 v12, v0, v10, 0x7fff
                                        ; implicit-def: $vgpr0
; %bb.59:                               ;   in Loop: Header=BB44_13 Depth=2
	s_and_not1_saveexec_b32 s1, s1
; %bb.60:                               ;   in Loop: Header=BB44_13 Depth=2
	v_and_b32_e32 v10, 0xffff, v0
	v_or_b32_e32 v11, 0x10000, v0
	s_delay_alu instid0(VALU_DEP_2) | instskip(NEXT) | instid1(VALU_DEP_2)
	v_cmp_eq_u32_e32 vcc_lo, 0, v10
	v_cndmask_b32_e32 v12, v11, v0, vcc_lo
; %bb.61:                               ;   in Loop: Header=BB44_13 Depth=2
	s_or_b32 exec_lo, exec_lo, s1
	v_and_b32_e32 v10, 0xff, v9
	v_mov_b32_e32 v0, 0
	s_mov_b32 s1, exec_lo
	s_delay_alu instid0(VALU_DEP_2)
	v_cmpx_ne_u16_e32 0, v10
	s_cbranch_execz .LBB44_69
; %bb.62:                               ;   in Loop: Header=BB44_13 Depth=2
	v_bfrev_b32_e32 v0, 1
	s_mov_b32 s19, exec_lo
	v_cmpx_ne_u16_e32 0x80, v10
	s_cbranch_execz .LBB44_68
; %bb.63:                               ;   in Loop: Header=BB44_13 Depth=2
	v_and_b32_e32 v10, 0x7f, v9
	v_mov_b32_e32 v0, 0x7f800001
	s_mov_b32 s25, exec_lo
	s_delay_alu instid0(VALU_DEP_2)
	v_cmpx_ne_u32_e32 0x7f, v10
	s_cbranch_execz .LBB44_67
; %bb.64:                               ;   in Loop: Header=BB44_13 Depth=2
	v_mov_b32_e32 v0, v9
	v_lshrrev_b32_e32 v13, 3, v10
	v_cmp_gt_u32_e32 vcc_lo, 8, v10
	s_delay_alu instid0(VALU_DEP_3)
	v_dual_mov_b32 v11, v1 :: v_dual_mov_b32 v10, v0
	s_and_saveexec_b32 s30, vcc_lo
; %bb.65:                               ;   in Loop: Header=BB44_13 Depth=2
	v_and_b32_e32 v10, 7, v9
	s_delay_alu instid0(VALU_DEP_1) | instskip(NEXT) | instid1(VALU_DEP_1)
	v_clz_i32_u32_e32 v10, v10
	v_min_u32_e32 v13, 32, v10
	s_delay_alu instid0(VALU_DEP_1) | instskip(SKIP_1) | instid1(VALU_DEP_2)
	v_subrev_nc_u32_e32 v10, 28, v13
	v_sub_nc_u32_e32 v13, 29, v13
	v_lshlrev_b64 v[10:11], v10, v[0:1]
; %bb.66:                               ;   in Loop: Header=BB44_13 Depth=2
	s_or_b32 exec_lo, exec_lo, s30
	s_delay_alu instid0(VALU_DEP_1) | instskip(SKIP_2) | instid1(VALU_DEP_3)
	v_lshlrev_b32_e32 v10, 20, v10
	v_lshlrev_b32_e32 v0, 24, v0
	v_lshl_add_u32 v11, v13, 23, 0x3c000000
	v_and_b32_e32 v10, 0x700000, v10
	s_delay_alu instid0(VALU_DEP_3) | instskip(NEXT) | instid1(VALU_DEP_1)
	v_and_b32_e32 v0, 0x80000000, v0
	v_or3_b32 v0, v10, v0, v11
.LBB44_67:                              ;   in Loop: Header=BB44_13 Depth=2
	s_or_b32 exec_lo, exec_lo, s25
.LBB44_68:                              ;   in Loop: Header=BB44_13 Depth=2
	s_delay_alu instid0(SALU_CYCLE_1)
	s_or_b32 exec_lo, exec_lo, s19
.LBB44_69:                              ;   in Loop: Header=BB44_13 Depth=2
	s_delay_alu instid0(SALU_CYCLE_1) | instskip(NEXT) | instid1(VALU_DEP_1)
	s_or_b32 exec_lo, exec_lo, s1
	v_mul_f32_e32 v0, s6, v0
	s_mov_b32 s1, exec_lo
                                        ; implicit-def: $vgpr13
	s_delay_alu instid0(VALU_DEP_1) | instskip(NEXT) | instid1(VALU_DEP_1)
	v_and_b32_e32 v10, 0x7f800000, v0
	v_cmpx_ne_u32_e32 0x7f800000, v10
	s_xor_b32 s1, exec_lo, s1
; %bb.70:                               ;   in Loop: Header=BB44_13 Depth=2
	v_bfe_u32 v10, v0, 16, 1
	s_delay_alu instid0(VALU_DEP_1)
	v_add3_u32 v13, v0, v10, 0x7fff
                                        ; implicit-def: $vgpr0
; %bb.71:                               ;   in Loop: Header=BB44_13 Depth=2
	s_and_not1_saveexec_b32 s1, s1
; %bb.72:                               ;   in Loop: Header=BB44_13 Depth=2
	v_and_b32_e32 v10, 0xffff, v0
	v_or_b32_e32 v11, 0x10000, v0
	s_delay_alu instid0(VALU_DEP_2) | instskip(NEXT) | instid1(VALU_DEP_2)
	v_cmp_eq_u32_e32 vcc_lo, 0, v10
	v_cndmask_b32_e32 v13, v11, v0, vcc_lo
; %bb.73:                               ;   in Loop: Header=BB44_13 Depth=2
	s_or_b32 exec_lo, exec_lo, s1
	v_lshrrev_b32_e32 v0, 8, v9
	s_mov_b32 s1, exec_lo
	s_delay_alu instid0(VALU_DEP_1) | instskip(NEXT) | instid1(VALU_DEP_1)
	v_dual_mov_b32 v10, 0 :: v_dual_and_b32 v11, 0xff, v0
	v_cmpx_ne_u16_e32 0, v11
	s_cbranch_execz .LBB44_81
; %bb.74:                               ;   in Loop: Header=BB44_13 Depth=2
	v_bfrev_b32_e32 v10, 1
	s_mov_b32 s19, exec_lo
	v_cmpx_ne_u16_e32 0x80, v11
	s_cbranch_execz .LBB44_80
; %bb.75:                               ;   in Loop: Header=BB44_13 Depth=2
	v_bfe_u32 v11, v9, 8, 7
	v_mov_b32_e32 v10, 0x7f800001
	s_mov_b32 s25, exec_lo
	s_delay_alu instid0(VALU_DEP_2)
	v_cmpx_ne_u32_e32 0x7f, v11
	s_cbranch_execz .LBB44_79
; %bb.76:                               ;   in Loop: Header=BB44_13 Depth=2
	v_lshrrev_b32_e32 v21, 3, v11
	v_cmp_gt_u32_e32 vcc_lo, 8, v11
	v_dual_mov_b32 v11, v1 :: v_dual_mov_b32 v10, v0
	s_and_saveexec_b32 s30, vcc_lo
; %bb.77:                               ;   in Loop: Header=BB44_13 Depth=2
	v_and_b32_e32 v10, 7, v0
	s_delay_alu instid0(VALU_DEP_1) | instskip(NEXT) | instid1(VALU_DEP_1)
	v_clz_i32_u32_e32 v10, v10
	v_min_u32_e32 v21, 32, v10
	s_delay_alu instid0(VALU_DEP_1) | instskip(SKIP_1) | instid1(VALU_DEP_2)
	v_subrev_nc_u32_e32 v10, 28, v21
	v_sub_nc_u32_e32 v21, 29, v21
	v_lshlrev_b64 v[10:11], v10, v[0:1]
; %bb.78:                               ;   in Loop: Header=BB44_13 Depth=2
	s_or_b32 exec_lo, exec_lo, s30
	s_delay_alu instid0(VALU_DEP_1) | instskip(SKIP_2) | instid1(VALU_DEP_3)
	v_lshlrev_b32_e32 v10, 20, v10
	v_lshlrev_b32_e32 v0, 24, v0
	v_lshl_add_u32 v11, v21, 23, 0x3c000000
	v_and_b32_e32 v10, 0x700000, v10
	s_delay_alu instid0(VALU_DEP_3) | instskip(NEXT) | instid1(VALU_DEP_1)
	v_and_b32_e32 v0, 0x80000000, v0
	v_or3_b32 v10, v10, v0, v11
.LBB44_79:                              ;   in Loop: Header=BB44_13 Depth=2
	s_or_b32 exec_lo, exec_lo, s25
.LBB44_80:                              ;   in Loop: Header=BB44_13 Depth=2
	s_delay_alu instid0(SALU_CYCLE_1)
	s_or_b32 exec_lo, exec_lo, s19
.LBB44_81:                              ;   in Loop: Header=BB44_13 Depth=2
	s_delay_alu instid0(SALU_CYCLE_1) | instskip(NEXT) | instid1(VALU_DEP_1)
	s_or_b32 exec_lo, exec_lo, s1
	v_mul_f32_e32 v0, s6, v10
	s_mov_b32 s1, exec_lo
                                        ; implicit-def: $vgpr21
	s_delay_alu instid0(VALU_DEP_1) | instskip(NEXT) | instid1(VALU_DEP_1)
	v_and_b32_e32 v10, 0x7f800000, v0
	v_cmpx_ne_u32_e32 0x7f800000, v10
	s_xor_b32 s1, exec_lo, s1
; %bb.82:                               ;   in Loop: Header=BB44_13 Depth=2
	v_bfe_u32 v10, v0, 16, 1
	s_delay_alu instid0(VALU_DEP_1)
	v_add3_u32 v21, v0, v10, 0x7fff
                                        ; implicit-def: $vgpr0
; %bb.83:                               ;   in Loop: Header=BB44_13 Depth=2
	s_and_not1_saveexec_b32 s1, s1
; %bb.84:                               ;   in Loop: Header=BB44_13 Depth=2
	v_and_b32_e32 v10, 0xffff, v0
	v_or_b32_e32 v11, 0x10000, v0
	s_delay_alu instid0(VALU_DEP_2) | instskip(NEXT) | instid1(VALU_DEP_2)
	v_cmp_eq_u32_e32 vcc_lo, 0, v10
	v_cndmask_b32_e32 v21, v11, v0, vcc_lo
; %bb.85:                               ;   in Loop: Header=BB44_13 Depth=2
	s_or_b32 exec_lo, exec_lo, s1
	v_lshrrev_b32_e32 v0, 16, v9
	s_mov_b32 s1, exec_lo
	s_delay_alu instid0(VALU_DEP_1) | instskip(NEXT) | instid1(VALU_DEP_1)
	v_dual_mov_b32 v10, 0 :: v_dual_and_b32 v11, 0xff, v0
	v_cmpx_ne_u16_e32 0, v11
	s_cbranch_execz .LBB44_93
; %bb.86:                               ;   in Loop: Header=BB44_13 Depth=2
	v_bfrev_b32_e32 v10, 1
	s_mov_b32 s19, exec_lo
	v_cmpx_ne_u16_e32 0x80, v11
	s_cbranch_execz .LBB44_92
; %bb.87:                               ;   in Loop: Header=BB44_13 Depth=2
	v_bfe_u32 v11, v9, 16, 7
	v_mov_b32_e32 v10, 0x7f800001
	s_mov_b32 s25, exec_lo
	s_delay_alu instid0(VALU_DEP_2)
	v_cmpx_ne_u32_e32 0x7f, v11
	s_cbranch_execz .LBB44_91
; %bb.88:                               ;   in Loop: Header=BB44_13 Depth=2
	v_lshrrev_b32_e32 v22, 3, v11
	v_cmp_gt_u32_e32 vcc_lo, 8, v11
	v_dual_mov_b32 v11, v1 :: v_dual_mov_b32 v10, v0
	s_and_saveexec_b32 s30, vcc_lo
; %bb.89:                               ;   in Loop: Header=BB44_13 Depth=2
	v_and_b32_e32 v10, 7, v0
	s_delay_alu instid0(VALU_DEP_1) | instskip(NEXT) | instid1(VALU_DEP_1)
	v_clz_i32_u32_e32 v10, v10
	v_min_u32_e32 v22, 32, v10
	s_delay_alu instid0(VALU_DEP_1) | instskip(SKIP_1) | instid1(VALU_DEP_2)
	v_subrev_nc_u32_e32 v10, 28, v22
	v_sub_nc_u32_e32 v22, 29, v22
	v_lshlrev_b64 v[10:11], v10, v[0:1]
; %bb.90:                               ;   in Loop: Header=BB44_13 Depth=2
	s_or_b32 exec_lo, exec_lo, s30
	s_delay_alu instid0(VALU_DEP_1) | instskip(SKIP_2) | instid1(VALU_DEP_3)
	v_lshlrev_b32_e32 v10, 20, v10
	v_lshlrev_b32_e32 v0, 24, v0
	v_lshl_add_u32 v11, v22, 23, 0x3c000000
	v_and_b32_e32 v10, 0x700000, v10
	s_delay_alu instid0(VALU_DEP_3) | instskip(NEXT) | instid1(VALU_DEP_1)
	v_and_b32_e32 v0, 0x80000000, v0
	v_or3_b32 v10, v10, v0, v11
.LBB44_91:                              ;   in Loop: Header=BB44_13 Depth=2
	s_or_b32 exec_lo, exec_lo, s25
.LBB44_92:                              ;   in Loop: Header=BB44_13 Depth=2
	s_delay_alu instid0(SALU_CYCLE_1)
	s_or_b32 exec_lo, exec_lo, s19
.LBB44_93:                              ;   in Loop: Header=BB44_13 Depth=2
	s_delay_alu instid0(SALU_CYCLE_1) | instskip(NEXT) | instid1(VALU_DEP_1)
	s_or_b32 exec_lo, exec_lo, s1
	v_mul_f32_e32 v0, s6, v10
	s_mov_b32 s1, exec_lo
                                        ; implicit-def: $vgpr22
	s_delay_alu instid0(VALU_DEP_1) | instskip(NEXT) | instid1(VALU_DEP_1)
	v_and_b32_e32 v10, 0x7f800000, v0
	v_cmpx_ne_u32_e32 0x7f800000, v10
	s_xor_b32 s1, exec_lo, s1
; %bb.94:                               ;   in Loop: Header=BB44_13 Depth=2
	v_bfe_u32 v10, v0, 16, 1
	s_delay_alu instid0(VALU_DEP_1)
	v_add3_u32 v22, v0, v10, 0x7fff
                                        ; implicit-def: $vgpr0
; %bb.95:                               ;   in Loop: Header=BB44_13 Depth=2
	s_and_not1_saveexec_b32 s1, s1
; %bb.96:                               ;   in Loop: Header=BB44_13 Depth=2
	v_and_b32_e32 v10, 0xffff, v0
	v_or_b32_e32 v11, 0x10000, v0
	s_delay_alu instid0(VALU_DEP_2) | instskip(NEXT) | instid1(VALU_DEP_2)
	v_cmp_eq_u32_e32 vcc_lo, 0, v10
	v_cndmask_b32_e32 v22, v11, v0, vcc_lo
; %bb.97:                               ;   in Loop: Header=BB44_13 Depth=2
	s_or_b32 exec_lo, exec_lo, s1
	v_cmp_lt_u64_e32 vcc_lo, s[28:29], v[8:9]
	v_mov_b32_e32 v8, 0
	s_and_saveexec_b32 s1, vcc_lo
	s_cbranch_execz .LBB44_105
; %bb.98:                               ;   in Loop: Header=BB44_13 Depth=2
	v_lshrrev_b32_e32 v0, 24, v9
	v_bfrev_b32_e32 v8, 1
	s_mov_b32 s19, exec_lo
	s_delay_alu instid0(VALU_DEP_2)
	v_cmpx_ne_u64_e32 0x80, v[0:1]
	s_cbranch_execz .LBB44_104
; %bb.99:                               ;   in Loop: Header=BB44_13 Depth=2
	v_bfe_u32 v10, v9, 24, 7
	v_mov_b32_e32 v8, 0x7f800001
	s_mov_b32 s25, exec_lo
	s_delay_alu instid0(VALU_DEP_2)
	v_cmpx_ne_u32_e32 0x7f, v10
	s_cbranch_execz .LBB44_103
; %bb.100:                              ;   in Loop: Header=BB44_13 Depth=2
	v_lshrrev_b32_e32 v8, 3, v10
	v_cmp_gt_u32_e32 vcc_lo, 8, v10
	v_dual_mov_b32 v11, v1 :: v_dual_mov_b32 v10, v0
	s_and_saveexec_b32 s30, vcc_lo
; %bb.101:                              ;   in Loop: Header=BB44_13 Depth=2
	v_and_b32_e32 v8, 7, v0
	s_delay_alu instid0(VALU_DEP_1) | instskip(NEXT) | instid1(VALU_DEP_1)
	v_clz_i32_u32_e32 v8, v8
	v_min_u32_e32 v8, 32, v8
	s_delay_alu instid0(VALU_DEP_1) | instskip(SKIP_1) | instid1(VALU_DEP_2)
	v_subrev_nc_u32_e32 v10, 28, v8
	v_sub_nc_u32_e32 v8, 29, v8
	v_lshlrev_b64 v[10:11], v10, v[0:1]
; %bb.102:                              ;   in Loop: Header=BB44_13 Depth=2
	s_or_b32 exec_lo, exec_lo, s30
	s_delay_alu instid0(VALU_DEP_1) | instskip(SKIP_2) | instid1(VALU_DEP_3)
	v_lshlrev_b32_e32 v0, 20, v10
	v_and_b32_e32 v9, 0x80000000, v9
	v_lshl_add_u32 v8, v8, 23, 0x3c000000
	v_and_b32_e32 v0, 0x700000, v0
	s_delay_alu instid0(VALU_DEP_1)
	v_or3_b32 v8, v0, v9, v8
.LBB44_103:                             ;   in Loop: Header=BB44_13 Depth=2
	s_or_b32 exec_lo, exec_lo, s25
.LBB44_104:                             ;   in Loop: Header=BB44_13 Depth=2
	s_delay_alu instid0(SALU_CYCLE_1)
	s_or_b32 exec_lo, exec_lo, s19
.LBB44_105:                             ;   in Loop: Header=BB44_13 Depth=2
	s_delay_alu instid0(SALU_CYCLE_1) | instskip(NEXT) | instid1(VALU_DEP_1)
	s_or_b32 exec_lo, exec_lo, s1
	v_mul_f32_e32 v0, s6, v8
	s_delay_alu instid0(VALU_DEP_1) | instskip(NEXT) | instid1(VALU_DEP_1)
	v_and_b32_e32 v8, 0x7f800000, v0
	v_cmp_ne_u32_e32 vcc_lo, 0x7f800000, v8
                                        ; implicit-def: $vgpr8
	s_and_saveexec_b32 s1, vcc_lo
	s_delay_alu instid0(SALU_CYCLE_1)
	s_xor_b32 s1, exec_lo, s1
; %bb.106:                              ;   in Loop: Header=BB44_13 Depth=2
	v_bfe_u32 v8, v0, 16, 1
	s_delay_alu instid0(VALU_DEP_1)
	v_add3_u32 v8, v0, v8, 0x7fff
                                        ; implicit-def: $vgpr0
; %bb.107:                              ;   in Loop: Header=BB44_13 Depth=2
	s_and_not1_saveexec_b32 s1, s1
	s_cbranch_execz .LBB44_12
; %bb.108:                              ;   in Loop: Header=BB44_13 Depth=2
	v_and_b32_e32 v8, 0xffff, v0
	v_or_b32_e32 v9, 0x10000, v0
	s_delay_alu instid0(VALU_DEP_2) | instskip(NEXT) | instid1(VALU_DEP_2)
	v_cmp_eq_u32_e32 vcc_lo, 0, v8
	v_cndmask_b32_e32 v8, v9, v0, vcc_lo
	s_branch .LBB44_12
.LBB44_109:
	s_endpgm
	.section	.rodata,"a",@progbits
	.p2align	6, 0x0
	.amdhsa_kernel _ZN4vllm30gather_and_maybe_dequant_cacheI14__hip_bfloat16hLNS_18Fp8KVCacheDataTypeE1ELi576ELi64EEEvPKT0_PT_PKiS9_S9_iillllPKfS9_
		.amdhsa_group_segment_fixed_size 0
		.amdhsa_private_segment_fixed_size 64
		.amdhsa_kernarg_size 352
		.amdhsa_user_sgpr_count 15
		.amdhsa_user_sgpr_dispatch_ptr 0
		.amdhsa_user_sgpr_queue_ptr 0
		.amdhsa_user_sgpr_kernarg_segment_ptr 1
		.amdhsa_user_sgpr_dispatch_id 0
		.amdhsa_user_sgpr_private_segment_size 0
		.amdhsa_wavefront_size32 1
		.amdhsa_uses_dynamic_stack 0
		.amdhsa_enable_private_segment 1
		.amdhsa_system_sgpr_workgroup_id_x 1
		.amdhsa_system_sgpr_workgroup_id_y 0
		.amdhsa_system_sgpr_workgroup_id_z 0
		.amdhsa_system_sgpr_workgroup_info 0
		.amdhsa_system_vgpr_workitem_id 0
		.amdhsa_next_free_vgpr 53
		.amdhsa_next_free_sgpr 38
		.amdhsa_reserve_vcc 1
		.amdhsa_float_round_mode_32 0
		.amdhsa_float_round_mode_16_64 0
		.amdhsa_float_denorm_mode_32 3
		.amdhsa_float_denorm_mode_16_64 3
		.amdhsa_dx10_clamp 1
		.amdhsa_ieee_mode 1
		.amdhsa_fp16_overflow 0
		.amdhsa_workgroup_processor_mode 1
		.amdhsa_memory_ordered 1
		.amdhsa_forward_progress 0
		.amdhsa_shared_vgpr_count 0
		.amdhsa_exception_fp_ieee_invalid_op 0
		.amdhsa_exception_fp_denorm_src 0
		.amdhsa_exception_fp_ieee_div_zero 0
		.amdhsa_exception_fp_ieee_overflow 0
		.amdhsa_exception_fp_ieee_underflow 0
		.amdhsa_exception_fp_ieee_inexact 0
		.amdhsa_exception_int_div_zero 0
	.end_amdhsa_kernel
	.section	.text._ZN4vllm30gather_and_maybe_dequant_cacheI14__hip_bfloat16hLNS_18Fp8KVCacheDataTypeE1ELi576ELi64EEEvPKT0_PT_PKiS9_S9_iillllPKfS9_,"axG",@progbits,_ZN4vllm30gather_and_maybe_dequant_cacheI14__hip_bfloat16hLNS_18Fp8KVCacheDataTypeE1ELi576ELi64EEEvPKT0_PT_PKiS9_S9_iillllPKfS9_,comdat
.Lfunc_end44:
	.size	_ZN4vllm30gather_and_maybe_dequant_cacheI14__hip_bfloat16hLNS_18Fp8KVCacheDataTypeE1ELi576ELi64EEEvPKT0_PT_PKiS9_S9_iillllPKfS9_, .Lfunc_end44-_ZN4vllm30gather_and_maybe_dequant_cacheI14__hip_bfloat16hLNS_18Fp8KVCacheDataTypeE1ELi576ELi64EEEvPKT0_PT_PKiS9_S9_iillllPKfS9_
                                        ; -- End function
	.section	.AMDGPU.csdata,"",@progbits
; Kernel info:
; codeLenInByte = 3544
; NumSgprs: 40
; NumVgprs: 53
; ScratchSize: 64
; MemoryBound: 0
; FloatMode: 240
; IeeeMode: 1
; LDSByteSize: 0 bytes/workgroup (compile time only)
; SGPRBlocks: 4
; VGPRBlocks: 6
; NumSGPRsForWavesPerEU: 40
; NumVGPRsForWavesPerEU: 53
; Occupancy: 16
; WaveLimiterHint : 1
; COMPUTE_PGM_RSRC2:SCRATCH_EN: 1
; COMPUTE_PGM_RSRC2:USER_SGPR: 15
; COMPUTE_PGM_RSRC2:TRAP_HANDLER: 0
; COMPUTE_PGM_RSRC2:TGID_X_EN: 1
; COMPUTE_PGM_RSRC2:TGID_Y_EN: 0
; COMPUTE_PGM_RSRC2:TGID_Z_EN: 0
; COMPUTE_PGM_RSRC2:TIDIG_COMP_CNT: 0
	.section	.text._ZN4vllm30gather_and_maybe_dequant_cacheIffLNS_18Fp8KVCacheDataTypeE0ELi320ELi64EEEvPKT0_PT_PKiS8_S8_iillllPKfS8_,"axG",@progbits,_ZN4vllm30gather_and_maybe_dequant_cacheIffLNS_18Fp8KVCacheDataTypeE0ELi320ELi64EEEvPKT0_PT_PKiS8_S8_iillllPKfS8_,comdat
	.protected	_ZN4vllm30gather_and_maybe_dequant_cacheIffLNS_18Fp8KVCacheDataTypeE0ELi320ELi64EEEvPKT0_PT_PKiS8_S8_iillllPKfS8_ ; -- Begin function _ZN4vllm30gather_and_maybe_dequant_cacheIffLNS_18Fp8KVCacheDataTypeE0ELi320ELi64EEEvPKT0_PT_PKiS8_S8_iillllPKfS8_
	.globl	_ZN4vllm30gather_and_maybe_dequant_cacheIffLNS_18Fp8KVCacheDataTypeE0ELi320ELi64EEEvPKT0_PT_PKiS8_S8_iillllPKfS8_
	.p2align	8
	.type	_ZN4vllm30gather_and_maybe_dequant_cacheIffLNS_18Fp8KVCacheDataTypeE0ELi320ELi64EEEvPKT0_PT_PKiS8_S8_iillllPKfS8_,@function
_ZN4vllm30gather_and_maybe_dequant_cacheIffLNS_18Fp8KVCacheDataTypeE0ELi320ELi64EEEvPKT0_PT_PKiS8_S8_iillllPKfS8_: ; @_ZN4vllm30gather_and_maybe_dequant_cacheIffLNS_18Fp8KVCacheDataTypeE0ELi320ELi64EEEvPKT0_PT_PKiS8_S8_iillllPKfS8_
; %bb.0:
	s_mov_b64 s[18:19], s[0:1]
	s_load_b32 s0, s[0:1], 0x6c
	v_mov_b32_e32 v41, v0
	s_add_u32 s34, s18, 0x60
	s_mov_b32 s28, s15
	s_addc_u32 s35, s19, 0
	s_mov_b32 s32, 0
	s_waitcnt lgkmcnt(0)
	v_cmp_eq_u16_e64 s0, s0, 64
	s_delay_alu instid0(VALU_DEP_1)
	s_and_b32 vcc_lo, exec_lo, s0
	s_mov_b32 s0, -1
	s_cbranch_vccnz .LBB45_2
; %bb.1:
	s_add_u32 s8, s18, 0x60
	s_addc_u32 s9, s19, 0
	s_getpc_b64 s[0:1]
	s_add_u32 s0, s0, .str.2@rel32@lo+4
	s_addc_u32 s1, s1, .str.2@rel32@hi+12
	s_getpc_b64 s[2:3]
	s_add_u32 s2, s2, .str.3@rel32@lo+4
	s_addc_u32 s3, s3, .str.3@rel32@hi+12
	s_getpc_b64 s[4:5]
	s_add_u32 s4, s4, __PRETTY_FUNCTION__._ZN4vllm30gather_and_maybe_dequant_cacheIffLNS_18Fp8KVCacheDataTypeE0ELi320ELi64EEEvPKT0_PT_PKiS8_S8_iillllPKfS8_@rel32@lo+4
	s_addc_u32 s5, s5, __PRETTY_FUNCTION__._ZN4vllm30gather_and_maybe_dequant_cacheIffLNS_18Fp8KVCacheDataTypeE0ELi320ELi64EEEvPKT0_PT_PKiS8_S8_iillllPKfS8_@rel32@hi+12
	v_dual_mov_b32 v0, s0 :: v_dual_mov_b32 v1, s1
	v_dual_mov_b32 v2, s2 :: v_dual_mov_b32 v3, s3
	;; [unrolled: 1-line block ×3, first 2 shown]
	v_mov_b32_e32 v6, s5
	s_getpc_b64 s[6:7]
	s_add_u32 s6, s6, __assert_fail@rel32@lo+4
	s_addc_u32 s7, s7, __assert_fail@rel32@hi+12
	s_delay_alu instid0(SALU_CYCLE_1)
	s_swappc_b64 s[30:31], s[6:7]
	; divergent unreachable
	s_mov_b32 s0, 0
.LBB45_2:
	s_delay_alu instid0(SALU_CYCLE_1)
	s_and_not1_b32 vcc_lo, exec_lo, s0
	s_cbranch_vccnz .LBB45_13
; %bb.3:
	s_load_b64 s[2:3], s[18:19], 0x28
	s_waitcnt lgkmcnt(0)
	s_cmp_ge_i32 s28, s2
	s_cbranch_scc1 .LBB45_13
; %bb.4:
	s_clause 0x3
	s_load_b64 s[12:13], s[18:19], 0x58
	s_load_b256 s[4:11], s[18:19], 0x0
	s_load_b256 s[20:27], s[18:19], 0x30
	s_load_b64 s[14:15], s[18:19], 0x20
	s_waitcnt lgkmcnt(0)
	s_load_b32 s21, s[34:35], 0x0
	v_cmp_gt_u32_e64 s0, 0x50, v41
	v_subrev_nc_u32_e32 v6, 64, v41
	v_lshlrev_b32_e32 v1, 4, v41
	s_cmp_lg_u64 s[12:13], 0
	s_delay_alu instid0(VALU_DEP_1)
	v_add_co_u32 v7, s1, s4, v1
	s_cselect_b32 s30, -1, 0
	s_abs_i32 s31, s3
	s_ashr_i32 s33, s3, 31
	v_cvt_f32_u32_e32 v0, s31
	v_add_co_ci_u32_e64 v8, null, s5, 0, s1
	s_delay_alu instid0(VALU_DEP_2) | instskip(SKIP_2) | instid1(VALU_DEP_1)
	v_rcp_iflag_f32_e32 v0, v0
	s_waitcnt_depctr 0xfff
	v_mul_f32_e32 v0, 0x4f7ffffe, v0
	v_cvt_u32_f32_e32 v0, v0
	s_delay_alu instid0(VALU_DEP_1) | instskip(SKIP_3) | instid1(VALU_DEP_3)
	v_readfirstlane_b32 s1, v0
	v_add_co_u32 v0, s4, s6, v1
	s_sub_i32 s6, 0, s31
	v_add_co_ci_u32_e64 v1, null, s7, 0, s4
	s_mul_i32 s6, s6, s1
	s_lshl_b64 s[4:5], s[22:23], 2
	s_mul_hi_u32 s16, s1, s6
	s_lshl_b64 s[6:7], s[24:25], 2
	s_add_i32 s34, s1, s16
	s_lshl_b64 s[16:17], s[26:27], 2
	s_branch .LBB45_7
.LBB45_5:                               ;   in Loop: Header=BB45_7 Depth=1
	s_or_b32 exec_lo, exec_lo, s19
	s_add_i32 s28, s28, s21
	s_delay_alu instid0(SALU_CYCLE_1)
	s_cmp_ge_i32 s28, s2
	s_waitcnt lgkmcnt(0)
	s_cselect_b32 s1, -1, 0
.LBB45_6:                               ;   in Loop: Header=BB45_7 Depth=1
	s_delay_alu instid0(SALU_CYCLE_1)
	s_and_b32 vcc_lo, exec_lo, s1
	s_cbranch_vccnz .LBB45_13
.LBB45_7:                               ; =>This Loop Header: Depth=1
                                        ;     Child Loop BB45_12 Depth 2
	s_ashr_i32 s29, s28, 31
	s_mov_b32 s1, -1
	s_lshl_b64 s[18:19], s[28:29], 2
	s_delay_alu instid0(SALU_CYCLE_1) | instskip(SKIP_4) | instid1(SALU_CYCLE_1)
	s_add_u32 s18, s14, s18
	s_addc_u32 s19, s15, s19
	s_load_b32 s18, s[18:19], 0x0
	s_waitcnt lgkmcnt(0)
	s_ashr_i32 s19, s18, 31
	s_lshl_b64 s[24:25], s[18:19], 2
	s_delay_alu instid0(SALU_CYCLE_1)
	s_add_u32 s22, s10, s24
	s_addc_u32 s23, s11, s25
	s_load_b64 s[22:23], s[22:23], 0x0
	s_waitcnt lgkmcnt(0)
	s_cmp_ge_i32 s28, s23
	s_cbranch_scc1 .LBB45_6
; %bb.8:                                ;   in Loop: Header=BB45_7 Depth=1
	s_and_not1_b32 vcc_lo, exec_lo, s30
	s_cbranch_vccnz .LBB45_10
; %bb.9:                                ;   in Loop: Header=BB45_7 Depth=1
	s_add_u32 s24, s12, s24
	s_addc_u32 s25, s13, s25
	s_load_b32 s1, s[24:25], 0x0
	s_and_saveexec_b32 s19, s0
	s_cbranch_execz .LBB45_5
	s_branch .LBB45_11
.LBB45_10:                              ;   in Loop: Header=BB45_7 Depth=1
	s_mov_b32 s1, 0
	s_and_saveexec_b32 s19, s0
	s_cbranch_execz .LBB45_5
.LBB45_11:                              ;   in Loop: Header=BB45_7 Depth=1
	s_sub_i32 s22, s28, s22
	s_mul_i32 s18, s18, s20
	s_waitcnt lgkmcnt(0)
	s_add_i32 s1, s1, s22
	v_mad_u64_u32 v[2:3], null, s16, s28, v[0:1]
	s_abs_i32 s22, s1
	s_ashr_i32 s24, s1, 31
	s_mul_hi_u32 s23, s22, s34
	s_xor_b32 s24, s24, s33
	s_mul_i32 s25, s23, s31
	v_mov_b32_e32 v9, v6
	s_sub_i32 s22, s22, s25
	s_add_i32 s25, s23, 1
	s_sub_i32 s26, s22, s31
	s_cmp_ge_u32 s22, s31
	s_cselect_b32 s23, s25, s23
	s_cselect_b32 s22, s26, s22
	s_add_i32 s25, s23, 1
	s_cmp_ge_u32 s22, s31
	s_cselect_b32 s22, s25, s23
	s_delay_alu instid0(SALU_CYCLE_1) | instskip(NEXT) | instid1(SALU_CYCLE_1)
	s_xor_b32 s22, s22, s24
	s_sub_i32 s24, s22, s24
	s_delay_alu instid0(SALU_CYCLE_1)
	s_add_i32 s22, s24, s18
	s_mul_i32 s24, s24, s3
	s_ashr_i32 s23, s22, 31
	s_sub_i32 s1, s1, s24
	s_lshl_b64 s[22:23], s[22:23], 2
	s_mul_i32 s24, s7, s1
	s_add_u32 s22, s8, s22
	s_addc_u32 s23, s9, s23
	s_load_b32 s18, s[22:23], 0x0
	s_mul_i32 s22, s17, s28
	s_mul_i32 s23, s16, s29
	s_delay_alu instid0(SALU_CYCLE_1)
	v_add3_u32 v3, s23, s22, v3
	s_ashr_i32 s22, s1, 31
	s_mul_hi_u32 s23, s6, s1
	s_mul_i32 s22, s6, s22
	s_mul_i32 s1, s6, s1
	s_add_i32 s22, s23, s22
	s_delay_alu instid0(SALU_CYCLE_1)
	s_add_i32 s22, s22, s24
	s_waitcnt lgkmcnt(0)
	s_ashr_i32 s23, s18, 31
	s_mul_hi_u32 s24, s4, s18
	s_mul_i32 s23, s4, s23
	s_mul_i32 s25, s5, s18
	s_add_i32 s23, s24, s23
	s_mul_i32 s18, s4, s18
	s_add_i32 s23, s23, s25
	s_add_u32 s1, s18, s1
	s_addc_u32 s18, s23, s22
	v_add_co_u32 v4, vcc_lo, v7, s1
	v_add_co_ci_u32_e32 v5, vcc_lo, s18, v8, vcc_lo
	s_mov_b32 s18, 0
	.p2align	6
.LBB45_12:                              ;   Parent Loop BB45_7 Depth=1
                                        ; =>  This Inner Loop Header: Depth=2
	global_load_b128 v[10:13], v[4:5], off
	v_add_nc_u32_e32 v9, 64, v9
	v_add_co_u32 v4, vcc_lo, 0x400, v4
	v_add_co_ci_u32_e32 v5, vcc_lo, 0, v5, vcc_lo
	s_delay_alu instid0(VALU_DEP_3) | instskip(SKIP_4) | instid1(VALU_DEP_1)
	v_cmp_lt_u32_e32 vcc_lo, 15, v9
	s_or_b32 s18, vcc_lo, s18
	s_waitcnt vmcnt(0)
	global_store_b128 v[2:3], v[10:13], off
	v_add_co_u32 v2, s1, 0x400, v2
	v_add_co_ci_u32_e64 v3, s1, 0, v3, s1
	s_and_not1_b32 exec_lo, exec_lo, s18
	s_cbranch_execnz .LBB45_12
	s_branch .LBB45_5
.LBB45_13:
	s_endpgm
	.section	.rodata,"a",@progbits
	.p2align	6, 0x0
	.amdhsa_kernel _ZN4vllm30gather_and_maybe_dequant_cacheIffLNS_18Fp8KVCacheDataTypeE0ELi320ELi64EEEvPKT0_PT_PKiS8_S8_iillllPKfS8_
		.amdhsa_group_segment_fixed_size 0
		.amdhsa_private_segment_fixed_size 64
		.amdhsa_kernarg_size 352
		.amdhsa_user_sgpr_count 15
		.amdhsa_user_sgpr_dispatch_ptr 0
		.amdhsa_user_sgpr_queue_ptr 0
		.amdhsa_user_sgpr_kernarg_segment_ptr 1
		.amdhsa_user_sgpr_dispatch_id 0
		.amdhsa_user_sgpr_private_segment_size 0
		.amdhsa_wavefront_size32 1
		.amdhsa_uses_dynamic_stack 0
		.amdhsa_enable_private_segment 1
		.amdhsa_system_sgpr_workgroup_id_x 1
		.amdhsa_system_sgpr_workgroup_id_y 0
		.amdhsa_system_sgpr_workgroup_id_z 0
		.amdhsa_system_sgpr_workgroup_info 0
		.amdhsa_system_vgpr_workitem_id 0
		.amdhsa_next_free_vgpr 53
		.amdhsa_next_free_sgpr 36
		.amdhsa_reserve_vcc 1
		.amdhsa_float_round_mode_32 0
		.amdhsa_float_round_mode_16_64 0
		.amdhsa_float_denorm_mode_32 3
		.amdhsa_float_denorm_mode_16_64 3
		.amdhsa_dx10_clamp 1
		.amdhsa_ieee_mode 1
		.amdhsa_fp16_overflow 0
		.amdhsa_workgroup_processor_mode 1
		.amdhsa_memory_ordered 1
		.amdhsa_forward_progress 0
		.amdhsa_shared_vgpr_count 0
		.amdhsa_exception_fp_ieee_invalid_op 0
		.amdhsa_exception_fp_denorm_src 0
		.amdhsa_exception_fp_ieee_div_zero 0
		.amdhsa_exception_fp_ieee_overflow 0
		.amdhsa_exception_fp_ieee_underflow 0
		.amdhsa_exception_fp_ieee_inexact 0
		.amdhsa_exception_int_div_zero 0
	.end_amdhsa_kernel
	.section	.text._ZN4vllm30gather_and_maybe_dequant_cacheIffLNS_18Fp8KVCacheDataTypeE0ELi320ELi64EEEvPKT0_PT_PKiS8_S8_iillllPKfS8_,"axG",@progbits,_ZN4vllm30gather_and_maybe_dequant_cacheIffLNS_18Fp8KVCacheDataTypeE0ELi320ELi64EEEvPKT0_PT_PKiS8_S8_iillllPKfS8_,comdat
.Lfunc_end45:
	.size	_ZN4vllm30gather_and_maybe_dequant_cacheIffLNS_18Fp8KVCacheDataTypeE0ELi320ELi64EEEvPKT0_PT_PKiS8_S8_iillllPKfS8_, .Lfunc_end45-_ZN4vllm30gather_and_maybe_dequant_cacheIffLNS_18Fp8KVCacheDataTypeE0ELi320ELi64EEEvPKT0_PT_PKiS8_S8_iillllPKfS8_
                                        ; -- End function
	.section	.AMDGPU.csdata,"",@progbits
; Kernel info:
; codeLenInByte = 912
; NumSgprs: 38
; NumVgprs: 53
; ScratchSize: 64
; MemoryBound: 0
; FloatMode: 240
; IeeeMode: 1
; LDSByteSize: 0 bytes/workgroup (compile time only)
; SGPRBlocks: 4
; VGPRBlocks: 6
; NumSGPRsForWavesPerEU: 38
; NumVGPRsForWavesPerEU: 53
; Occupancy: 16
; WaveLimiterHint : 1
; COMPUTE_PGM_RSRC2:SCRATCH_EN: 1
; COMPUTE_PGM_RSRC2:USER_SGPR: 15
; COMPUTE_PGM_RSRC2:TRAP_HANDLER: 0
; COMPUTE_PGM_RSRC2:TGID_X_EN: 1
; COMPUTE_PGM_RSRC2:TGID_Y_EN: 0
; COMPUTE_PGM_RSRC2:TGID_Z_EN: 0
; COMPUTE_PGM_RSRC2:TIDIG_COMP_CNT: 0
	.section	.text._ZN4vllm30gather_and_maybe_dequant_cacheIttLNS_18Fp8KVCacheDataTypeE0ELi320ELi64EEEvPKT0_PT_PKiS8_S8_iillllPKfS8_,"axG",@progbits,_ZN4vllm30gather_and_maybe_dequant_cacheIttLNS_18Fp8KVCacheDataTypeE0ELi320ELi64EEEvPKT0_PT_PKiS8_S8_iillllPKfS8_,comdat
	.protected	_ZN4vllm30gather_and_maybe_dequant_cacheIttLNS_18Fp8KVCacheDataTypeE0ELi320ELi64EEEvPKT0_PT_PKiS8_S8_iillllPKfS8_ ; -- Begin function _ZN4vllm30gather_and_maybe_dequant_cacheIttLNS_18Fp8KVCacheDataTypeE0ELi320ELi64EEEvPKT0_PT_PKiS8_S8_iillllPKfS8_
	.globl	_ZN4vllm30gather_and_maybe_dequant_cacheIttLNS_18Fp8KVCacheDataTypeE0ELi320ELi64EEEvPKT0_PT_PKiS8_S8_iillllPKfS8_
	.p2align	8
	.type	_ZN4vllm30gather_and_maybe_dequant_cacheIttLNS_18Fp8KVCacheDataTypeE0ELi320ELi64EEEvPKT0_PT_PKiS8_S8_iillllPKfS8_,@function
_ZN4vllm30gather_and_maybe_dequant_cacheIttLNS_18Fp8KVCacheDataTypeE0ELi320ELi64EEEvPKT0_PT_PKiS8_S8_iillllPKfS8_: ; @_ZN4vllm30gather_and_maybe_dequant_cacheIttLNS_18Fp8KVCacheDataTypeE0ELi320ELi64EEEvPKT0_PT_PKiS8_S8_iillllPKfS8_
; %bb.0:
	s_mov_b64 s[18:19], s[0:1]
	s_load_b32 s0, s[0:1], 0x6c
	v_mov_b32_e32 v41, v0
	s_add_u32 s26, s18, 0x60
	s_mov_b32 s20, s15
	s_addc_u32 s27, s19, 0
	s_mov_b32 s32, 0
	s_waitcnt lgkmcnt(0)
	v_cmp_eq_u16_e64 s0, s0, 64
	s_delay_alu instid0(VALU_DEP_1)
	s_and_b32 vcc_lo, exec_lo, s0
	s_mov_b32 s0, -1
	s_cbranch_vccnz .LBB46_2
; %bb.1:
	s_add_u32 s8, s18, 0x60
	s_addc_u32 s9, s19, 0
	s_getpc_b64 s[0:1]
	s_add_u32 s0, s0, .str.2@rel32@lo+4
	s_addc_u32 s1, s1, .str.2@rel32@hi+12
	s_getpc_b64 s[2:3]
	s_add_u32 s2, s2, .str.3@rel32@lo+4
	s_addc_u32 s3, s3, .str.3@rel32@hi+12
	s_getpc_b64 s[4:5]
	s_add_u32 s4, s4, __PRETTY_FUNCTION__._ZN4vllm30gather_and_maybe_dequant_cacheIttLNS_18Fp8KVCacheDataTypeE0ELi320ELi64EEEvPKT0_PT_PKiS8_S8_iillllPKfS8_@rel32@lo+4
	s_addc_u32 s5, s5, __PRETTY_FUNCTION__._ZN4vllm30gather_and_maybe_dequant_cacheIttLNS_18Fp8KVCacheDataTypeE0ELi320ELi64EEEvPKT0_PT_PKiS8_S8_iillllPKfS8_@rel32@hi+12
	v_dual_mov_b32 v0, s0 :: v_dual_mov_b32 v1, s1
	v_dual_mov_b32 v2, s2 :: v_dual_mov_b32 v3, s3
	;; [unrolled: 1-line block ×3, first 2 shown]
	v_mov_b32_e32 v6, s5
	s_getpc_b64 s[6:7]
	s_add_u32 s6, s6, __assert_fail@rel32@lo+4
	s_addc_u32 s7, s7, __assert_fail@rel32@hi+12
	s_delay_alu instid0(SALU_CYCLE_1)
	s_swappc_b64 s[30:31], s[6:7]
	; divergent unreachable
	s_mov_b32 s0, 0
.LBB46_2:
	s_delay_alu instid0(SALU_CYCLE_1)
	s_and_not1_b32 vcc_lo, exec_lo, s0
	s_cbranch_vccnz .LBB46_12
; %bb.3:
	s_load_b64 s[2:3], s[18:19], 0x28
	s_waitcnt lgkmcnt(0)
	s_cmp_ge_i32 s20, s2
	s_cbranch_scc1 .LBB46_12
; %bb.4:
	s_clause 0x2
	s_load_b64 s[22:23], s[18:19], 0x58
	s_load_b256 s[4:11], s[18:19], 0x0
	s_load_b64 s[24:25], s[18:19], 0x20
	s_load_b32 s31, s[26:27], 0x0
	s_load_b256 s[12:19], s[18:19], 0x30
	v_cmp_gt_u32_e64 s0, 40, v41
	v_lshlrev_b32_e32 v2, 4, v41
	v_lshlrev_b32_e32 v1, 4, v41
	s_waitcnt lgkmcnt(0)
	s_cmp_lg_u64 s[22:23], 0
	s_cselect_b32 s1, -1, 0
	s_abs_i32 s30, s3
	s_delay_alu instid0(SALU_CYCLE_1) | instskip(SKIP_1) | instid1(VALU_DEP_1)
	v_cvt_f32_u32_e32 v0, s30
	s_sub_i32 s13, 0, s30
	v_rcp_iflag_f32_e32 v0, v0
	s_waitcnt_depctr 0xfff
	v_mul_f32_e32 v0, 0x4f7ffffe, v0
	s_delay_alu instid0(VALU_DEP_1) | instskip(NEXT) | instid1(VALU_DEP_1)
	v_cvt_u32_f32_e32 v0, v0
	v_readfirstlane_b32 s21, v0
	v_add_co_u32 v0, s6, s6, v1
	s_delay_alu instid0(VALU_DEP_1) | instskip(NEXT) | instid1(VALU_DEP_3)
	v_add_co_ci_u32_e64 v1, null, s7, 0, s6
	s_mul_i32 s13, s13, s21
	s_delay_alu instid0(SALU_CYCLE_1)
	s_mul_hi_u32 s6, s21, s13
	s_ashr_i32 s13, s3, 31
	s_add_i32 s33, s21, s6
	s_branch .LBB46_7
.LBB46_5:                               ;   in Loop: Header=BB46_7 Depth=1
	s_or_b32 exec_lo, exec_lo, s7
	s_add_i32 s20, s20, s31
	s_delay_alu instid0(SALU_CYCLE_1)
	s_cmp_ge_i32 s20, s2
	s_cselect_b32 s7, -1, 0
.LBB46_6:                               ;   in Loop: Header=BB46_7 Depth=1
	s_delay_alu instid0(SALU_CYCLE_1)
	s_and_b32 vcc_lo, exec_lo, s7
	s_cbranch_vccnz .LBB46_12
.LBB46_7:                               ; =>This Inner Loop Header: Depth=1
	s_ashr_i32 s21, s20, 31
	s_delay_alu instid0(SALU_CYCLE_1) | instskip(NEXT) | instid1(SALU_CYCLE_1)
	s_lshl_b64 s[6:7], s[20:21], 2
	s_add_u32 s6, s24, s6
	s_addc_u32 s7, s25, s7
	s_load_b32 s6, s[6:7], 0x0
	s_waitcnt lgkmcnt(0)
	s_ashr_i32 s7, s6, 31
	s_delay_alu instid0(SALU_CYCLE_1)
	s_lshl_b64 s[28:29], s[6:7], 2
	s_mov_b32 s7, -1
	s_add_u32 s26, s10, s28
	s_addc_u32 s27, s11, s29
	s_load_b64 s[26:27], s[26:27], 0x0
	s_waitcnt lgkmcnt(0)
	s_cmp_ge_i32 s20, s27
	s_cbranch_scc1 .LBB46_6
; %bb.8:                                ;   in Loop: Header=BB46_7 Depth=1
	s_and_not1_b32 vcc_lo, exec_lo, s1
	s_cbranch_vccnz .LBB46_10
; %bb.9:                                ;   in Loop: Header=BB46_7 Depth=1
	s_add_u32 s28, s22, s28
	s_addc_u32 s29, s23, s29
	s_load_b32 s27, s[28:29], 0x0
	s_and_saveexec_b32 s7, s0
	s_cbranch_execz .LBB46_5
	s_branch .LBB46_11
.LBB46_10:                              ;   in Loop: Header=BB46_7 Depth=1
	s_mov_b32 s27, 0
	s_and_saveexec_b32 s7, s0
	s_cbranch_execz .LBB46_5
.LBB46_11:                              ;   in Loop: Header=BB46_7 Depth=1
	s_waitcnt lgkmcnt(0)
	s_sub_i32 s26, s27, s26
	s_mul_i32 s6, s6, s12
	s_add_i32 s28, s20, s26
	s_mul_i32 s21, s21, s18
	s_abs_i32 s26, s28
	s_ashr_i32 s29, s28, 31
	s_mul_hi_u32 s27, s26, s33
	s_xor_b32 s29, s29, s13
	s_mul_i32 s34, s27, s30
	s_delay_alu instid0(SALU_CYCLE_1)
	s_sub_i32 s26, s26, s34
	s_add_i32 s34, s27, 1
	s_sub_i32 s35, s26, s30
	s_cmp_ge_u32 s26, s30
	s_cselect_b32 s27, s34, s27
	s_cselect_b32 s26, s35, s26
	s_add_i32 s34, s27, 1
	s_cmp_ge_u32 s26, s30
	s_cselect_b32 s26, s34, s27
	s_delay_alu instid0(SALU_CYCLE_1) | instskip(NEXT) | instid1(SALU_CYCLE_1)
	s_xor_b32 s26, s26, s29
	s_sub_i32 s29, s26, s29
	s_delay_alu instid0(SALU_CYCLE_1) | instskip(SKIP_2) | instid1(SALU_CYCLE_1)
	s_add_i32 s26, s29, s6
	s_mul_i32 s29, s29, s3
	s_ashr_i32 s27, s26, 31
	s_lshl_b64 s[26:27], s[26:27], 2
	s_delay_alu instid0(SALU_CYCLE_1)
	s_add_u32 s26, s8, s26
	s_addc_u32 s27, s9, s27
	s_load_b32 s6, s[26:27], 0x0
	s_waitcnt lgkmcnt(0)
	s_mul_i32 s26, s6, s15
	s_mul_hi_u32 s27, s6, s14
	s_ashr_i32 s34, s6, 31
	s_add_i32 s27, s27, s26
	s_mul_i32 s34, s34, s14
	s_mul_i32 s26, s6, s14
	s_add_i32 s27, s27, s34
	s_delay_alu instid0(SALU_CYCLE_1) | instskip(NEXT) | instid1(SALU_CYCLE_1)
	s_lshl_b64 s[26:27], s[26:27], 1
	s_add_u32 s6, s4, s26
	s_addc_u32 s34, s5, s27
	s_sub_i32 s26, s28, s29
	s_delay_alu instid0(SALU_CYCLE_1)
	s_mul_i32 s27, s26, s17
	s_mul_hi_u32 s28, s26, s16
	s_ashr_i32 s29, s26, 31
	s_add_i32 s27, s28, s27
	s_mul_i32 s29, s29, s16
	s_mul_i32 s26, s26, s16
	s_add_i32 s27, s27, s29
	s_delay_alu instid0(SALU_CYCLE_1) | instskip(NEXT) | instid1(SALU_CYCLE_1)
	s_lshl_b64 s[26:27], s[26:27], 1
	s_add_u32 s26, s6, s26
	s_addc_u32 s27, s34, s27
	s_mul_i32 s6, s20, s19
	global_load_b128 v[3:6], v2, s[26:27]
	s_mul_hi_u32 s26, s20, s18
	s_delay_alu instid0(SALU_CYCLE_1) | instskip(SKIP_2) | instid1(SALU_CYCLE_1)
	s_add_i32 s6, s26, s6
	s_mul_i32 s26, s20, s18
	s_add_i32 s27, s6, s21
	s_lshl_b64 s[26:27], s[26:27], 1
	s_delay_alu instid0(SALU_CYCLE_1)
	v_add_co_u32 v7, vcc_lo, v0, s26
	v_add_co_ci_u32_e32 v8, vcc_lo, s27, v1, vcc_lo
	s_waitcnt vmcnt(0)
	global_store_b128 v[7:8], v[3:6], off
	s_branch .LBB46_5
.LBB46_12:
	s_endpgm
	.section	.rodata,"a",@progbits
	.p2align	6, 0x0
	.amdhsa_kernel _ZN4vllm30gather_and_maybe_dequant_cacheIttLNS_18Fp8KVCacheDataTypeE0ELi320ELi64EEEvPKT0_PT_PKiS8_S8_iillllPKfS8_
		.amdhsa_group_segment_fixed_size 0
		.amdhsa_private_segment_fixed_size 64
		.amdhsa_kernarg_size 352
		.amdhsa_user_sgpr_count 15
		.amdhsa_user_sgpr_dispatch_ptr 0
		.amdhsa_user_sgpr_queue_ptr 0
		.amdhsa_user_sgpr_kernarg_segment_ptr 1
		.amdhsa_user_sgpr_dispatch_id 0
		.amdhsa_user_sgpr_private_segment_size 0
		.amdhsa_wavefront_size32 1
		.amdhsa_uses_dynamic_stack 0
		.amdhsa_enable_private_segment 1
		.amdhsa_system_sgpr_workgroup_id_x 1
		.amdhsa_system_sgpr_workgroup_id_y 0
		.amdhsa_system_sgpr_workgroup_id_z 0
		.amdhsa_system_sgpr_workgroup_info 0
		.amdhsa_system_vgpr_workitem_id 0
		.amdhsa_next_free_vgpr 53
		.amdhsa_next_free_sgpr 36
		.amdhsa_reserve_vcc 1
		.amdhsa_float_round_mode_32 0
		.amdhsa_float_round_mode_16_64 0
		.amdhsa_float_denorm_mode_32 3
		.amdhsa_float_denorm_mode_16_64 3
		.amdhsa_dx10_clamp 1
		.amdhsa_ieee_mode 1
		.amdhsa_fp16_overflow 0
		.amdhsa_workgroup_processor_mode 1
		.amdhsa_memory_ordered 1
		.amdhsa_forward_progress 0
		.amdhsa_shared_vgpr_count 0
		.amdhsa_exception_fp_ieee_invalid_op 0
		.amdhsa_exception_fp_denorm_src 0
		.amdhsa_exception_fp_ieee_div_zero 0
		.amdhsa_exception_fp_ieee_overflow 0
		.amdhsa_exception_fp_ieee_underflow 0
		.amdhsa_exception_fp_ieee_inexact 0
		.amdhsa_exception_int_div_zero 0
	.end_amdhsa_kernel
	.section	.text._ZN4vllm30gather_and_maybe_dequant_cacheIttLNS_18Fp8KVCacheDataTypeE0ELi320ELi64EEEvPKT0_PT_PKiS8_S8_iillllPKfS8_,"axG",@progbits,_ZN4vllm30gather_and_maybe_dequant_cacheIttLNS_18Fp8KVCacheDataTypeE0ELi320ELi64EEEvPKT0_PT_PKiS8_S8_iillllPKfS8_,comdat
.Lfunc_end46:
	.size	_ZN4vllm30gather_and_maybe_dequant_cacheIttLNS_18Fp8KVCacheDataTypeE0ELi320ELi64EEEvPKT0_PT_PKiS8_S8_iillllPKfS8_, .Lfunc_end46-_ZN4vllm30gather_and_maybe_dequant_cacheIttLNS_18Fp8KVCacheDataTypeE0ELi320ELi64EEEvPKT0_PT_PKiS8_S8_iillllPKfS8_
                                        ; -- End function
	.section	.AMDGPU.csdata,"",@progbits
; Kernel info:
; codeLenInByte = 852
; NumSgprs: 38
; NumVgprs: 53
; ScratchSize: 64
; MemoryBound: 0
; FloatMode: 240
; IeeeMode: 1
; LDSByteSize: 0 bytes/workgroup (compile time only)
; SGPRBlocks: 4
; VGPRBlocks: 6
; NumSGPRsForWavesPerEU: 38
; NumVGPRsForWavesPerEU: 53
; Occupancy: 16
; WaveLimiterHint : 1
; COMPUTE_PGM_RSRC2:SCRATCH_EN: 1
; COMPUTE_PGM_RSRC2:USER_SGPR: 15
; COMPUTE_PGM_RSRC2:TRAP_HANDLER: 0
; COMPUTE_PGM_RSRC2:TGID_X_EN: 1
; COMPUTE_PGM_RSRC2:TGID_Y_EN: 0
; COMPUTE_PGM_RSRC2:TGID_Z_EN: 0
; COMPUTE_PGM_RSRC2:TIDIG_COMP_CNT: 0
	.section	.text._ZN4vllm30gather_and_maybe_dequant_cacheI14__hip_bfloat16S1_LNS_18Fp8KVCacheDataTypeE0ELi320ELi64EEEvPKT0_PT_PKiS9_S9_iillllPKfS9_,"axG",@progbits,_ZN4vllm30gather_and_maybe_dequant_cacheI14__hip_bfloat16S1_LNS_18Fp8KVCacheDataTypeE0ELi320ELi64EEEvPKT0_PT_PKiS9_S9_iillllPKfS9_,comdat
	.protected	_ZN4vllm30gather_and_maybe_dequant_cacheI14__hip_bfloat16S1_LNS_18Fp8KVCacheDataTypeE0ELi320ELi64EEEvPKT0_PT_PKiS9_S9_iillllPKfS9_ ; -- Begin function _ZN4vllm30gather_and_maybe_dequant_cacheI14__hip_bfloat16S1_LNS_18Fp8KVCacheDataTypeE0ELi320ELi64EEEvPKT0_PT_PKiS9_S9_iillllPKfS9_
	.globl	_ZN4vllm30gather_and_maybe_dequant_cacheI14__hip_bfloat16S1_LNS_18Fp8KVCacheDataTypeE0ELi320ELi64EEEvPKT0_PT_PKiS9_S9_iillllPKfS9_
	.p2align	8
	.type	_ZN4vllm30gather_and_maybe_dequant_cacheI14__hip_bfloat16S1_LNS_18Fp8KVCacheDataTypeE0ELi320ELi64EEEvPKT0_PT_PKiS9_S9_iillllPKfS9_,@function
_ZN4vllm30gather_and_maybe_dequant_cacheI14__hip_bfloat16S1_LNS_18Fp8KVCacheDataTypeE0ELi320ELi64EEEvPKT0_PT_PKiS9_S9_iillllPKfS9_: ; @_ZN4vllm30gather_and_maybe_dequant_cacheI14__hip_bfloat16S1_LNS_18Fp8KVCacheDataTypeE0ELi320ELi64EEEvPKT0_PT_PKiS9_S9_iillllPKfS9_
; %bb.0:
	s_mov_b64 s[18:19], s[0:1]
	s_load_b32 s0, s[0:1], 0x6c
	v_mov_b32_e32 v41, v0
	s_add_u32 s26, s18, 0x60
	s_mov_b32 s20, s15
	s_addc_u32 s27, s19, 0
	s_mov_b32 s32, 0
	s_waitcnt lgkmcnt(0)
	v_cmp_eq_u16_e64 s0, s0, 64
	s_delay_alu instid0(VALU_DEP_1)
	s_and_b32 vcc_lo, exec_lo, s0
	s_mov_b32 s0, -1
	s_cbranch_vccnz .LBB47_2
; %bb.1:
	s_add_u32 s8, s18, 0x60
	s_addc_u32 s9, s19, 0
	s_getpc_b64 s[0:1]
	s_add_u32 s0, s0, .str.2@rel32@lo+4
	s_addc_u32 s1, s1, .str.2@rel32@hi+12
	s_getpc_b64 s[2:3]
	s_add_u32 s2, s2, .str.3@rel32@lo+4
	s_addc_u32 s3, s3, .str.3@rel32@hi+12
	s_getpc_b64 s[4:5]
	s_add_u32 s4, s4, __PRETTY_FUNCTION__._ZN4vllm30gather_and_maybe_dequant_cacheI14__hip_bfloat16S1_LNS_18Fp8KVCacheDataTypeE0ELi320ELi64EEEvPKT0_PT_PKiS9_S9_iillllPKfS9_@rel32@lo+4
	s_addc_u32 s5, s5, __PRETTY_FUNCTION__._ZN4vllm30gather_and_maybe_dequant_cacheI14__hip_bfloat16S1_LNS_18Fp8KVCacheDataTypeE0ELi320ELi64EEEvPKT0_PT_PKiS9_S9_iillllPKfS9_@rel32@hi+12
	v_dual_mov_b32 v0, s0 :: v_dual_mov_b32 v1, s1
	v_dual_mov_b32 v2, s2 :: v_dual_mov_b32 v3, s3
	;; [unrolled: 1-line block ×3, first 2 shown]
	v_mov_b32_e32 v6, s5
	s_getpc_b64 s[6:7]
	s_add_u32 s6, s6, __assert_fail@rel32@lo+4
	s_addc_u32 s7, s7, __assert_fail@rel32@hi+12
	s_delay_alu instid0(SALU_CYCLE_1)
	s_swappc_b64 s[30:31], s[6:7]
	; divergent unreachable
	s_mov_b32 s0, 0
.LBB47_2:
	s_delay_alu instid0(SALU_CYCLE_1)
	s_and_not1_b32 vcc_lo, exec_lo, s0
	s_cbranch_vccnz .LBB47_12
; %bb.3:
	s_load_b64 s[2:3], s[18:19], 0x28
	s_waitcnt lgkmcnt(0)
	s_cmp_ge_i32 s20, s2
	s_cbranch_scc1 .LBB47_12
; %bb.4:
	s_clause 0x2
	s_load_b64 s[22:23], s[18:19], 0x58
	s_load_b256 s[4:11], s[18:19], 0x0
	s_load_b64 s[24:25], s[18:19], 0x20
	s_load_b32 s31, s[26:27], 0x0
	s_load_b256 s[12:19], s[18:19], 0x30
	v_cmp_gt_u32_e64 s0, 40, v41
	v_lshlrev_b32_e32 v2, 4, v41
	v_lshlrev_b32_e32 v1, 4, v41
	s_waitcnt lgkmcnt(0)
	s_cmp_lg_u64 s[22:23], 0
	s_cselect_b32 s1, -1, 0
	s_abs_i32 s30, s3
	s_delay_alu instid0(SALU_CYCLE_1) | instskip(SKIP_1) | instid1(VALU_DEP_1)
	v_cvt_f32_u32_e32 v0, s30
	s_sub_i32 s13, 0, s30
	v_rcp_iflag_f32_e32 v0, v0
	s_waitcnt_depctr 0xfff
	v_mul_f32_e32 v0, 0x4f7ffffe, v0
	s_delay_alu instid0(VALU_DEP_1) | instskip(NEXT) | instid1(VALU_DEP_1)
	v_cvt_u32_f32_e32 v0, v0
	v_readfirstlane_b32 s21, v0
	v_add_co_u32 v0, s6, s6, v1
	s_delay_alu instid0(VALU_DEP_1) | instskip(NEXT) | instid1(VALU_DEP_3)
	v_add_co_ci_u32_e64 v1, null, s7, 0, s6
	s_mul_i32 s13, s13, s21
	s_delay_alu instid0(SALU_CYCLE_1)
	s_mul_hi_u32 s6, s21, s13
	s_ashr_i32 s13, s3, 31
	s_add_i32 s33, s21, s6
	s_branch .LBB47_7
.LBB47_5:                               ;   in Loop: Header=BB47_7 Depth=1
	s_or_b32 exec_lo, exec_lo, s7
	s_add_i32 s20, s20, s31
	s_delay_alu instid0(SALU_CYCLE_1)
	s_cmp_ge_i32 s20, s2
	s_cselect_b32 s7, -1, 0
.LBB47_6:                               ;   in Loop: Header=BB47_7 Depth=1
	s_delay_alu instid0(SALU_CYCLE_1)
	s_and_b32 vcc_lo, exec_lo, s7
	s_cbranch_vccnz .LBB47_12
.LBB47_7:                               ; =>This Inner Loop Header: Depth=1
	s_ashr_i32 s21, s20, 31
	s_delay_alu instid0(SALU_CYCLE_1) | instskip(NEXT) | instid1(SALU_CYCLE_1)
	s_lshl_b64 s[6:7], s[20:21], 2
	s_add_u32 s6, s24, s6
	s_addc_u32 s7, s25, s7
	s_load_b32 s6, s[6:7], 0x0
	s_waitcnt lgkmcnt(0)
	s_ashr_i32 s7, s6, 31
	s_delay_alu instid0(SALU_CYCLE_1)
	s_lshl_b64 s[28:29], s[6:7], 2
	s_mov_b32 s7, -1
	s_add_u32 s26, s10, s28
	s_addc_u32 s27, s11, s29
	s_load_b64 s[26:27], s[26:27], 0x0
	s_waitcnt lgkmcnt(0)
	s_cmp_ge_i32 s20, s27
	s_cbranch_scc1 .LBB47_6
; %bb.8:                                ;   in Loop: Header=BB47_7 Depth=1
	s_and_not1_b32 vcc_lo, exec_lo, s1
	s_cbranch_vccnz .LBB47_10
; %bb.9:                                ;   in Loop: Header=BB47_7 Depth=1
	s_add_u32 s28, s22, s28
	s_addc_u32 s29, s23, s29
	s_load_b32 s27, s[28:29], 0x0
	s_and_saveexec_b32 s7, s0
	s_cbranch_execz .LBB47_5
	s_branch .LBB47_11
.LBB47_10:                              ;   in Loop: Header=BB47_7 Depth=1
	s_mov_b32 s27, 0
	s_and_saveexec_b32 s7, s0
	s_cbranch_execz .LBB47_5
.LBB47_11:                              ;   in Loop: Header=BB47_7 Depth=1
	s_waitcnt lgkmcnt(0)
	s_sub_i32 s26, s27, s26
	s_mul_i32 s6, s6, s12
	s_add_i32 s28, s20, s26
	s_mul_i32 s21, s21, s18
	s_abs_i32 s26, s28
	s_ashr_i32 s29, s28, 31
	s_mul_hi_u32 s27, s26, s33
	s_xor_b32 s29, s29, s13
	s_mul_i32 s34, s27, s30
	s_delay_alu instid0(SALU_CYCLE_1)
	s_sub_i32 s26, s26, s34
	s_add_i32 s34, s27, 1
	s_sub_i32 s35, s26, s30
	s_cmp_ge_u32 s26, s30
	s_cselect_b32 s27, s34, s27
	s_cselect_b32 s26, s35, s26
	s_add_i32 s34, s27, 1
	s_cmp_ge_u32 s26, s30
	s_cselect_b32 s26, s34, s27
	s_delay_alu instid0(SALU_CYCLE_1) | instskip(NEXT) | instid1(SALU_CYCLE_1)
	s_xor_b32 s26, s26, s29
	s_sub_i32 s29, s26, s29
	s_delay_alu instid0(SALU_CYCLE_1) | instskip(SKIP_2) | instid1(SALU_CYCLE_1)
	s_add_i32 s26, s29, s6
	s_mul_i32 s29, s29, s3
	s_ashr_i32 s27, s26, 31
	s_lshl_b64 s[26:27], s[26:27], 2
	s_delay_alu instid0(SALU_CYCLE_1)
	s_add_u32 s26, s8, s26
	s_addc_u32 s27, s9, s27
	s_load_b32 s6, s[26:27], 0x0
	s_waitcnt lgkmcnt(0)
	s_mul_i32 s26, s6, s15
	s_mul_hi_u32 s27, s6, s14
	s_ashr_i32 s34, s6, 31
	s_add_i32 s27, s27, s26
	s_mul_i32 s34, s34, s14
	s_mul_i32 s26, s6, s14
	s_add_i32 s27, s27, s34
	s_delay_alu instid0(SALU_CYCLE_1) | instskip(NEXT) | instid1(SALU_CYCLE_1)
	s_lshl_b64 s[26:27], s[26:27], 1
	s_add_u32 s6, s4, s26
	s_addc_u32 s34, s5, s27
	s_sub_i32 s26, s28, s29
	s_delay_alu instid0(SALU_CYCLE_1)
	s_mul_i32 s27, s26, s17
	s_mul_hi_u32 s28, s26, s16
	s_ashr_i32 s29, s26, 31
	s_add_i32 s27, s28, s27
	s_mul_i32 s29, s29, s16
	s_mul_i32 s26, s26, s16
	s_add_i32 s27, s27, s29
	s_delay_alu instid0(SALU_CYCLE_1) | instskip(NEXT) | instid1(SALU_CYCLE_1)
	s_lshl_b64 s[26:27], s[26:27], 1
	s_add_u32 s26, s6, s26
	s_addc_u32 s27, s34, s27
	s_mul_i32 s6, s20, s19
	global_load_b128 v[3:6], v2, s[26:27]
	s_mul_hi_u32 s26, s20, s18
	s_delay_alu instid0(SALU_CYCLE_1) | instskip(SKIP_2) | instid1(SALU_CYCLE_1)
	s_add_i32 s6, s26, s6
	s_mul_i32 s26, s20, s18
	s_add_i32 s27, s6, s21
	s_lshl_b64 s[26:27], s[26:27], 1
	s_delay_alu instid0(SALU_CYCLE_1)
	v_add_co_u32 v7, vcc_lo, v0, s26
	v_add_co_ci_u32_e32 v8, vcc_lo, s27, v1, vcc_lo
	s_waitcnt vmcnt(0)
	global_store_b128 v[7:8], v[3:6], off
	s_branch .LBB47_5
.LBB47_12:
	s_endpgm
	.section	.rodata,"a",@progbits
	.p2align	6, 0x0
	.amdhsa_kernel _ZN4vllm30gather_and_maybe_dequant_cacheI14__hip_bfloat16S1_LNS_18Fp8KVCacheDataTypeE0ELi320ELi64EEEvPKT0_PT_PKiS9_S9_iillllPKfS9_
		.amdhsa_group_segment_fixed_size 0
		.amdhsa_private_segment_fixed_size 64
		.amdhsa_kernarg_size 352
		.amdhsa_user_sgpr_count 15
		.amdhsa_user_sgpr_dispatch_ptr 0
		.amdhsa_user_sgpr_queue_ptr 0
		.amdhsa_user_sgpr_kernarg_segment_ptr 1
		.amdhsa_user_sgpr_dispatch_id 0
		.amdhsa_user_sgpr_private_segment_size 0
		.amdhsa_wavefront_size32 1
		.amdhsa_uses_dynamic_stack 0
		.amdhsa_enable_private_segment 1
		.amdhsa_system_sgpr_workgroup_id_x 1
		.amdhsa_system_sgpr_workgroup_id_y 0
		.amdhsa_system_sgpr_workgroup_id_z 0
		.amdhsa_system_sgpr_workgroup_info 0
		.amdhsa_system_vgpr_workitem_id 0
		.amdhsa_next_free_vgpr 53
		.amdhsa_next_free_sgpr 36
		.amdhsa_reserve_vcc 1
		.amdhsa_float_round_mode_32 0
		.amdhsa_float_round_mode_16_64 0
		.amdhsa_float_denorm_mode_32 3
		.amdhsa_float_denorm_mode_16_64 3
		.amdhsa_dx10_clamp 1
		.amdhsa_ieee_mode 1
		.amdhsa_fp16_overflow 0
		.amdhsa_workgroup_processor_mode 1
		.amdhsa_memory_ordered 1
		.amdhsa_forward_progress 0
		.amdhsa_shared_vgpr_count 0
		.amdhsa_exception_fp_ieee_invalid_op 0
		.amdhsa_exception_fp_denorm_src 0
		.amdhsa_exception_fp_ieee_div_zero 0
		.amdhsa_exception_fp_ieee_overflow 0
		.amdhsa_exception_fp_ieee_underflow 0
		.amdhsa_exception_fp_ieee_inexact 0
		.amdhsa_exception_int_div_zero 0
	.end_amdhsa_kernel
	.section	.text._ZN4vllm30gather_and_maybe_dequant_cacheI14__hip_bfloat16S1_LNS_18Fp8KVCacheDataTypeE0ELi320ELi64EEEvPKT0_PT_PKiS9_S9_iillllPKfS9_,"axG",@progbits,_ZN4vllm30gather_and_maybe_dequant_cacheI14__hip_bfloat16S1_LNS_18Fp8KVCacheDataTypeE0ELi320ELi64EEEvPKT0_PT_PKiS9_S9_iillllPKfS9_,comdat
.Lfunc_end47:
	.size	_ZN4vllm30gather_and_maybe_dequant_cacheI14__hip_bfloat16S1_LNS_18Fp8KVCacheDataTypeE0ELi320ELi64EEEvPKT0_PT_PKiS9_S9_iillllPKfS9_, .Lfunc_end47-_ZN4vllm30gather_and_maybe_dequant_cacheI14__hip_bfloat16S1_LNS_18Fp8KVCacheDataTypeE0ELi320ELi64EEEvPKT0_PT_PKiS9_S9_iillllPKfS9_
                                        ; -- End function
	.section	.AMDGPU.csdata,"",@progbits
; Kernel info:
; codeLenInByte = 852
; NumSgprs: 38
; NumVgprs: 53
; ScratchSize: 64
; MemoryBound: 0
; FloatMode: 240
; IeeeMode: 1
; LDSByteSize: 0 bytes/workgroup (compile time only)
; SGPRBlocks: 4
; VGPRBlocks: 6
; NumSGPRsForWavesPerEU: 38
; NumVGPRsForWavesPerEU: 53
; Occupancy: 16
; WaveLimiterHint : 1
; COMPUTE_PGM_RSRC2:SCRATCH_EN: 1
; COMPUTE_PGM_RSRC2:USER_SGPR: 15
; COMPUTE_PGM_RSRC2:TRAP_HANDLER: 0
; COMPUTE_PGM_RSRC2:TGID_X_EN: 1
; COMPUTE_PGM_RSRC2:TGID_Y_EN: 0
; COMPUTE_PGM_RSRC2:TGID_Z_EN: 0
; COMPUTE_PGM_RSRC2:TIDIG_COMP_CNT: 0
	.section	.text._ZN4vllm30gather_and_maybe_dequant_cacheIfhLNS_18Fp8KVCacheDataTypeE1ELi320ELi64EEEvPKT0_PT_PKiS8_S8_iillllPKfS8_,"axG",@progbits,_ZN4vllm30gather_and_maybe_dequant_cacheIfhLNS_18Fp8KVCacheDataTypeE1ELi320ELi64EEEvPKT0_PT_PKiS8_S8_iillllPKfS8_,comdat
	.protected	_ZN4vllm30gather_and_maybe_dequant_cacheIfhLNS_18Fp8KVCacheDataTypeE1ELi320ELi64EEEvPKT0_PT_PKiS8_S8_iillllPKfS8_ ; -- Begin function _ZN4vllm30gather_and_maybe_dequant_cacheIfhLNS_18Fp8KVCacheDataTypeE1ELi320ELi64EEEvPKT0_PT_PKiS8_S8_iillllPKfS8_
	.globl	_ZN4vllm30gather_and_maybe_dequant_cacheIfhLNS_18Fp8KVCacheDataTypeE1ELi320ELi64EEEvPKT0_PT_PKiS8_S8_iillllPKfS8_
	.p2align	8
	.type	_ZN4vllm30gather_and_maybe_dequant_cacheIfhLNS_18Fp8KVCacheDataTypeE1ELi320ELi64EEEvPKT0_PT_PKiS8_S8_iillllPKfS8_,@function
_ZN4vllm30gather_and_maybe_dequant_cacheIfhLNS_18Fp8KVCacheDataTypeE1ELi320ELi64EEEvPKT0_PT_PKiS8_S8_iillllPKfS8_: ; @_ZN4vllm30gather_and_maybe_dequant_cacheIfhLNS_18Fp8KVCacheDataTypeE1ELi320ELi64EEEvPKT0_PT_PKiS8_S8_iillllPKfS8_
; %bb.0:
	s_mov_b64 s[18:19], s[0:1]
	s_load_b32 s0, s[0:1], 0x6c
	v_mov_b32_e32 v41, v0
	s_add_u32 s28, s18, 0x60
	s_mov_b32 s24, s15
	s_addc_u32 s29, s19, 0
	s_mov_b32 s32, 0
	s_waitcnt lgkmcnt(0)
	v_cmp_eq_u16_e64 s0, s0, 64
	s_delay_alu instid0(VALU_DEP_1)
	s_and_b32 vcc_lo, exec_lo, s0
	s_mov_b32 s0, -1
	s_cbranch_vccnz .LBB48_2
; %bb.1:
	s_add_u32 s8, s18, 0x60
	s_addc_u32 s9, s19, 0
	s_getpc_b64 s[0:1]
	s_add_u32 s0, s0, .str.2@rel32@lo+4
	s_addc_u32 s1, s1, .str.2@rel32@hi+12
	s_getpc_b64 s[2:3]
	s_add_u32 s2, s2, .str.3@rel32@lo+4
	s_addc_u32 s3, s3, .str.3@rel32@hi+12
	s_getpc_b64 s[4:5]
	s_add_u32 s4, s4, __PRETTY_FUNCTION__._ZN4vllm30gather_and_maybe_dequant_cacheIfhLNS_18Fp8KVCacheDataTypeE1ELi320ELi64EEEvPKT0_PT_PKiS8_S8_iillllPKfS8_@rel32@lo+4
	s_addc_u32 s5, s5, __PRETTY_FUNCTION__._ZN4vllm30gather_and_maybe_dequant_cacheIfhLNS_18Fp8KVCacheDataTypeE1ELi320ELi64EEEvPKT0_PT_PKiS8_S8_iillllPKfS8_@rel32@hi+12
	v_dual_mov_b32 v0, s0 :: v_dual_mov_b32 v1, s1
	v_dual_mov_b32 v2, s2 :: v_dual_mov_b32 v3, s3
	;; [unrolled: 1-line block ×3, first 2 shown]
	v_mov_b32_e32 v6, s5
	s_getpc_b64 s[6:7]
	s_add_u32 s6, s6, __assert_fail@rel32@lo+4
	s_addc_u32 s7, s7, __assert_fail@rel32@hi+12
	s_delay_alu instid0(SALU_CYCLE_1)
	s_swappc_b64 s[30:31], s[6:7]
	; divergent unreachable
	s_mov_b32 s0, 0
.LBB48_2:
	s_delay_alu instid0(SALU_CYCLE_1)
	s_and_not1_b32 vcc_lo, exec_lo, s0
	s_cbranch_vccnz .LBB48_45
; %bb.3:
	s_load_b64 s[2:3], s[18:19], 0x28
	s_waitcnt lgkmcnt(0)
	s_cmp_ge_i32 s24, s2
	s_cbranch_scc1 .LBB48_45
; %bb.4:
	s_clause 0x2
	s_load_b128 s[20:23], s[18:19], 0x50
	s_load_b256 s[4:11], s[18:19], 0x0
	s_load_b64 s[26:27], s[18:19], 0x20
	s_load_b32 s33, s[28:29], 0x0
	s_load_b256 s[12:19], s[18:19], 0x30
	v_dual_mov_b32 v1, 0 :: v_dual_lshlrev_b32 v2, 2, v41
	v_cmp_gt_u32_e64 s0, 0x50, v41
	v_subrev_nc_u32_e32 v8, 64, v41
	v_lshlrev_b32_e32 v3, 4, v41
	s_waitcnt lgkmcnt(0)
	s_cmp_lg_u64 s[22:23], 0
	v_add_co_u32 v9, s1, s4, v2
	s_cselect_b32 s30, -1, 0
	s_abs_i32 s31, s3
	v_add_co_ci_u32_e64 v10, null, s5, 0, s1
	v_cvt_f32_u32_e32 v0, s31
	s_ashr_i32 s13, s3, 31
	s_delay_alu instid0(VALU_DEP_1) | instskip(SKIP_2) | instid1(VALU_DEP_1)
	v_rcp_iflag_f32_e32 v0, v0
	s_waitcnt_depctr 0xfff
	v_mul_f32_e32 v0, 0x4f7ffffe, v0
	v_cvt_u32_f32_e32 v0, v0
	s_delay_alu instid0(VALU_DEP_1) | instskip(SKIP_1) | instid1(VALU_DEP_1)
	v_readfirstlane_b32 s1, v0
	v_add_co_u32 v0, s4, v3, s6
	v_add_co_ci_u32_e64 v3, null, 0, s7, s4
	s_sub_i32 s4, 0, s31
	s_delay_alu instid0(VALU_DEP_2) | instskip(SKIP_1) | instid1(VALU_DEP_2)
	v_add_co_u32 v2, vcc_lo, v0, 8
	s_mul_i32 s4, s4, s1
	v_add_co_ci_u32_e32 v3, vcc_lo, 0, v3, vcc_lo
	s_mul_hi_u32 s4, s1, s4
	s_delay_alu instid0(SALU_CYCLE_1)
	s_add_i32 s34, s1, s4
	s_lshl_b64 s[4:5], s[18:19], 2
	s_branch .LBB48_7
.LBB48_5:                               ;   in Loop: Header=BB48_7 Depth=1
	s_or_b32 exec_lo, exec_lo, s7
	s_add_i32 s24, s24, s33
	s_delay_alu instid0(SALU_CYCLE_1)
	s_cmp_ge_i32 s24, s2
	s_waitcnt lgkmcnt(0)
	s_cselect_b32 s1, -1, 0
.LBB48_6:                               ;   in Loop: Header=BB48_7 Depth=1
	s_delay_alu instid0(SALU_CYCLE_1)
	s_and_b32 vcc_lo, exec_lo, s1
	s_cbranch_vccnz .LBB48_45
.LBB48_7:                               ; =>This Loop Header: Depth=1
                                        ;     Child Loop BB48_16 Depth 2
	s_ashr_i32 s25, s24, 31
	s_mov_b32 s1, -1
	s_lshl_b64 s[6:7], s[24:25], 2
	s_delay_alu instid0(SALU_CYCLE_1) | instskip(SKIP_4) | instid1(SALU_CYCLE_1)
	s_add_u32 s6, s26, s6
	s_addc_u32 s7, s27, s7
	s_load_b32 s6, s[6:7], 0x0
	s_waitcnt lgkmcnt(0)
	s_ashr_i32 s7, s6, 31
	s_lshl_b64 s[28:29], s[6:7], 2
	s_delay_alu instid0(SALU_CYCLE_1)
	s_add_u32 s18, s10, s28
	s_addc_u32 s19, s11, s29
	s_load_b64 s[18:19], s[18:19], 0x0
	s_waitcnt lgkmcnt(0)
	s_cmp_ge_i32 s24, s19
	s_cbranch_scc1 .LBB48_6
; %bb.8:                                ;   in Loop: Header=BB48_7 Depth=1
	s_and_not1_b32 vcc_lo, exec_lo, s30
	s_cbranch_vccnz .LBB48_10
; %bb.9:                                ;   in Loop: Header=BB48_7 Depth=1
	s_add_u32 s28, s22, s28
	s_addc_u32 s29, s23, s29
	s_load_b32 s1, s[28:29], 0x0
	s_and_saveexec_b32 s7, s0
	s_cbranch_execz .LBB48_5
	s_branch .LBB48_11
.LBB48_10:                              ;   in Loop: Header=BB48_7 Depth=1
	s_mov_b32 s1, 0
	s_and_saveexec_b32 s7, s0
	s_cbranch_execz .LBB48_5
.LBB48_11:                              ;   in Loop: Header=BB48_7 Depth=1
	s_sub_i32 s18, s24, s18
	s_mul_i32 s6, s6, s12
	s_waitcnt lgkmcnt(0)
	s_add_i32 s1, s1, s18
	v_mad_u64_u32 v[4:5], null, s4, s24, v[2:3]
	s_abs_i32 s18, s1
	s_ashr_i32 s28, s1, 31
	s_mul_hi_u32 s19, s18, s34
	s_xor_b32 s28, s28, s13
	s_mul_i32 s29, s19, s31
	s_mul_i32 s25, s4, s25
	s_sub_i32 s18, s18, s29
	s_add_i32 s29, s19, 1
	s_sub_i32 s35, s18, s31
	s_cmp_ge_u32 s18, s31
	v_mov_b32_e32 v11, v8
	s_cselect_b32 s19, s29, s19
	s_cselect_b32 s18, s35, s18
	s_add_i32 s29, s19, 1
	s_cmp_ge_u32 s18, s31
	s_cselect_b32 s18, s29, s19
	s_delay_alu instid0(SALU_CYCLE_1) | instskip(NEXT) | instid1(SALU_CYCLE_1)
	s_xor_b32 s18, s18, s28
	s_sub_i32 s28, s18, s28
	s_delay_alu instid0(SALU_CYCLE_1)
	s_add_i32 s18, s28, s6
	s_mul_i32 s28, s28, s3
	s_ashr_i32 s19, s18, 31
	s_sub_i32 s1, s1, s28
	s_lshl_b64 s[18:19], s[18:19], 2
	s_load_b32 s6, s[20:21], 0x0
	s_add_u32 s18, s8, s18
	s_addc_u32 s19, s9, s19
	s_ashr_i32 s28, s1, 31
	s_load_b32 s18, s[18:19], 0x0
	s_mul_i32 s19, s5, s24
	s_mul_i32 s28, s28, s16
	v_add3_u32 v5, s25, s19, v5
	s_mul_i32 s19, s1, s17
	s_mul_hi_u32 s25, s1, s16
	s_mul_i32 s1, s1, s16
	s_add_i32 s19, s25, s19
	s_delay_alu instid0(SALU_CYCLE_1)
	s_add_i32 s19, s19, s28
	s_waitcnt lgkmcnt(0)
	s_mul_i32 s25, s18, s15
	s_mul_hi_u32 s28, s18, s14
	s_ashr_i32 s29, s18, 31
	s_add_i32 s25, s28, s25
	s_mul_i32 s29, s29, s14
	s_mul_i32 s18, s18, s14
	s_add_i32 s25, s25, s29
	s_add_u32 s1, s18, s1
	s_addc_u32 s18, s25, s19
	v_add_co_u32 v6, vcc_lo, v9, s1
	v_add_co_ci_u32_e32 v7, vcc_lo, s18, v10, vcc_lo
	s_mov_b32 s18, 0
	s_branch .LBB48_16
.LBB48_12:                              ;   in Loop: Header=BB48_16 Depth=2
	s_or_b32 exec_lo, exec_lo, s28
	v_lshlrev_b32_e32 v15, 24, v17
	s_delay_alu instid0(VALU_DEP_2) | instskip(SKIP_1) | instid1(VALU_DEP_3)
	v_lshlrev_b32_e32 v0, 20, v0
	v_lshl_add_u32 v14, v14, 23, 0x3c000000
	v_and_b32_e32 v15, 0x80000000, v15
	s_delay_alu instid0(VALU_DEP_1)
	v_or3_b32 v15, v0, v15, v14
.LBB48_13:                              ;   in Loop: Header=BB48_16 Depth=2
	s_or_b32 exec_lo, exec_lo, s25
.LBB48_14:                              ;   in Loop: Header=BB48_16 Depth=2
	s_delay_alu instid0(SALU_CYCLE_1)
	s_or_b32 exec_lo, exec_lo, s19
.LBB48_15:                              ;   in Loop: Header=BB48_16 Depth=2
	s_delay_alu instid0(SALU_CYCLE_1) | instskip(NEXT) | instid1(VALU_DEP_1)
	s_or_b32 exec_lo, exec_lo, s1
	v_dual_mul_f32 v18, s6, v16 :: v_dual_mul_f32 v19, s6, v15
	v_dual_mul_f32 v17, s6, v12 :: v_dual_mul_f32 v16, s6, v13
	v_add_nc_u32_e32 v11, 64, v11
	v_add_co_u32 v6, vcc_lo, 0x100, v6
	v_add_co_ci_u32_e32 v7, vcc_lo, 0, v7, vcc_lo
	global_store_b128 v[4:5], v[16:19], off offset:-8
	v_cmp_lt_u32_e32 vcc_lo, 15, v11
	v_add_co_u32 v4, s1, 0x400, v4
	s_delay_alu instid0(VALU_DEP_1) | instskip(SKIP_1) | instid1(SALU_CYCLE_1)
	v_add_co_ci_u32_e64 v5, s1, 0, v5, s1
	s_or_b32 s18, vcc_lo, s18
	s_and_not1_b32 exec_lo, exec_lo, s18
	s_cbranch_execz .LBB48_5
.LBB48_16:                              ;   Parent Loop BB48_7 Depth=1
                                        ; =>  This Inner Loop Header: Depth=2
	global_load_b32 v14, v[6:7], off
	v_mov_b32_e32 v12, 0
	s_mov_b32 s1, exec_lo
	s_waitcnt vmcnt(0)
	v_dual_mov_b32 v13, 0 :: v_dual_and_b32 v0, 0xff, v14
	s_delay_alu instid0(VALU_DEP_1)
	v_cmpx_ne_u16_e32 0, v0
	s_cbranch_execz .LBB48_24
; %bb.17:                               ;   in Loop: Header=BB48_16 Depth=2
	v_bfrev_b32_e32 v13, 1
	s_mov_b32 s19, exec_lo
	v_cmpx_ne_u16_e32 0x80, v0
	s_cbranch_execz .LBB48_23
; %bb.18:                               ;   in Loop: Header=BB48_16 Depth=2
	v_and_b32_e32 v15, 0x7f, v14
	v_mov_b32_e32 v13, 0x7f800001
	s_mov_b32 s25, exec_lo
	s_delay_alu instid0(VALU_DEP_2)
	v_cmpx_ne_u32_e32 0x7f, v15
	s_cbranch_execz .LBB48_22
; %bb.19:                               ;   in Loop: Header=BB48_16 Depth=2
	v_and_b32_e32 v0, 7, v14
	v_lshrrev_b32_e32 v13, 3, v15
	s_mov_b32 s28, exec_lo
	v_cmpx_gt_u32_e32 8, v15
; %bb.20:                               ;   in Loop: Header=BB48_16 Depth=2
	s_delay_alu instid0(VALU_DEP_3) | instskip(NEXT) | instid1(VALU_DEP_1)
	v_clz_i32_u32_e32 v13, v0
	v_min_u32_e32 v13, 32, v13
	s_delay_alu instid0(VALU_DEP_1) | instskip(SKIP_1) | instid1(VALU_DEP_2)
	v_subrev_nc_u32_e32 v15, 28, v13
	v_sub_nc_u32_e32 v13, 29, v13
	v_lshlrev_b64 v[15:16], v15, v[0:1]
	s_delay_alu instid0(VALU_DEP_1)
	v_and_b32_e32 v0, 7, v15
; %bb.21:                               ;   in Loop: Header=BB48_16 Depth=2
	s_or_b32 exec_lo, exec_lo, s28
	v_lshlrev_b32_e32 v15, 24, v14
	s_delay_alu instid0(VALU_DEP_2) | instskip(SKIP_1) | instid1(VALU_DEP_3)
	v_lshlrev_b32_e32 v0, 20, v0
	v_lshl_add_u32 v13, v13, 23, 0x3c000000
	v_and_b32_e32 v15, 0x80000000, v15
	s_delay_alu instid0(VALU_DEP_1)
	v_or3_b32 v13, v0, v15, v13
.LBB48_22:                              ;   in Loop: Header=BB48_16 Depth=2
	s_or_b32 exec_lo, exec_lo, s25
.LBB48_23:                              ;   in Loop: Header=BB48_16 Depth=2
	s_delay_alu instid0(SALU_CYCLE_1)
	s_or_b32 exec_lo, exec_lo, s19
.LBB48_24:                              ;   in Loop: Header=BB48_16 Depth=2
	s_delay_alu instid0(SALU_CYCLE_1) | instskip(SKIP_2) | instid1(VALU_DEP_1)
	s_or_b32 exec_lo, exec_lo, s1
	v_lshrrev_b32_e32 v0, 8, v14
	s_mov_b32 s1, exec_lo
	v_and_b32_e32 v15, 0xff, v0
	s_delay_alu instid0(VALU_DEP_1)
	v_cmpx_ne_u16_e32 0, v15
	s_cbranch_execz .LBB48_32
; %bb.25:                               ;   in Loop: Header=BB48_16 Depth=2
	v_bfrev_b32_e32 v12, 1
	s_mov_b32 s19, exec_lo
	v_cmpx_ne_u16_e32 0x80, v15
	s_cbranch_execz .LBB48_31
; %bb.26:                               ;   in Loop: Header=BB48_16 Depth=2
	v_bfe_u32 v15, v14, 8, 7
	v_mov_b32_e32 v12, 0x7f800001
	s_mov_b32 s25, exec_lo
	s_delay_alu instid0(VALU_DEP_2)
	v_cmpx_ne_u32_e32 0x7f, v15
	s_cbranch_execz .LBB48_30
; %bb.27:                               ;   in Loop: Header=BB48_16 Depth=2
	v_and_b32_e32 v0, 7, v0
	v_lshrrev_b32_e32 v12, 3, v15
	s_mov_b32 s28, exec_lo
	v_cmpx_gt_u32_e32 8, v15
; %bb.28:                               ;   in Loop: Header=BB48_16 Depth=2
	s_delay_alu instid0(VALU_DEP_3) | instskip(NEXT) | instid1(VALU_DEP_1)
	v_clz_i32_u32_e32 v12, v0
	v_min_u32_e32 v12, 32, v12
	s_delay_alu instid0(VALU_DEP_1) | instskip(SKIP_1) | instid1(VALU_DEP_2)
	v_subrev_nc_u32_e32 v15, 28, v12
	v_sub_nc_u32_e32 v12, 29, v12
	v_lshlrev_b64 v[15:16], v15, v[0:1]
	s_delay_alu instid0(VALU_DEP_1)
	v_and_b32_e32 v0, 7, v15
; %bb.29:                               ;   in Loop: Header=BB48_16 Depth=2
	s_or_b32 exec_lo, exec_lo, s28
	v_lshlrev_b32_e32 v15, 16, v14
	s_delay_alu instid0(VALU_DEP_2) | instskip(SKIP_1) | instid1(VALU_DEP_3)
	v_lshlrev_b32_e32 v0, 20, v0
	v_lshl_add_u32 v12, v12, 23, 0x3c000000
	v_and_b32_e32 v15, 0x80000000, v15
	s_delay_alu instid0(VALU_DEP_1)
	v_or3_b32 v12, v0, v15, v12
.LBB48_30:                              ;   in Loop: Header=BB48_16 Depth=2
	s_or_b32 exec_lo, exec_lo, s25
.LBB48_31:                              ;   in Loop: Header=BB48_16 Depth=2
	s_delay_alu instid0(SALU_CYCLE_1)
	s_or_b32 exec_lo, exec_lo, s19
.LBB48_32:                              ;   in Loop: Header=BB48_16 Depth=2
	s_delay_alu instid0(SALU_CYCLE_1) | instskip(SKIP_3) | instid1(VALU_DEP_2)
	s_or_b32 exec_lo, exec_lo, s1
	v_lshrrev_b32_e32 v0, 16, v14
	v_mov_b32_e32 v15, 0
	s_mov_b32 s1, exec_lo
	v_dual_mov_b32 v16, 0 :: v_dual_and_b32 v17, 0xff, v0
	s_delay_alu instid0(VALU_DEP_1)
	v_cmpx_ne_u16_e32 0, v17
	s_cbranch_execz .LBB48_40
; %bb.33:                               ;   in Loop: Header=BB48_16 Depth=2
	v_bfrev_b32_e32 v16, 1
	s_mov_b32 s19, exec_lo
	v_cmpx_ne_u16_e32 0x80, v17
	s_cbranch_execz .LBB48_39
; %bb.34:                               ;   in Loop: Header=BB48_16 Depth=2
	v_bfe_u32 v17, v14, 16, 7
	v_mov_b32_e32 v16, 0x7f800001
	s_mov_b32 s25, exec_lo
	s_delay_alu instid0(VALU_DEP_2)
	v_cmpx_ne_u32_e32 0x7f, v17
	s_cbranch_execz .LBB48_38
; %bb.35:                               ;   in Loop: Header=BB48_16 Depth=2
	v_and_b32_e32 v0, 7, v0
	v_lshrrev_b32_e32 v16, 3, v17
	s_mov_b32 s28, exec_lo
	v_cmpx_gt_u32_e32 8, v17
; %bb.36:                               ;   in Loop: Header=BB48_16 Depth=2
	s_delay_alu instid0(VALU_DEP_3) | instskip(NEXT) | instid1(VALU_DEP_1)
	v_clz_i32_u32_e32 v16, v0
	v_min_u32_e32 v16, 32, v16
	s_delay_alu instid0(VALU_DEP_1) | instskip(SKIP_1) | instid1(VALU_DEP_2)
	v_subrev_nc_u32_e32 v17, 28, v16
	v_sub_nc_u32_e32 v16, 29, v16
	v_lshlrev_b64 v[17:18], v17, v[0:1]
	s_delay_alu instid0(VALU_DEP_1)
	v_and_b32_e32 v0, 7, v17
; %bb.37:                               ;   in Loop: Header=BB48_16 Depth=2
	s_or_b32 exec_lo, exec_lo, s28
	v_lshlrev_b32_e32 v17, 8, v14
	s_delay_alu instid0(VALU_DEP_2) | instskip(SKIP_1) | instid1(VALU_DEP_3)
	v_lshlrev_b32_e32 v0, 20, v0
	v_lshl_add_u32 v16, v16, 23, 0x3c000000
	v_and_b32_e32 v17, 0x80000000, v17
	s_delay_alu instid0(VALU_DEP_1)
	v_or3_b32 v16, v0, v17, v16
.LBB48_38:                              ;   in Loop: Header=BB48_16 Depth=2
	s_or_b32 exec_lo, exec_lo, s25
.LBB48_39:                              ;   in Loop: Header=BB48_16 Depth=2
	s_delay_alu instid0(SALU_CYCLE_1)
	s_or_b32 exec_lo, exec_lo, s19
.LBB48_40:                              ;   in Loop: Header=BB48_16 Depth=2
	s_delay_alu instid0(SALU_CYCLE_1) | instskip(NEXT) | instid1(SALU_CYCLE_1)
	s_or_b32 exec_lo, exec_lo, s1
	s_mov_b32 s1, exec_lo
	v_cmpx_lt_u32_e32 0xffffff, v14
	s_cbranch_execz .LBB48_15
; %bb.41:                               ;   in Loop: Header=BB48_16 Depth=2
	v_lshrrev_b32_e32 v17, 24, v14
	v_bfrev_b32_e32 v15, 1
	s_mov_b32 s19, exec_lo
	s_delay_alu instid0(VALU_DEP_2)
	v_cmpx_ne_u32_e32 0x80, v17
	s_cbranch_execz .LBB48_14
; %bb.42:                               ;   in Loop: Header=BB48_16 Depth=2
	v_bfe_u32 v18, v14, 24, 7
	v_mov_b32_e32 v15, 0x7f800001
	s_mov_b32 s25, exec_lo
	s_delay_alu instid0(VALU_DEP_2)
	v_cmpx_ne_u32_e32 0x7f, v18
	s_cbranch_execz .LBB48_13
; %bb.43:                               ;   in Loop: Header=BB48_16 Depth=2
	v_and_b32_e32 v0, 7, v17
	v_lshrrev_b32_e32 v14, 3, v18
	s_mov_b32 s28, exec_lo
	v_cmpx_gt_u32_e32 8, v18
	s_cbranch_execz .LBB48_12
; %bb.44:                               ;   in Loop: Header=BB48_16 Depth=2
	v_clz_i32_u32_e32 v14, v0
	s_delay_alu instid0(VALU_DEP_1) | instskip(NEXT) | instid1(VALU_DEP_1)
	v_min_u32_e32 v14, 32, v14
	v_subrev_nc_u32_e32 v15, 28, v14
	v_sub_nc_u32_e32 v14, 29, v14
	s_delay_alu instid0(VALU_DEP_2) | instskip(NEXT) | instid1(VALU_DEP_1)
	v_lshlrev_b64 v[18:19], v15, v[0:1]
	v_and_b32_e32 v0, 7, v18
	s_branch .LBB48_12
.LBB48_45:
	s_endpgm
	.section	.rodata,"a",@progbits
	.p2align	6, 0x0
	.amdhsa_kernel _ZN4vllm30gather_and_maybe_dequant_cacheIfhLNS_18Fp8KVCacheDataTypeE1ELi320ELi64EEEvPKT0_PT_PKiS8_S8_iillllPKfS8_
		.amdhsa_group_segment_fixed_size 0
		.amdhsa_private_segment_fixed_size 64
		.amdhsa_kernarg_size 352
		.amdhsa_user_sgpr_count 15
		.amdhsa_user_sgpr_dispatch_ptr 0
		.amdhsa_user_sgpr_queue_ptr 0
		.amdhsa_user_sgpr_kernarg_segment_ptr 1
		.amdhsa_user_sgpr_dispatch_id 0
		.amdhsa_user_sgpr_private_segment_size 0
		.amdhsa_wavefront_size32 1
		.amdhsa_uses_dynamic_stack 0
		.amdhsa_enable_private_segment 1
		.amdhsa_system_sgpr_workgroup_id_x 1
		.amdhsa_system_sgpr_workgroup_id_y 0
		.amdhsa_system_sgpr_workgroup_id_z 0
		.amdhsa_system_sgpr_workgroup_info 0
		.amdhsa_system_vgpr_workitem_id 0
		.amdhsa_next_free_vgpr 53
		.amdhsa_next_free_sgpr 36
		.amdhsa_reserve_vcc 1
		.amdhsa_float_round_mode_32 0
		.amdhsa_float_round_mode_16_64 0
		.amdhsa_float_denorm_mode_32 3
		.amdhsa_float_denorm_mode_16_64 3
		.amdhsa_dx10_clamp 1
		.amdhsa_ieee_mode 1
		.amdhsa_fp16_overflow 0
		.amdhsa_workgroup_processor_mode 1
		.amdhsa_memory_ordered 1
		.amdhsa_forward_progress 0
		.amdhsa_shared_vgpr_count 0
		.amdhsa_exception_fp_ieee_invalid_op 0
		.amdhsa_exception_fp_denorm_src 0
		.amdhsa_exception_fp_ieee_div_zero 0
		.amdhsa_exception_fp_ieee_overflow 0
		.amdhsa_exception_fp_ieee_underflow 0
		.amdhsa_exception_fp_ieee_inexact 0
		.amdhsa_exception_int_div_zero 0
	.end_amdhsa_kernel
	.section	.text._ZN4vllm30gather_and_maybe_dequant_cacheIfhLNS_18Fp8KVCacheDataTypeE1ELi320ELi64EEEvPKT0_PT_PKiS8_S8_iillllPKfS8_,"axG",@progbits,_ZN4vllm30gather_and_maybe_dequant_cacheIfhLNS_18Fp8KVCacheDataTypeE1ELi320ELi64EEEvPKT0_PT_PKiS8_S8_iillllPKfS8_,comdat
.Lfunc_end48:
	.size	_ZN4vllm30gather_and_maybe_dequant_cacheIfhLNS_18Fp8KVCacheDataTypeE1ELi320ELi64EEEvPKT0_PT_PKiS8_S8_iillllPKfS8_, .Lfunc_end48-_ZN4vllm30gather_and_maybe_dequant_cacheIfhLNS_18Fp8KVCacheDataTypeE1ELi320ELi64EEEvPKT0_PT_PKiS8_S8_iillllPKfS8_
                                        ; -- End function
	.section	.AMDGPU.csdata,"",@progbits
; Kernel info:
; codeLenInByte = 1792
; NumSgprs: 38
; NumVgprs: 53
; ScratchSize: 64
; MemoryBound: 0
; FloatMode: 240
; IeeeMode: 1
; LDSByteSize: 0 bytes/workgroup (compile time only)
; SGPRBlocks: 4
; VGPRBlocks: 6
; NumSGPRsForWavesPerEU: 38
; NumVGPRsForWavesPerEU: 53
; Occupancy: 16
; WaveLimiterHint : 1
; COMPUTE_PGM_RSRC2:SCRATCH_EN: 1
; COMPUTE_PGM_RSRC2:USER_SGPR: 15
; COMPUTE_PGM_RSRC2:TRAP_HANDLER: 0
; COMPUTE_PGM_RSRC2:TGID_X_EN: 1
; COMPUTE_PGM_RSRC2:TGID_Y_EN: 0
; COMPUTE_PGM_RSRC2:TGID_Z_EN: 0
; COMPUTE_PGM_RSRC2:TIDIG_COMP_CNT: 0
	.section	.text._ZN4vllm30gather_and_maybe_dequant_cacheIthLNS_18Fp8KVCacheDataTypeE1ELi320ELi64EEEvPKT0_PT_PKiS8_S8_iillllPKfS8_,"axG",@progbits,_ZN4vllm30gather_and_maybe_dequant_cacheIthLNS_18Fp8KVCacheDataTypeE1ELi320ELi64EEEvPKT0_PT_PKiS8_S8_iillllPKfS8_,comdat
	.protected	_ZN4vllm30gather_and_maybe_dequant_cacheIthLNS_18Fp8KVCacheDataTypeE1ELi320ELi64EEEvPKT0_PT_PKiS8_S8_iillllPKfS8_ ; -- Begin function _ZN4vllm30gather_and_maybe_dequant_cacheIthLNS_18Fp8KVCacheDataTypeE1ELi320ELi64EEEvPKT0_PT_PKiS8_S8_iillllPKfS8_
	.globl	_ZN4vllm30gather_and_maybe_dequant_cacheIthLNS_18Fp8KVCacheDataTypeE1ELi320ELi64EEEvPKT0_PT_PKiS8_S8_iillllPKfS8_
	.p2align	8
	.type	_ZN4vllm30gather_and_maybe_dequant_cacheIthLNS_18Fp8KVCacheDataTypeE1ELi320ELi64EEEvPKT0_PT_PKiS8_S8_iillllPKfS8_,@function
_ZN4vllm30gather_and_maybe_dequant_cacheIthLNS_18Fp8KVCacheDataTypeE1ELi320ELi64EEEvPKT0_PT_PKiS8_S8_iillllPKfS8_: ; @_ZN4vllm30gather_and_maybe_dequant_cacheIthLNS_18Fp8KVCacheDataTypeE1ELi320ELi64EEEvPKT0_PT_PKiS8_S8_iillllPKfS8_
; %bb.0:
	s_mov_b64 s[18:19], s[0:1]
	s_load_b32 s0, s[0:1], 0x6c
	v_mov_b32_e32 v41, v0
	s_add_u32 s28, s18, 0x60
	s_mov_b32 s24, s15
	s_addc_u32 s29, s19, 0
	s_mov_b32 s32, 0
	s_waitcnt lgkmcnt(0)
	v_cmp_eq_u16_e64 s0, s0, 64
	s_delay_alu instid0(VALU_DEP_1)
	s_and_b32 vcc_lo, exec_lo, s0
	s_mov_b32 s0, -1
	s_cbranch_vccnz .LBB49_2
; %bb.1:
	s_add_u32 s8, s18, 0x60
	s_addc_u32 s9, s19, 0
	s_getpc_b64 s[0:1]
	s_add_u32 s0, s0, .str.2@rel32@lo+4
	s_addc_u32 s1, s1, .str.2@rel32@hi+12
	s_getpc_b64 s[2:3]
	s_add_u32 s2, s2, .str.3@rel32@lo+4
	s_addc_u32 s3, s3, .str.3@rel32@hi+12
	s_getpc_b64 s[4:5]
	s_add_u32 s4, s4, __PRETTY_FUNCTION__._ZN4vllm30gather_and_maybe_dequant_cacheIthLNS_18Fp8KVCacheDataTypeE1ELi320ELi64EEEvPKT0_PT_PKiS8_S8_iillllPKfS8_@rel32@lo+4
	s_addc_u32 s5, s5, __PRETTY_FUNCTION__._ZN4vllm30gather_and_maybe_dequant_cacheIthLNS_18Fp8KVCacheDataTypeE1ELi320ELi64EEEvPKT0_PT_PKiS8_S8_iillllPKfS8_@rel32@hi+12
	v_dual_mov_b32 v0, s0 :: v_dual_mov_b32 v1, s1
	v_dual_mov_b32 v2, s2 :: v_dual_mov_b32 v3, s3
	;; [unrolled: 1-line block ×3, first 2 shown]
	v_mov_b32_e32 v6, s5
	s_getpc_b64 s[6:7]
	s_add_u32 s6, s6, __assert_fail@rel32@lo+4
	s_addc_u32 s7, s7, __assert_fail@rel32@hi+12
	s_delay_alu instid0(SALU_CYCLE_1)
	s_swappc_b64 s[30:31], s[6:7]
	; divergent unreachable
	s_mov_b32 s0, 0
.LBB49_2:
	s_delay_alu instid0(SALU_CYCLE_1)
	s_and_not1_b32 vcc_lo, exec_lo, s0
	s_cbranch_vccnz .LBB49_76
; %bb.3:
	s_load_b64 s[2:3], s[18:19], 0x28
	s_waitcnt lgkmcnt(0)
	s_cmp_ge_i32 s24, s2
	s_cbranch_scc1 .LBB49_76
; %bb.4:
	s_clause 0x2
	s_load_b128 s[20:23], s[18:19], 0x50
	s_load_b256 s[4:11], s[18:19], 0x0
	s_load_b64 s[26:27], s[18:19], 0x20
	s_load_b32 s36, s[28:29], 0x0
	s_load_b256 s[12:19], s[18:19], 0x30
	v_lshlrev_b32_e32 v2, 4, v41
	v_cmp_gt_u32_e64 s0, 40, v41
	v_dual_mov_b32 v1, 0 :: v_dual_lshlrev_b32 v10, 3, v41
	s_waitcnt lgkmcnt(0)
	s_cmp_lg_u64 s[22:23], 0
	v_add_co_u32 v8, s6, s6, v2
	s_cselect_b32 s1, -1, 0
	s_abs_i32 s33, s3
	v_add_co_ci_u32_e64 v9, null, s7, 0, s6
	v_cvt_f32_u32_e32 v0, s33
	s_sub_i32 s6, 0, s33
	s_delay_alu instid0(VALU_DEP_1) | instskip(SKIP_2) | instid1(VALU_DEP_1)
	v_rcp_iflag_f32_e32 v0, v0
	s_waitcnt_depctr 0xfff
	v_mul_f32_e32 v0, 0x4f7ffffe, v0
	v_cvt_u32_f32_e32 v0, v0
	s_delay_alu instid0(VALU_DEP_1) | instskip(NEXT) | instid1(VALU_DEP_1)
	v_readfirstlane_b32 s25, v0
	s_mul_i32 s13, s6, s25
	s_mov_b32 s6, -1
	s_mul_hi_u32 s28, s25, s13
	s_mov_b32 s7, 0xffffff
	s_ashr_i32 s13, s3, 31
	s_add_i32 s37, s25, s28
	s_branch .LBB49_11
.LBB49_5:                               ;   in Loop: Header=BB49_11 Depth=1
	s_or_b32 exec_lo, exec_lo, s35
	s_delay_alu instid0(VALU_DEP_1) | instskip(SKIP_2) | instid1(VALU_DEP_3)
	v_lshlrev_b32_e32 v0, 20, v4
	v_and_b32_e32 v3, 0x80000000, v3
	v_lshl_add_u32 v2, v2, 23, 0x3c000000
	v_and_b32_e32 v0, 0x700000, v0
	s_delay_alu instid0(VALU_DEP_1)
	v_or3_b32 v15, v0, v3, v2
.LBB49_6:                               ;   in Loop: Header=BB49_11 Depth=1
	s_or_b32 exec_lo, exec_lo, s34
.LBB49_7:                               ;   in Loop: Header=BB49_11 Depth=1
	s_delay_alu instid0(SALU_CYCLE_1)
	s_or_b32 exec_lo, exec_lo, s31
.LBB49_8:                               ;   in Loop: Header=BB49_11 Depth=1
	s_delay_alu instid0(SALU_CYCLE_1)
	s_or_b32 exec_lo, exec_lo, s30
	s_mul_i32 s30, s24, s19
	s_mul_hi_u32 s31, s24, s18
	s_mul_i32 s25, s25, s18
	s_add_i32 s30, s31, s30
	s_waitcnt lgkmcnt(0)
	v_fma_mixlo_f16 v5, s28, v16, 0
	s_add_i32 s31, s30, s25
	s_mul_i32 s30, s24, s18
	v_fma_mixlo_f16 v4, s28, v7, 0
	v_fma_mixlo_f16 v3, s28, v14, 0
	;; [unrolled: 1-line block ×3, first 2 shown]
	s_lshl_b64 s[30:31], s[30:31], 1
	v_fma_mixhi_f16 v5, s28, v15, 0
	v_add_co_u32 v16, vcc_lo, v8, s30
	v_add_co_ci_u32_e32 v17, vcc_lo, s31, v9, vcc_lo
	v_fma_mixhi_f16 v4, s28, v6, 0
	v_fma_mixhi_f16 v3, s28, v13, 0
	v_fma_mixhi_f16 v2, s28, v11, 0
	global_store_b128 v[16:17], v[2:5], off
.LBB49_9:                               ;   in Loop: Header=BB49_11 Depth=1
	s_or_b32 exec_lo, exec_lo, s29
	s_add_i32 s24, s24, s36
	s_delay_alu instid0(SALU_CYCLE_1)
	s_cmp_ge_i32 s24, s2
	s_cselect_b32 s29, -1, 0
.LBB49_10:                              ;   in Loop: Header=BB49_11 Depth=1
	s_delay_alu instid0(SALU_CYCLE_1)
	s_and_b32 vcc_lo, exec_lo, s29
	s_cbranch_vccnz .LBB49_76
.LBB49_11:                              ; =>This Inner Loop Header: Depth=1
	s_ashr_i32 s25, s24, 31
	s_delay_alu instid0(SALU_CYCLE_1) | instskip(NEXT) | instid1(SALU_CYCLE_1)
	s_lshl_b64 s[28:29], s[24:25], 2
	s_add_u32 s28, s26, s28
	s_addc_u32 s29, s27, s29
	s_load_b32 s28, s[28:29], 0x0
	s_waitcnt lgkmcnt(0)
	s_ashr_i32 s29, s28, 31
	s_delay_alu instid0(SALU_CYCLE_1)
	s_lshl_b64 s[34:35], s[28:29], 2
	s_mov_b32 s29, -1
	s_add_u32 s30, s10, s34
	s_addc_u32 s31, s11, s35
	s_load_b64 s[30:31], s[30:31], 0x0
	s_waitcnt lgkmcnt(0)
	s_cmp_ge_i32 s24, s31
	s_cbranch_scc1 .LBB49_10
; %bb.12:                               ;   in Loop: Header=BB49_11 Depth=1
	s_and_not1_b32 vcc_lo, exec_lo, s1
	s_cbranch_vccnz .LBB49_14
; %bb.13:                               ;   in Loop: Header=BB49_11 Depth=1
	s_add_u32 s34, s22, s34
	s_addc_u32 s35, s23, s35
	s_load_b32 s31, s[34:35], 0x0
	s_and_saveexec_b32 s29, s0
	s_cbranch_execz .LBB49_9
	s_branch .LBB49_15
.LBB49_14:                              ;   in Loop: Header=BB49_11 Depth=1
	s_mov_b32 s31, 0
	s_and_saveexec_b32 s29, s0
	s_cbranch_execz .LBB49_9
.LBB49_15:                              ;   in Loop: Header=BB49_11 Depth=1
	s_waitcnt lgkmcnt(0)
	s_sub_i32 s30, s31, s30
	s_mul_i32 s28, s28, s12
	s_add_i32 s34, s24, s30
	v_mov_b32_e32 v12, 0
	s_abs_i32 s30, s34
	s_ashr_i32 s35, s34, 31
	s_mul_hi_u32 s31, s30, s37
	s_xor_b32 s35, s35, s13
	s_mul_i32 s38, s31, s33
	v_mov_b32_e32 v11, 0
	s_sub_i32 s30, s30, s38
	s_add_i32 s38, s31, 1
	s_sub_i32 s39, s30, s33
	s_cmp_ge_u32 s30, s33
	s_cselect_b32 s31, s38, s31
	s_cselect_b32 s30, s39, s30
	s_add_i32 s38, s31, 1
	s_cmp_ge_u32 s30, s33
	s_cselect_b32 s30, s38, s31
	s_delay_alu instid0(SALU_CYCLE_1) | instskip(NEXT) | instid1(SALU_CYCLE_1)
	s_xor_b32 s30, s30, s35
	s_sub_i32 s35, s30, s35
	s_delay_alu instid0(SALU_CYCLE_1) | instskip(SKIP_2) | instid1(SALU_CYCLE_1)
	s_add_i32 s30, s35, s28
	s_mul_i32 s35, s35, s3
	s_ashr_i32 s31, s30, 31
	s_lshl_b64 s[30:31], s[30:31], 2
	s_delay_alu instid0(SALU_CYCLE_1)
	s_add_u32 s30, s8, s30
	s_addc_u32 s31, s9, s31
	s_load_b32 s28, s[30:31], 0x0
	s_waitcnt lgkmcnt(0)
	s_mul_i32 s30, s28, s15
	s_mul_hi_u32 s31, s28, s14
	s_ashr_i32 s38, s28, 31
	s_add_i32 s30, s31, s30
	s_mul_i32 s38, s38, s14
	s_mul_i32 s28, s28, s14
	s_add_i32 s30, s30, s38
	s_add_u32 s28, s4, s28
	s_addc_u32 s31, s5, s30
	s_sub_i32 s30, s34, s35
	s_delay_alu instid0(SALU_CYCLE_1)
	s_mul_i32 s34, s30, s17
	s_mul_hi_u32 s35, s30, s16
	s_ashr_i32 s38, s30, 31
	s_add_i32 s34, s35, s34
	s_mul_i32 s38, s38, s16
	s_mul_i32 s30, s30, s16
	s_add_i32 s34, s34, s38
	s_add_u32 s30, s28, s30
	s_addc_u32 s31, s31, s34
	s_load_b32 s28, s[20:21], 0x0
	global_load_b64 v[2:3], v10, s[30:31]
	s_mov_b32 s30, exec_lo
	s_waitcnt vmcnt(0)
	v_and_b32_e32 v0, 0xff, v2
	s_delay_alu instid0(VALU_DEP_1)
	v_cmpx_ne_u16_e32 0, v0
	s_cbranch_execz .LBB49_23
; %bb.16:                               ;   in Loop: Header=BB49_11 Depth=1
	v_bfrev_b32_e32 v12, 1
	s_mov_b32 s31, exec_lo
	v_cmpx_ne_u16_e32 0x80, v0
	s_cbranch_execz .LBB49_22
; %bb.17:                               ;   in Loop: Header=BB49_11 Depth=1
	v_and_b32_e32 v4, 0x7f, v2
	v_mov_b32_e32 v12, 0x7f800001
	s_mov_b32 s34, exec_lo
	s_delay_alu instid0(VALU_DEP_2)
	v_cmpx_ne_u32_e32 0x7f, v4
	s_cbranch_execz .LBB49_21
; %bb.18:                               ;   in Loop: Header=BB49_11 Depth=1
	v_lshrrev_b32_e32 v0, 3, v4
	v_cmp_gt_u32_e32 vcc_lo, 8, v4
	v_dual_mov_b32 v5, v3 :: v_dual_mov_b32 v4, v2
	s_and_saveexec_b32 s35, vcc_lo
; %bb.19:                               ;   in Loop: Header=BB49_11 Depth=1
	v_and_b32_e32 v0, 7, v2
	s_delay_alu instid0(VALU_DEP_1) | instskip(NEXT) | instid1(VALU_DEP_1)
	v_clz_i32_u32_e32 v0, v0
	v_min_u32_e32 v0, 32, v0
	s_delay_alu instid0(VALU_DEP_1) | instskip(SKIP_1) | instid1(VALU_DEP_2)
	v_subrev_nc_u32_e32 v4, 28, v0
	v_sub_nc_u32_e32 v0, 29, v0
	v_lshlrev_b64 v[4:5], v4, v[2:3]
; %bb.20:                               ;   in Loop: Header=BB49_11 Depth=1
	s_or_b32 exec_lo, exec_lo, s35
	s_delay_alu instid0(VALU_DEP_1) | instskip(SKIP_2) | instid1(VALU_DEP_3)
	v_lshlrev_b32_e32 v4, 20, v4
	v_lshlrev_b32_e32 v5, 24, v2
	v_lshl_add_u32 v0, v0, 23, 0x3c000000
	v_and_b32_e32 v4, 0x700000, v4
	s_delay_alu instid0(VALU_DEP_3) | instskip(NEXT) | instid1(VALU_DEP_1)
	v_and_b32_e32 v5, 0x80000000, v5
	v_or3_b32 v12, v4, v5, v0
.LBB49_21:                              ;   in Loop: Header=BB49_11 Depth=1
	s_or_b32 exec_lo, exec_lo, s34
.LBB49_22:                              ;   in Loop: Header=BB49_11 Depth=1
	s_delay_alu instid0(SALU_CYCLE_1)
	s_or_b32 exec_lo, exec_lo, s31
.LBB49_23:                              ;   in Loop: Header=BB49_11 Depth=1
	s_delay_alu instid0(SALU_CYCLE_1) | instskip(SKIP_2) | instid1(VALU_DEP_1)
	s_or_b32 exec_lo, exec_lo, s30
	v_lshrrev_b32_e32 v0, 8, v2
	s_mov_b32 s30, exec_lo
	v_and_b32_e32 v0, 0xff, v0
	s_delay_alu instid0(VALU_DEP_1)
	v_cmpx_ne_u16_e32 0, v0
	s_cbranch_execz .LBB49_31
; %bb.24:                               ;   in Loop: Header=BB49_11 Depth=1
	v_bfrev_b32_e32 v11, 1
	s_mov_b32 s31, exec_lo
	v_cmpx_ne_u16_e32 0x80, v0
	s_cbranch_execz .LBB49_30
; %bb.25:                               ;   in Loop: Header=BB49_11 Depth=1
	v_alignbit_b32 v0, v3, v2, 8
	v_mov_b32_e32 v11, 0x7f800001
	s_mov_b32 s34, exec_lo
	s_delay_alu instid0(VALU_DEP_2) | instskip(NEXT) | instid1(VALU_DEP_1)
	v_and_b32_e32 v6, 0x7f, v0
	v_cmpx_ne_u32_e32 0x7f, v6
	s_cbranch_execz .LBB49_29
; %bb.26:                               ;   in Loop: Header=BB49_11 Depth=1
	v_lshrrev_b64 v[4:5], 8, v[2:3]
	v_lshrrev_b32_e32 v11, 3, v6
	v_cmp_gt_u32_e32 vcc_lo, 8, v6
	s_delay_alu instid0(VALU_DEP_3)
	v_dual_mov_b32 v7, v5 :: v_dual_mov_b32 v6, v4
	s_and_saveexec_b32 s35, vcc_lo
; %bb.27:                               ;   in Loop: Header=BB49_11 Depth=1
	v_and_b32_e32 v0, 7, v0
	s_delay_alu instid0(VALU_DEP_1) | instskip(NEXT) | instid1(VALU_DEP_1)
	v_clz_i32_u32_e32 v0, v0
	v_min_u32_e32 v0, 32, v0
	s_delay_alu instid0(VALU_DEP_1) | instskip(SKIP_1) | instid1(VALU_DEP_2)
	v_subrev_nc_u32_e32 v6, 28, v0
	v_sub_nc_u32_e32 v11, 29, v0
	v_lshlrev_b64 v[6:7], v6, v[4:5]
; %bb.28:                               ;   in Loop: Header=BB49_11 Depth=1
	s_or_b32 exec_lo, exec_lo, s35
	s_delay_alu instid0(VALU_DEP_1) | instskip(SKIP_2) | instid1(VALU_DEP_3)
	v_lshlrev_b32_e32 v0, 20, v6
	v_lshlrev_b32_e32 v4, 24, v4
	v_lshl_add_u32 v5, v11, 23, 0x3c000000
	v_and_b32_e32 v0, 0x700000, v0
	s_delay_alu instid0(VALU_DEP_3) | instskip(NEXT) | instid1(VALU_DEP_1)
	v_and_b32_e32 v4, 0x80000000, v4
	v_or3_b32 v11, v0, v4, v5
.LBB49_29:                              ;   in Loop: Header=BB49_11 Depth=1
	s_or_b32 exec_lo, exec_lo, s34
.LBB49_30:                              ;   in Loop: Header=BB49_11 Depth=1
	s_delay_alu instid0(SALU_CYCLE_1)
	s_or_b32 exec_lo, exec_lo, s31
.LBB49_31:                              ;   in Loop: Header=BB49_11 Depth=1
	s_delay_alu instid0(SALU_CYCLE_1) | instskip(SKIP_3) | instid1(VALU_DEP_2)
	s_or_b32 exec_lo, exec_lo, s30
	v_lshrrev_b32_e32 v0, 16, v2
	v_mov_b32_e32 v14, 0
	s_mov_b32 s30, exec_lo
	v_dual_mov_b32 v13, 0 :: v_dual_and_b32 v0, 0xff, v0
	s_delay_alu instid0(VALU_DEP_1)
	v_cmpx_ne_u16_e32 0, v0
	s_cbranch_execz .LBB49_39
; %bb.32:                               ;   in Loop: Header=BB49_11 Depth=1
	v_bfrev_b32_e32 v14, 1
	s_mov_b32 s31, exec_lo
	v_cmpx_ne_u16_e32 0x80, v0
	s_cbranch_execz .LBB49_38
; %bb.33:                               ;   in Loop: Header=BB49_11 Depth=1
	v_alignbit_b32 v0, v3, v2, 16
	v_mov_b32_e32 v14, 0x7f800001
	s_mov_b32 s34, exec_lo
	s_delay_alu instid0(VALU_DEP_2) | instskip(NEXT) | instid1(VALU_DEP_1)
	v_and_b32_e32 v6, 0x7f, v0
	v_cmpx_ne_u32_e32 0x7f, v6
	s_cbranch_execz .LBB49_37
; %bb.34:                               ;   in Loop: Header=BB49_11 Depth=1
	v_lshrrev_b64 v[4:5], 16, v[2:3]
	v_lshrrev_b32_e32 v14, 3, v6
	v_cmp_gt_u32_e32 vcc_lo, 8, v6
	s_delay_alu instid0(VALU_DEP_3)
	v_dual_mov_b32 v7, v5 :: v_dual_mov_b32 v6, v4
	s_and_saveexec_b32 s35, vcc_lo
; %bb.35:                               ;   in Loop: Header=BB49_11 Depth=1
	v_and_b32_e32 v0, 7, v0
	s_delay_alu instid0(VALU_DEP_1) | instskip(NEXT) | instid1(VALU_DEP_1)
	v_clz_i32_u32_e32 v0, v0
	v_min_u32_e32 v0, 32, v0
	s_delay_alu instid0(VALU_DEP_1) | instskip(SKIP_1) | instid1(VALU_DEP_2)
	v_subrev_nc_u32_e32 v6, 28, v0
	v_sub_nc_u32_e32 v14, 29, v0
	v_lshlrev_b64 v[6:7], v6, v[4:5]
; %bb.36:                               ;   in Loop: Header=BB49_11 Depth=1
	s_or_b32 exec_lo, exec_lo, s35
	s_delay_alu instid0(VALU_DEP_1) | instskip(SKIP_2) | instid1(VALU_DEP_3)
	v_lshlrev_b32_e32 v0, 20, v6
	v_lshlrev_b32_e32 v4, 24, v4
	v_lshl_add_u32 v5, v14, 23, 0x3c000000
	v_and_b32_e32 v0, 0x700000, v0
	s_delay_alu instid0(VALU_DEP_3) | instskip(NEXT) | instid1(VALU_DEP_1)
	v_and_b32_e32 v4, 0x80000000, v4
	v_or3_b32 v14, v0, v4, v5
.LBB49_37:                              ;   in Loop: Header=BB49_11 Depth=1
	s_or_b32 exec_lo, exec_lo, s34
.LBB49_38:                              ;   in Loop: Header=BB49_11 Depth=1
	s_delay_alu instid0(SALU_CYCLE_1)
	s_or_b32 exec_lo, exec_lo, s31
.LBB49_39:                              ;   in Loop: Header=BB49_11 Depth=1
	s_delay_alu instid0(SALU_CYCLE_1) | instskip(SKIP_2) | instid1(VALU_DEP_1)
	s_or_b32 exec_lo, exec_lo, s30
	v_lshrrev_b32_e32 v0, 24, v2
	s_mov_b32 s30, exec_lo
	v_cmpx_ne_u16_e32 0, v0
	s_cbranch_execz .LBB49_47
; %bb.40:                               ;   in Loop: Header=BB49_11 Depth=1
	v_bfrev_b32_e32 v13, 1
	s_mov_b32 s31, exec_lo
	v_cmpx_ne_u16_e32 0x80, v0
	s_cbranch_execz .LBB49_46
; %bb.41:                               ;   in Loop: Header=BB49_11 Depth=1
	v_alignbit_b32 v0, v3, v2, 24
	v_mov_b32_e32 v13, 0x7f800001
	s_mov_b32 s34, exec_lo
	s_delay_alu instid0(VALU_DEP_2) | instskip(NEXT) | instid1(VALU_DEP_1)
	v_and_b32_e32 v6, 0x7f, v0
	v_cmpx_ne_u32_e32 0x7f, v6
	s_cbranch_execz .LBB49_45
; %bb.42:                               ;   in Loop: Header=BB49_11 Depth=1
	v_lshrrev_b64 v[4:5], 24, v[2:3]
	v_lshrrev_b32_e32 v13, 3, v6
	v_cmp_gt_u32_e32 vcc_lo, 8, v6
	s_delay_alu instid0(VALU_DEP_3)
	v_dual_mov_b32 v7, v5 :: v_dual_mov_b32 v6, v4
	s_and_saveexec_b32 s35, vcc_lo
; %bb.43:                               ;   in Loop: Header=BB49_11 Depth=1
	v_and_b32_e32 v0, 7, v0
	s_delay_alu instid0(VALU_DEP_1) | instskip(NEXT) | instid1(VALU_DEP_1)
	v_clz_i32_u32_e32 v0, v0
	v_min_u32_e32 v0, 32, v0
	s_delay_alu instid0(VALU_DEP_1) | instskip(SKIP_1) | instid1(VALU_DEP_2)
	v_subrev_nc_u32_e32 v6, 28, v0
	v_sub_nc_u32_e32 v13, 29, v0
	v_lshlrev_b64 v[6:7], v6, v[4:5]
; %bb.44:                               ;   in Loop: Header=BB49_11 Depth=1
	s_or_b32 exec_lo, exec_lo, s35
	s_delay_alu instid0(VALU_DEP_1) | instskip(SKIP_2) | instid1(VALU_DEP_3)
	v_lshlrev_b32_e32 v0, 20, v6
	v_lshlrev_b32_e32 v4, 24, v4
	v_lshl_add_u32 v5, v13, 23, 0x3c000000
	v_and_b32_e32 v0, 0x700000, v0
	s_delay_alu instid0(VALU_DEP_3) | instskip(NEXT) | instid1(VALU_DEP_1)
	v_and_b32_e32 v4, 0x80000000, v4
	v_or3_b32 v13, v0, v4, v5
.LBB49_45:                              ;   in Loop: Header=BB49_11 Depth=1
	s_or_b32 exec_lo, exec_lo, s34
.LBB49_46:                              ;   in Loop: Header=BB49_11 Depth=1
	s_delay_alu instid0(SALU_CYCLE_1)
	s_or_b32 exec_lo, exec_lo, s31
.LBB49_47:                              ;   in Loop: Header=BB49_11 Depth=1
	s_delay_alu instid0(SALU_CYCLE_1) | instskip(SKIP_3) | instid1(VALU_DEP_2)
	s_or_b32 exec_lo, exec_lo, s30
	v_dual_mov_b32 v7, 0 :: v_dual_and_b32 v0, 0xff, v3
	v_mov_b32_e32 v6, 0
	s_mov_b32 s30, exec_lo
	v_cmpx_ne_u16_e32 0, v0
	s_cbranch_execz .LBB49_55
; %bb.48:                               ;   in Loop: Header=BB49_11 Depth=1
	v_bfrev_b32_e32 v7, 1
	s_mov_b32 s31, exec_lo
	v_cmpx_ne_u16_e32 0x80, v0
	s_cbranch_execz .LBB49_54
; %bb.49:                               ;   in Loop: Header=BB49_11 Depth=1
	v_and_b32_e32 v4, 0x7f, v3
	v_mov_b32_e32 v7, 0x7f800001
	s_mov_b32 s34, exec_lo
	s_delay_alu instid0(VALU_DEP_2)
	v_cmpx_ne_u32_e32 0x7f, v4
	s_cbranch_execz .LBB49_53
; %bb.50:                               ;   in Loop: Header=BB49_11 Depth=1
	v_mov_b32_e32 v0, v3
	v_lshrrev_b32_e32 v7, 3, v4
	v_cmp_gt_u32_e32 vcc_lo, 8, v4
	s_delay_alu instid0(VALU_DEP_3)
	v_dual_mov_b32 v5, v1 :: v_dual_mov_b32 v4, v0
	s_and_saveexec_b32 s35, vcc_lo
; %bb.51:                               ;   in Loop: Header=BB49_11 Depth=1
	v_and_b32_e32 v4, 7, v3
	s_delay_alu instid0(VALU_DEP_1) | instskip(NEXT) | instid1(VALU_DEP_1)
	v_clz_i32_u32_e32 v4, v4
	v_min_u32_e32 v7, 32, v4
	s_delay_alu instid0(VALU_DEP_1) | instskip(SKIP_1) | instid1(VALU_DEP_2)
	v_subrev_nc_u32_e32 v4, 28, v7
	v_sub_nc_u32_e32 v7, 29, v7
	v_lshlrev_b64 v[4:5], v4, v[0:1]
; %bb.52:                               ;   in Loop: Header=BB49_11 Depth=1
	s_or_b32 exec_lo, exec_lo, s35
	s_delay_alu instid0(VALU_DEP_1) | instskip(SKIP_2) | instid1(VALU_DEP_3)
	v_lshlrev_b32_e32 v4, 20, v4
	v_lshlrev_b32_e32 v0, 24, v0
	v_lshl_add_u32 v5, v7, 23, 0x3c000000
	v_and_b32_e32 v4, 0x700000, v4
	s_delay_alu instid0(VALU_DEP_3) | instskip(NEXT) | instid1(VALU_DEP_1)
	v_and_b32_e32 v0, 0x80000000, v0
	v_or3_b32 v7, v4, v0, v5
.LBB49_53:                              ;   in Loop: Header=BB49_11 Depth=1
	s_or_b32 exec_lo, exec_lo, s34
.LBB49_54:                              ;   in Loop: Header=BB49_11 Depth=1
	s_delay_alu instid0(SALU_CYCLE_1)
	s_or_b32 exec_lo, exec_lo, s31
.LBB49_55:                              ;   in Loop: Header=BB49_11 Depth=1
	s_delay_alu instid0(SALU_CYCLE_1) | instskip(SKIP_2) | instid1(VALU_DEP_1)
	s_or_b32 exec_lo, exec_lo, s30
	v_lshrrev_b32_e32 v0, 8, v3
	s_mov_b32 s30, exec_lo
	v_and_b32_e32 v4, 0xff, v0
	s_delay_alu instid0(VALU_DEP_1)
	v_cmpx_ne_u16_e32 0, v4
	s_cbranch_execz .LBB49_63
; %bb.56:                               ;   in Loop: Header=BB49_11 Depth=1
	v_bfrev_b32_e32 v6, 1
	s_mov_b32 s31, exec_lo
	v_cmpx_ne_u16_e32 0x80, v4
	s_cbranch_execz .LBB49_62
; %bb.57:                               ;   in Loop: Header=BB49_11 Depth=1
	v_bfe_u32 v4, v3, 8, 7
	v_mov_b32_e32 v6, 0x7f800001
	s_mov_b32 s34, exec_lo
	s_delay_alu instid0(VALU_DEP_2)
	v_cmpx_ne_u32_e32 0x7f, v4
	s_cbranch_execz .LBB49_61
; %bb.58:                               ;   in Loop: Header=BB49_11 Depth=1
	v_lshrrev_b32_e32 v6, 3, v4
	v_cmp_gt_u32_e32 vcc_lo, 8, v4
	v_dual_mov_b32 v5, v1 :: v_dual_mov_b32 v4, v0
	s_and_saveexec_b32 s35, vcc_lo
; %bb.59:                               ;   in Loop: Header=BB49_11 Depth=1
	v_and_b32_e32 v4, 7, v0
	s_delay_alu instid0(VALU_DEP_1) | instskip(NEXT) | instid1(VALU_DEP_1)
	v_clz_i32_u32_e32 v4, v4
	v_min_u32_e32 v6, 32, v4
	s_delay_alu instid0(VALU_DEP_1) | instskip(SKIP_1) | instid1(VALU_DEP_2)
	v_subrev_nc_u32_e32 v4, 28, v6
	v_sub_nc_u32_e32 v6, 29, v6
	v_lshlrev_b64 v[4:5], v4, v[0:1]
; %bb.60:                               ;   in Loop: Header=BB49_11 Depth=1
	s_or_b32 exec_lo, exec_lo, s35
	s_delay_alu instid0(VALU_DEP_1) | instskip(SKIP_2) | instid1(VALU_DEP_3)
	v_lshlrev_b32_e32 v4, 20, v4
	v_lshlrev_b32_e32 v0, 24, v0
	v_lshl_add_u32 v5, v6, 23, 0x3c000000
	v_and_b32_e32 v4, 0x700000, v4
	s_delay_alu instid0(VALU_DEP_3) | instskip(NEXT) | instid1(VALU_DEP_1)
	v_and_b32_e32 v0, 0x80000000, v0
	v_or3_b32 v6, v4, v0, v5
.LBB49_61:                              ;   in Loop: Header=BB49_11 Depth=1
	s_or_b32 exec_lo, exec_lo, s34
.LBB49_62:                              ;   in Loop: Header=BB49_11 Depth=1
	s_delay_alu instid0(SALU_CYCLE_1)
	s_or_b32 exec_lo, exec_lo, s31
.LBB49_63:                              ;   in Loop: Header=BB49_11 Depth=1
	s_delay_alu instid0(SALU_CYCLE_1) | instskip(SKIP_3) | instid1(VALU_DEP_2)
	s_or_b32 exec_lo, exec_lo, s30
	v_lshrrev_b32_e32 v0, 16, v3
	v_mov_b32_e32 v16, 0
	s_mov_b32 s30, exec_lo
	v_dual_mov_b32 v15, 0 :: v_dual_and_b32 v4, 0xff, v0
	s_delay_alu instid0(VALU_DEP_1)
	v_cmpx_ne_u16_e32 0, v4
	s_cbranch_execz .LBB49_71
; %bb.64:                               ;   in Loop: Header=BB49_11 Depth=1
	v_bfrev_b32_e32 v16, 1
	s_mov_b32 s31, exec_lo
	v_cmpx_ne_u16_e32 0x80, v4
	s_cbranch_execz .LBB49_70
; %bb.65:                               ;   in Loop: Header=BB49_11 Depth=1
	v_bfe_u32 v4, v3, 16, 7
	v_mov_b32_e32 v16, 0x7f800001
	s_mov_b32 s34, exec_lo
	s_delay_alu instid0(VALU_DEP_2)
	v_cmpx_ne_u32_e32 0x7f, v4
	s_cbranch_execz .LBB49_69
; %bb.66:                               ;   in Loop: Header=BB49_11 Depth=1
	v_lshrrev_b32_e32 v16, 3, v4
	v_cmp_gt_u32_e32 vcc_lo, 8, v4
	v_dual_mov_b32 v5, v1 :: v_dual_mov_b32 v4, v0
	s_and_saveexec_b32 s35, vcc_lo
; %bb.67:                               ;   in Loop: Header=BB49_11 Depth=1
	v_and_b32_e32 v4, 7, v0
	s_delay_alu instid0(VALU_DEP_1) | instskip(NEXT) | instid1(VALU_DEP_1)
	v_clz_i32_u32_e32 v4, v4
	v_min_u32_e32 v16, 32, v4
	s_delay_alu instid0(VALU_DEP_1) | instskip(SKIP_1) | instid1(VALU_DEP_2)
	v_subrev_nc_u32_e32 v4, 28, v16
	v_sub_nc_u32_e32 v16, 29, v16
	v_lshlrev_b64 v[4:5], v4, v[0:1]
; %bb.68:                               ;   in Loop: Header=BB49_11 Depth=1
	s_or_b32 exec_lo, exec_lo, s35
	s_delay_alu instid0(VALU_DEP_1) | instskip(SKIP_2) | instid1(VALU_DEP_3)
	v_lshlrev_b32_e32 v4, 20, v4
	v_lshlrev_b32_e32 v0, 24, v0
	v_lshl_add_u32 v5, v16, 23, 0x3c000000
	v_and_b32_e32 v4, 0x700000, v4
	s_delay_alu instid0(VALU_DEP_3) | instskip(NEXT) | instid1(VALU_DEP_1)
	v_and_b32_e32 v0, 0x80000000, v0
	v_or3_b32 v16, v4, v0, v5
.LBB49_69:                              ;   in Loop: Header=BB49_11 Depth=1
	s_or_b32 exec_lo, exec_lo, s34
.LBB49_70:                              ;   in Loop: Header=BB49_11 Depth=1
	s_delay_alu instid0(SALU_CYCLE_1)
	s_or_b32 exec_lo, exec_lo, s31
.LBB49_71:                              ;   in Loop: Header=BB49_11 Depth=1
	s_delay_alu instid0(SALU_CYCLE_1) | instskip(NEXT) | instid1(SALU_CYCLE_1)
	s_or_b32 exec_lo, exec_lo, s30
	s_mov_b32 s30, exec_lo
	v_cmpx_lt_u64_e64 s[6:7], v[2:3]
	s_cbranch_execz .LBB49_8
; %bb.72:                               ;   in Loop: Header=BB49_11 Depth=1
	v_lshrrev_b32_e32 v0, 24, v3
	v_bfrev_b32_e32 v15, 1
	s_mov_b32 s31, exec_lo
	s_delay_alu instid0(VALU_DEP_2)
	v_cmpx_ne_u64_e32 0x80, v[0:1]
	s_cbranch_execz .LBB49_7
; %bb.73:                               ;   in Loop: Header=BB49_11 Depth=1
	v_bfe_u32 v4, v3, 24, 7
	v_mov_b32_e32 v15, 0x7f800001
	s_mov_b32 s34, exec_lo
	s_delay_alu instid0(VALU_DEP_2)
	v_cmpx_ne_u32_e32 0x7f, v4
	s_cbranch_execz .LBB49_6
; %bb.74:                               ;   in Loop: Header=BB49_11 Depth=1
	v_lshrrev_b32_e32 v2, 3, v4
	v_cmp_gt_u32_e32 vcc_lo, 8, v4
	v_dual_mov_b32 v5, v1 :: v_dual_mov_b32 v4, v0
	s_and_saveexec_b32 s35, vcc_lo
	s_cbranch_execz .LBB49_5
; %bb.75:                               ;   in Loop: Header=BB49_11 Depth=1
	v_and_b32_e32 v2, 7, v0
	s_delay_alu instid0(VALU_DEP_1) | instskip(NEXT) | instid1(VALU_DEP_1)
	v_clz_i32_u32_e32 v2, v2
	v_min_u32_e32 v2, 32, v2
	s_delay_alu instid0(VALU_DEP_1) | instskip(SKIP_1) | instid1(VALU_DEP_2)
	v_subrev_nc_u32_e32 v4, 28, v2
	v_sub_nc_u32_e32 v2, 29, v2
	v_lshlrev_b64 v[4:5], v4, v[0:1]
	s_branch .LBB49_5
.LBB49_76:
	s_endpgm
	.section	.rodata,"a",@progbits
	.p2align	6, 0x0
	.amdhsa_kernel _ZN4vllm30gather_and_maybe_dequant_cacheIthLNS_18Fp8KVCacheDataTypeE1ELi320ELi64EEEvPKT0_PT_PKiS8_S8_iillllPKfS8_
		.amdhsa_group_segment_fixed_size 0
		.amdhsa_private_segment_fixed_size 64
		.amdhsa_kernarg_size 352
		.amdhsa_user_sgpr_count 15
		.amdhsa_user_sgpr_dispatch_ptr 0
		.amdhsa_user_sgpr_queue_ptr 0
		.amdhsa_user_sgpr_kernarg_segment_ptr 1
		.amdhsa_user_sgpr_dispatch_id 0
		.amdhsa_user_sgpr_private_segment_size 0
		.amdhsa_wavefront_size32 1
		.amdhsa_uses_dynamic_stack 0
		.amdhsa_enable_private_segment 1
		.amdhsa_system_sgpr_workgroup_id_x 1
		.amdhsa_system_sgpr_workgroup_id_y 0
		.amdhsa_system_sgpr_workgroup_id_z 0
		.amdhsa_system_sgpr_workgroup_info 0
		.amdhsa_system_vgpr_workitem_id 0
		.amdhsa_next_free_vgpr 53
		.amdhsa_next_free_sgpr 40
		.amdhsa_reserve_vcc 1
		.amdhsa_float_round_mode_32 0
		.amdhsa_float_round_mode_16_64 0
		.amdhsa_float_denorm_mode_32 3
		.amdhsa_float_denorm_mode_16_64 3
		.amdhsa_dx10_clamp 1
		.amdhsa_ieee_mode 1
		.amdhsa_fp16_overflow 0
		.amdhsa_workgroup_processor_mode 1
		.amdhsa_memory_ordered 1
		.amdhsa_forward_progress 0
		.amdhsa_shared_vgpr_count 0
		.amdhsa_exception_fp_ieee_invalid_op 0
		.amdhsa_exception_fp_denorm_src 0
		.amdhsa_exception_fp_ieee_div_zero 0
		.amdhsa_exception_fp_ieee_overflow 0
		.amdhsa_exception_fp_ieee_underflow 0
		.amdhsa_exception_fp_ieee_inexact 0
		.amdhsa_exception_int_div_zero 0
	.end_amdhsa_kernel
	.section	.text._ZN4vllm30gather_and_maybe_dequant_cacheIthLNS_18Fp8KVCacheDataTypeE1ELi320ELi64EEEvPKT0_PT_PKiS8_S8_iillllPKfS8_,"axG",@progbits,_ZN4vllm30gather_and_maybe_dequant_cacheIthLNS_18Fp8KVCacheDataTypeE1ELi320ELi64EEEvPKT0_PT_PKiS8_S8_iillllPKfS8_,comdat
.Lfunc_end49:
	.size	_ZN4vllm30gather_and_maybe_dequant_cacheIthLNS_18Fp8KVCacheDataTypeE1ELi320ELi64EEEvPKT0_PT_PKiS8_S8_iillllPKfS8_, .Lfunc_end49-_ZN4vllm30gather_and_maybe_dequant_cacheIthLNS_18Fp8KVCacheDataTypeE1ELi320ELi64EEEvPKT0_PT_PKiS8_S8_iillllPKfS8_
                                        ; -- End function
	.section	.AMDGPU.csdata,"",@progbits
; Kernel info:
; codeLenInByte = 2708
; NumSgprs: 42
; NumVgprs: 53
; ScratchSize: 64
; MemoryBound: 0
; FloatMode: 240
; IeeeMode: 1
; LDSByteSize: 0 bytes/workgroup (compile time only)
; SGPRBlocks: 5
; VGPRBlocks: 6
; NumSGPRsForWavesPerEU: 42
; NumVGPRsForWavesPerEU: 53
; Occupancy: 16
; WaveLimiterHint : 1
; COMPUTE_PGM_RSRC2:SCRATCH_EN: 1
; COMPUTE_PGM_RSRC2:USER_SGPR: 15
; COMPUTE_PGM_RSRC2:TRAP_HANDLER: 0
; COMPUTE_PGM_RSRC2:TGID_X_EN: 1
; COMPUTE_PGM_RSRC2:TGID_Y_EN: 0
; COMPUTE_PGM_RSRC2:TGID_Z_EN: 0
; COMPUTE_PGM_RSRC2:TIDIG_COMP_CNT: 0
	.section	.text._ZN4vllm30gather_and_maybe_dequant_cacheI14__hip_bfloat16hLNS_18Fp8KVCacheDataTypeE1ELi320ELi64EEEvPKT0_PT_PKiS9_S9_iillllPKfS9_,"axG",@progbits,_ZN4vllm30gather_and_maybe_dequant_cacheI14__hip_bfloat16hLNS_18Fp8KVCacheDataTypeE1ELi320ELi64EEEvPKT0_PT_PKiS9_S9_iillllPKfS9_,comdat
	.protected	_ZN4vllm30gather_and_maybe_dequant_cacheI14__hip_bfloat16hLNS_18Fp8KVCacheDataTypeE1ELi320ELi64EEEvPKT0_PT_PKiS9_S9_iillllPKfS9_ ; -- Begin function _ZN4vllm30gather_and_maybe_dequant_cacheI14__hip_bfloat16hLNS_18Fp8KVCacheDataTypeE1ELi320ELi64EEEvPKT0_PT_PKiS9_S9_iillllPKfS9_
	.globl	_ZN4vllm30gather_and_maybe_dequant_cacheI14__hip_bfloat16hLNS_18Fp8KVCacheDataTypeE1ELi320ELi64EEEvPKT0_PT_PKiS9_S9_iillllPKfS9_
	.p2align	8
	.type	_ZN4vllm30gather_and_maybe_dequant_cacheI14__hip_bfloat16hLNS_18Fp8KVCacheDataTypeE1ELi320ELi64EEEvPKT0_PT_PKiS9_S9_iillllPKfS9_,@function
_ZN4vllm30gather_and_maybe_dequant_cacheI14__hip_bfloat16hLNS_18Fp8KVCacheDataTypeE1ELi320ELi64EEEvPKT0_PT_PKiS9_S9_iillllPKfS9_: ; @_ZN4vllm30gather_and_maybe_dequant_cacheI14__hip_bfloat16hLNS_18Fp8KVCacheDataTypeE1ELi320ELi64EEEvPKT0_PT_PKiS9_S9_iillllPKfS9_
; %bb.0:
	s_mov_b64 s[18:19], s[0:1]
	s_load_b32 s0, s[0:1], 0x6c
	v_mov_b32_e32 v41, v0
	s_add_u32 s28, s18, 0x60
	s_mov_b32 s24, s15
	s_addc_u32 s29, s19, 0
	s_mov_b32 s32, 0
	s_waitcnt lgkmcnt(0)
	v_cmp_eq_u16_e64 s0, s0, 64
	s_delay_alu instid0(VALU_DEP_1)
	s_and_b32 vcc_lo, exec_lo, s0
	s_mov_b32 s0, -1
	s_cbranch_vccnz .LBB50_2
; %bb.1:
	s_add_u32 s8, s18, 0x60
	s_addc_u32 s9, s19, 0
	s_getpc_b64 s[0:1]
	s_add_u32 s0, s0, .str.2@rel32@lo+4
	s_addc_u32 s1, s1, .str.2@rel32@hi+12
	s_getpc_b64 s[2:3]
	s_add_u32 s2, s2, .str.3@rel32@lo+4
	s_addc_u32 s3, s3, .str.3@rel32@hi+12
	s_getpc_b64 s[4:5]
	s_add_u32 s4, s4, __PRETTY_FUNCTION__._ZN4vllm30gather_and_maybe_dequant_cacheI14__hip_bfloat16hLNS_18Fp8KVCacheDataTypeE1ELi320ELi64EEEvPKT0_PT_PKiS9_S9_iillllPKfS9_@rel32@lo+4
	s_addc_u32 s5, s5, __PRETTY_FUNCTION__._ZN4vllm30gather_and_maybe_dequant_cacheI14__hip_bfloat16hLNS_18Fp8KVCacheDataTypeE1ELi320ELi64EEEvPKT0_PT_PKiS9_S9_iillllPKfS9_@rel32@hi+12
	v_dual_mov_b32 v0, s0 :: v_dual_mov_b32 v1, s1
	v_dual_mov_b32 v2, s2 :: v_dual_mov_b32 v3, s3
	;; [unrolled: 1-line block ×3, first 2 shown]
	v_mov_b32_e32 v6, s5
	s_getpc_b64 s[6:7]
	s_add_u32 s6, s6, __assert_fail@rel32@lo+4
	s_addc_u32 s7, s7, __assert_fail@rel32@hi+12
	s_delay_alu instid0(SALU_CYCLE_1)
	s_swappc_b64 s[30:31], s[6:7]
	; divergent unreachable
	s_mov_b32 s0, 0
.LBB50_2:
	s_delay_alu instid0(SALU_CYCLE_1)
	s_and_not1_b32 vcc_lo, exec_lo, s0
	s_cbranch_vccnz .LBB50_108
; %bb.3:
	s_load_b64 s[2:3], s[18:19], 0x28
	s_waitcnt lgkmcnt(0)
	s_cmp_ge_i32 s24, s2
	s_cbranch_scc1 .LBB50_108
; %bb.4:
	s_clause 0x2
	s_load_b128 s[20:23], s[18:19], 0x50
	s_load_b256 s[4:11], s[18:19], 0x0
	s_load_b64 s[26:27], s[18:19], 0x20
	s_load_b32 s36, s[28:29], 0x0
	s_load_b256 s[12:19], s[18:19], 0x30
	v_lshlrev_b32_e32 v2, 4, v41
	v_cmp_gt_u32_e64 s0, 40, v41
	v_dual_mov_b32 v1, 0 :: v_dual_lshlrev_b32 v10, 3, v41
	s_waitcnt lgkmcnt(0)
	s_cmp_lg_u64 s[22:23], 0
	v_add_co_u32 v8, s6, s6, v2
	s_cselect_b32 s1, -1, 0
	s_abs_i32 s33, s3
	v_add_co_ci_u32_e64 v9, null, s7, 0, s6
	v_cvt_f32_u32_e32 v0, s33
	s_sub_i32 s6, 0, s33
	s_delay_alu instid0(VALU_DEP_1) | instskip(SKIP_2) | instid1(VALU_DEP_1)
	v_rcp_iflag_f32_e32 v0, v0
	s_waitcnt_depctr 0xfff
	v_mul_f32_e32 v0, 0x4f7ffffe, v0
	v_cvt_u32_f32_e32 v0, v0
	s_delay_alu instid0(VALU_DEP_1) | instskip(NEXT) | instid1(VALU_DEP_1)
	v_readfirstlane_b32 s25, v0
	s_mul_i32 s13, s6, s25
	s_mov_b32 s6, -1
	s_mul_hi_u32 s28, s25, s13
	s_mov_b32 s7, 0xffffff
	s_ashr_i32 s13, s3, 31
	s_add_i32 s37, s25, s28
	s_branch .LBB50_8
.LBB50_5:                               ;   in Loop: Header=BB50_8 Depth=1
	s_or_b32 exec_lo, exec_lo, s28
	s_mul_i32 s28, s24, s19
	s_mul_hi_u32 s30, s24, s18
	s_mul_i32 s25, s25, s18
	s_add_i32 s28, s30, s28
	s_mul_i32 s30, s24, s18
	s_add_i32 s31, s28, s25
	v_perm_b32 v5, v0, v15, 0x7060302
	s_lshl_b64 s[30:31], s[30:31], 1
	v_perm_b32 v4, v14, v7, 0x7060302
	v_add_co_u32 v16, vcc_lo, v8, s30
	v_add_co_ci_u32_e32 v17, vcc_lo, s31, v9, vcc_lo
	v_perm_b32 v3, v6, v13, 0x7060302
	v_perm_b32 v2, v12, v11, 0x7060302
	global_store_b128 v[16:17], v[2:5], off
.LBB50_6:                               ;   in Loop: Header=BB50_8 Depth=1
	s_or_b32 exec_lo, exec_lo, s29
	s_add_i32 s24, s24, s36
	s_delay_alu instid0(SALU_CYCLE_1)
	s_cmp_ge_i32 s24, s2
	s_cselect_b32 s29, -1, 0
.LBB50_7:                               ;   in Loop: Header=BB50_8 Depth=1
	s_delay_alu instid0(SALU_CYCLE_1)
	s_and_b32 vcc_lo, exec_lo, s29
	s_cbranch_vccnz .LBB50_108
.LBB50_8:                               ; =>This Inner Loop Header: Depth=1
	s_ashr_i32 s25, s24, 31
	s_delay_alu instid0(SALU_CYCLE_1) | instskip(NEXT) | instid1(SALU_CYCLE_1)
	s_lshl_b64 s[28:29], s[24:25], 2
	s_add_u32 s28, s26, s28
	s_addc_u32 s29, s27, s29
	s_load_b32 s28, s[28:29], 0x0
	s_waitcnt lgkmcnt(0)
	s_ashr_i32 s29, s28, 31
	s_delay_alu instid0(SALU_CYCLE_1)
	s_lshl_b64 s[34:35], s[28:29], 2
	s_mov_b32 s29, -1
	s_add_u32 s30, s10, s34
	s_addc_u32 s31, s11, s35
	s_load_b64 s[30:31], s[30:31], 0x0
	s_waitcnt lgkmcnt(0)
	s_cmp_ge_i32 s24, s31
	s_cbranch_scc1 .LBB50_7
; %bb.9:                                ;   in Loop: Header=BB50_8 Depth=1
	s_and_not1_b32 vcc_lo, exec_lo, s1
	s_cbranch_vccnz .LBB50_11
; %bb.10:                               ;   in Loop: Header=BB50_8 Depth=1
	s_add_u32 s34, s22, s34
	s_addc_u32 s35, s23, s35
	s_load_b32 s31, s[34:35], 0x0
	s_and_saveexec_b32 s29, s0
	s_cbranch_execz .LBB50_6
	s_branch .LBB50_12
.LBB50_11:                              ;   in Loop: Header=BB50_8 Depth=1
	s_mov_b32 s31, 0
	s_and_saveexec_b32 s29, s0
	s_cbranch_execz .LBB50_6
.LBB50_12:                              ;   in Loop: Header=BB50_8 Depth=1
	s_waitcnt lgkmcnt(0)
	s_sub_i32 s30, s31, s30
	s_mul_i32 s28, s28, s12
	s_add_i32 s34, s24, s30
	v_mov_b32_e32 v0, 0
	s_abs_i32 s30, s34
	s_ashr_i32 s35, s34, 31
	s_mul_hi_u32 s31, s30, s37
	s_xor_b32 s35, s35, s13
	s_mul_i32 s38, s31, s33
	s_delay_alu instid0(SALU_CYCLE_1)
	s_sub_i32 s30, s30, s38
	s_add_i32 s38, s31, 1
	s_sub_i32 s39, s30, s33
	s_cmp_ge_u32 s30, s33
	s_cselect_b32 s31, s38, s31
	s_cselect_b32 s30, s39, s30
	s_add_i32 s38, s31, 1
	s_cmp_ge_u32 s30, s33
	s_cselect_b32 s30, s38, s31
	s_delay_alu instid0(SALU_CYCLE_1) | instskip(NEXT) | instid1(SALU_CYCLE_1)
	s_xor_b32 s30, s30, s35
	s_sub_i32 s35, s30, s35
	s_delay_alu instid0(SALU_CYCLE_1) | instskip(SKIP_2) | instid1(SALU_CYCLE_1)
	s_add_i32 s30, s35, s28
	s_mul_i32 s35, s35, s3
	s_ashr_i32 s31, s30, 31
	s_lshl_b64 s[30:31], s[30:31], 2
	s_delay_alu instid0(SALU_CYCLE_1)
	s_add_u32 s30, s8, s30
	s_addc_u32 s31, s9, s31
	s_load_b32 s28, s[30:31], 0x0
	s_waitcnt lgkmcnt(0)
	s_mul_i32 s30, s28, s15
	s_mul_hi_u32 s31, s28, s14
	s_ashr_i32 s38, s28, 31
	s_add_i32 s30, s31, s30
	s_mul_i32 s38, s38, s14
	s_mul_i32 s28, s28, s14
	s_add_i32 s30, s30, s38
	s_add_u32 s28, s4, s28
	s_addc_u32 s31, s5, s30
	s_sub_i32 s30, s34, s35
	s_delay_alu instid0(SALU_CYCLE_1)
	s_mul_i32 s34, s30, s17
	s_mul_hi_u32 s35, s30, s16
	s_ashr_i32 s38, s30, 31
	s_add_i32 s34, s35, s34
	s_mul_i32 s38, s38, s16
	s_mul_i32 s30, s30, s16
	s_add_i32 s34, s34, s38
	s_add_u32 s30, s28, s30
	s_addc_u32 s31, s31, s34
	s_load_b32 s28, s[20:21], 0x0
	global_load_b64 v[2:3], v10, s[30:31]
	s_mov_b32 s30, exec_lo
	s_waitcnt vmcnt(0)
	v_and_b32_e32 v4, 0xff, v2
	s_delay_alu instid0(VALU_DEP_1)
	v_cmpx_ne_u16_e32 0, v4
	s_cbranch_execz .LBB50_20
; %bb.13:                               ;   in Loop: Header=BB50_8 Depth=1
	v_bfrev_b32_e32 v0, 1
	s_mov_b32 s31, exec_lo
	v_cmpx_ne_u16_e32 0x80, v4
	s_cbranch_execz .LBB50_19
; %bb.14:                               ;   in Loop: Header=BB50_8 Depth=1
	v_and_b32_e32 v4, 0x7f, v2
	v_mov_b32_e32 v0, 0x7f800001
	s_mov_b32 s34, exec_lo
	s_delay_alu instid0(VALU_DEP_2)
	v_cmpx_ne_u32_e32 0x7f, v4
	s_cbranch_execz .LBB50_18
; %bb.15:                               ;   in Loop: Header=BB50_8 Depth=1
	v_lshrrev_b32_e32 v0, 3, v4
	v_cmp_gt_u32_e32 vcc_lo, 8, v4
	v_dual_mov_b32 v5, v3 :: v_dual_mov_b32 v4, v2
	s_and_saveexec_b32 s35, vcc_lo
; %bb.16:                               ;   in Loop: Header=BB50_8 Depth=1
	v_and_b32_e32 v0, 7, v2
	s_delay_alu instid0(VALU_DEP_1) | instskip(NEXT) | instid1(VALU_DEP_1)
	v_clz_i32_u32_e32 v0, v0
	v_min_u32_e32 v0, 32, v0
	s_delay_alu instid0(VALU_DEP_1) | instskip(SKIP_1) | instid1(VALU_DEP_2)
	v_subrev_nc_u32_e32 v4, 28, v0
	v_sub_nc_u32_e32 v0, 29, v0
	v_lshlrev_b64 v[4:5], v4, v[2:3]
; %bb.17:                               ;   in Loop: Header=BB50_8 Depth=1
	s_or_b32 exec_lo, exec_lo, s35
	s_delay_alu instid0(VALU_DEP_1) | instskip(SKIP_2) | instid1(VALU_DEP_3)
	v_lshlrev_b32_e32 v4, 20, v4
	v_lshlrev_b32_e32 v5, 24, v2
	v_lshl_add_u32 v0, v0, 23, 0x3c000000
	v_and_b32_e32 v4, 0x700000, v4
	s_delay_alu instid0(VALU_DEP_3) | instskip(NEXT) | instid1(VALU_DEP_1)
	v_and_b32_e32 v5, 0x80000000, v5
	v_or3_b32 v0, v4, v5, v0
.LBB50_18:                              ;   in Loop: Header=BB50_8 Depth=1
	s_or_b32 exec_lo, exec_lo, s34
.LBB50_19:                              ;   in Loop: Header=BB50_8 Depth=1
	s_delay_alu instid0(SALU_CYCLE_1)
	s_or_b32 exec_lo, exec_lo, s31
.LBB50_20:                              ;   in Loop: Header=BB50_8 Depth=1
	s_delay_alu instid0(SALU_CYCLE_1) | instskip(SKIP_3) | instid1(VALU_DEP_1)
	s_or_b32 exec_lo, exec_lo, s30
	s_waitcnt lgkmcnt(0)
	v_mul_f32_e32 v0, s28, v0
	s_mov_b32 s30, exec_lo
                                        ; implicit-def: $vgpr11
	v_and_b32_e32 v4, 0x7f800000, v0
	s_delay_alu instid0(VALU_DEP_1)
	v_cmpx_ne_u32_e32 0x7f800000, v4
	s_xor_b32 s30, exec_lo, s30
; %bb.21:                               ;   in Loop: Header=BB50_8 Depth=1
	v_bfe_u32 v4, v0, 16, 1
	s_delay_alu instid0(VALU_DEP_1)
	v_add3_u32 v11, v0, v4, 0x7fff
                                        ; implicit-def: $vgpr0
; %bb.22:                               ;   in Loop: Header=BB50_8 Depth=1
	s_and_not1_saveexec_b32 s30, s30
; %bb.23:                               ;   in Loop: Header=BB50_8 Depth=1
	v_and_b32_e32 v4, 0xffff, v0
	v_or_b32_e32 v5, 0x10000, v0
	s_delay_alu instid0(VALU_DEP_2) | instskip(NEXT) | instid1(VALU_DEP_2)
	v_cmp_eq_u32_e32 vcc_lo, 0, v4
	v_cndmask_b32_e32 v11, v5, v0, vcc_lo
; %bb.24:                               ;   in Loop: Header=BB50_8 Depth=1
	s_or_b32 exec_lo, exec_lo, s30
	v_lshrrev_b32_e32 v0, 8, v2
	s_mov_b32 s30, exec_lo
	s_delay_alu instid0(VALU_DEP_1) | instskip(SKIP_1) | instid1(VALU_DEP_2)
	v_and_b32_e32 v4, 0xff, v0
	v_mov_b32_e32 v0, 0
	v_cmpx_ne_u16_e32 0, v4
	s_cbranch_execz .LBB50_32
; %bb.25:                               ;   in Loop: Header=BB50_8 Depth=1
	v_bfrev_b32_e32 v0, 1
	s_mov_b32 s31, exec_lo
	v_cmpx_ne_u16_e32 0x80, v4
	s_cbranch_execz .LBB50_31
; %bb.26:                               ;   in Loop: Header=BB50_8 Depth=1
	v_alignbit_b32 v12, v3, v2, 8
	v_mov_b32_e32 v0, 0x7f800001
	s_mov_b32 s34, exec_lo
	s_delay_alu instid0(VALU_DEP_2) | instskip(NEXT) | instid1(VALU_DEP_1)
	v_and_b32_e32 v6, 0x7f, v12
	v_cmpx_ne_u32_e32 0x7f, v6
	s_cbranch_execz .LBB50_30
; %bb.27:                               ;   in Loop: Header=BB50_8 Depth=1
	v_lshrrev_b64 v[4:5], 8, v[2:3]
	v_lshrrev_b32_e32 v0, 3, v6
	v_cmp_gt_u32_e32 vcc_lo, 8, v6
	s_delay_alu instid0(VALU_DEP_3)
	v_dual_mov_b32 v7, v5 :: v_dual_mov_b32 v6, v4
	s_and_saveexec_b32 s35, vcc_lo
; %bb.28:                               ;   in Loop: Header=BB50_8 Depth=1
	v_and_b32_e32 v0, 7, v12
	s_delay_alu instid0(VALU_DEP_1) | instskip(NEXT) | instid1(VALU_DEP_1)
	v_clz_i32_u32_e32 v0, v0
	v_min_u32_e32 v0, 32, v0
	s_delay_alu instid0(VALU_DEP_1) | instskip(SKIP_1) | instid1(VALU_DEP_2)
	v_subrev_nc_u32_e32 v6, 28, v0
	v_sub_nc_u32_e32 v0, 29, v0
	v_lshlrev_b64 v[6:7], v6, v[4:5]
; %bb.29:                               ;   in Loop: Header=BB50_8 Depth=1
	s_or_b32 exec_lo, exec_lo, s35
	s_delay_alu instid0(VALU_DEP_1) | instskip(SKIP_2) | instid1(VALU_DEP_3)
	v_lshlrev_b32_e32 v5, 20, v6
	v_lshlrev_b32_e32 v4, 24, v4
	v_lshl_add_u32 v0, v0, 23, 0x3c000000
	v_and_b32_e32 v5, 0x700000, v5
	s_delay_alu instid0(VALU_DEP_3) | instskip(NEXT) | instid1(VALU_DEP_1)
	v_and_b32_e32 v4, 0x80000000, v4
	v_or3_b32 v0, v5, v4, v0
.LBB50_30:                              ;   in Loop: Header=BB50_8 Depth=1
	s_or_b32 exec_lo, exec_lo, s34
.LBB50_31:                              ;   in Loop: Header=BB50_8 Depth=1
	s_delay_alu instid0(SALU_CYCLE_1)
	s_or_b32 exec_lo, exec_lo, s31
.LBB50_32:                              ;   in Loop: Header=BB50_8 Depth=1
	s_delay_alu instid0(SALU_CYCLE_1) | instskip(NEXT) | instid1(VALU_DEP_1)
	s_or_b32 exec_lo, exec_lo, s30
	v_mul_f32_e32 v0, s28, v0
	s_mov_b32 s30, exec_lo
                                        ; implicit-def: $vgpr12
	s_delay_alu instid0(VALU_DEP_1) | instskip(NEXT) | instid1(VALU_DEP_1)
	v_and_b32_e32 v4, 0x7f800000, v0
	v_cmpx_ne_u32_e32 0x7f800000, v4
	s_xor_b32 s30, exec_lo, s30
; %bb.33:                               ;   in Loop: Header=BB50_8 Depth=1
	v_bfe_u32 v4, v0, 16, 1
	s_delay_alu instid0(VALU_DEP_1)
	v_add3_u32 v12, v0, v4, 0x7fff
                                        ; implicit-def: $vgpr0
; %bb.34:                               ;   in Loop: Header=BB50_8 Depth=1
	s_and_not1_saveexec_b32 s30, s30
; %bb.35:                               ;   in Loop: Header=BB50_8 Depth=1
	v_and_b32_e32 v4, 0xffff, v0
	v_or_b32_e32 v5, 0x10000, v0
	s_delay_alu instid0(VALU_DEP_2) | instskip(NEXT) | instid1(VALU_DEP_2)
	v_cmp_eq_u32_e32 vcc_lo, 0, v4
	v_cndmask_b32_e32 v12, v5, v0, vcc_lo
; %bb.36:                               ;   in Loop: Header=BB50_8 Depth=1
	s_or_b32 exec_lo, exec_lo, s30
	v_lshrrev_b32_e32 v0, 16, v2
	s_mov_b32 s30, exec_lo
	s_delay_alu instid0(VALU_DEP_1) | instskip(SKIP_1) | instid1(VALU_DEP_2)
	v_and_b32_e32 v4, 0xff, v0
	v_mov_b32_e32 v0, 0
	v_cmpx_ne_u16_e32 0, v4
	s_cbranch_execz .LBB50_44
; %bb.37:                               ;   in Loop: Header=BB50_8 Depth=1
	v_bfrev_b32_e32 v0, 1
	s_mov_b32 s31, exec_lo
	v_cmpx_ne_u16_e32 0x80, v4
	s_cbranch_execz .LBB50_43
; %bb.38:                               ;   in Loop: Header=BB50_8 Depth=1
	v_alignbit_b32 v13, v3, v2, 16
	v_mov_b32_e32 v0, 0x7f800001
	s_mov_b32 s34, exec_lo
	s_delay_alu instid0(VALU_DEP_2) | instskip(NEXT) | instid1(VALU_DEP_1)
	v_and_b32_e32 v6, 0x7f, v13
	v_cmpx_ne_u32_e32 0x7f, v6
	s_cbranch_execz .LBB50_42
; %bb.39:                               ;   in Loop: Header=BB50_8 Depth=1
	v_lshrrev_b64 v[4:5], 16, v[2:3]
	v_lshrrev_b32_e32 v0, 3, v6
	v_cmp_gt_u32_e32 vcc_lo, 8, v6
	s_delay_alu instid0(VALU_DEP_3)
	v_dual_mov_b32 v7, v5 :: v_dual_mov_b32 v6, v4
	s_and_saveexec_b32 s35, vcc_lo
; %bb.40:                               ;   in Loop: Header=BB50_8 Depth=1
	v_and_b32_e32 v0, 7, v13
	s_delay_alu instid0(VALU_DEP_1) | instskip(NEXT) | instid1(VALU_DEP_1)
	v_clz_i32_u32_e32 v0, v0
	v_min_u32_e32 v0, 32, v0
	s_delay_alu instid0(VALU_DEP_1) | instskip(SKIP_1) | instid1(VALU_DEP_2)
	v_subrev_nc_u32_e32 v6, 28, v0
	v_sub_nc_u32_e32 v0, 29, v0
	v_lshlrev_b64 v[6:7], v6, v[4:5]
; %bb.41:                               ;   in Loop: Header=BB50_8 Depth=1
	s_or_b32 exec_lo, exec_lo, s35
	s_delay_alu instid0(VALU_DEP_1) | instskip(SKIP_2) | instid1(VALU_DEP_3)
	v_lshlrev_b32_e32 v5, 20, v6
	v_lshlrev_b32_e32 v4, 24, v4
	v_lshl_add_u32 v0, v0, 23, 0x3c000000
	v_and_b32_e32 v5, 0x700000, v5
	s_delay_alu instid0(VALU_DEP_3) | instskip(NEXT) | instid1(VALU_DEP_1)
	v_and_b32_e32 v4, 0x80000000, v4
	v_or3_b32 v0, v5, v4, v0
.LBB50_42:                              ;   in Loop: Header=BB50_8 Depth=1
	s_or_b32 exec_lo, exec_lo, s34
.LBB50_43:                              ;   in Loop: Header=BB50_8 Depth=1
	s_delay_alu instid0(SALU_CYCLE_1)
	s_or_b32 exec_lo, exec_lo, s31
.LBB50_44:                              ;   in Loop: Header=BB50_8 Depth=1
	s_delay_alu instid0(SALU_CYCLE_1) | instskip(NEXT) | instid1(VALU_DEP_1)
	s_or_b32 exec_lo, exec_lo, s30
	v_mul_f32_e32 v0, s28, v0
	s_mov_b32 s30, exec_lo
                                        ; implicit-def: $vgpr13
	s_delay_alu instid0(VALU_DEP_1) | instskip(NEXT) | instid1(VALU_DEP_1)
	v_and_b32_e32 v4, 0x7f800000, v0
	v_cmpx_ne_u32_e32 0x7f800000, v4
	s_xor_b32 s30, exec_lo, s30
; %bb.45:                               ;   in Loop: Header=BB50_8 Depth=1
	v_bfe_u32 v4, v0, 16, 1
	s_delay_alu instid0(VALU_DEP_1)
	v_add3_u32 v13, v0, v4, 0x7fff
                                        ; implicit-def: $vgpr0
; %bb.46:                               ;   in Loop: Header=BB50_8 Depth=1
	s_and_not1_saveexec_b32 s30, s30
; %bb.47:                               ;   in Loop: Header=BB50_8 Depth=1
	v_and_b32_e32 v4, 0xffff, v0
	v_or_b32_e32 v5, 0x10000, v0
	s_delay_alu instid0(VALU_DEP_2) | instskip(NEXT) | instid1(VALU_DEP_2)
	v_cmp_eq_u32_e32 vcc_lo, 0, v4
	v_cndmask_b32_e32 v13, v5, v0, vcc_lo
; %bb.48:                               ;   in Loop: Header=BB50_8 Depth=1
	s_or_b32 exec_lo, exec_lo, s30
	v_lshrrev_b32_e32 v4, 24, v2
	v_mov_b32_e32 v0, 0
	s_mov_b32 s30, exec_lo
	s_delay_alu instid0(VALU_DEP_2)
	v_cmpx_ne_u16_e32 0, v4
	s_cbranch_execz .LBB50_56
; %bb.49:                               ;   in Loop: Header=BB50_8 Depth=1
	v_bfrev_b32_e32 v0, 1
	s_mov_b32 s31, exec_lo
	v_cmpx_ne_u16_e32 0x80, v4
	s_cbranch_execz .LBB50_55
; %bb.50:                               ;   in Loop: Header=BB50_8 Depth=1
	v_alignbit_b32 v14, v3, v2, 24
	v_mov_b32_e32 v0, 0x7f800001
	s_mov_b32 s34, exec_lo
	s_delay_alu instid0(VALU_DEP_2) | instskip(NEXT) | instid1(VALU_DEP_1)
	v_and_b32_e32 v6, 0x7f, v14
	v_cmpx_ne_u32_e32 0x7f, v6
	s_cbranch_execz .LBB50_54
; %bb.51:                               ;   in Loop: Header=BB50_8 Depth=1
	v_lshrrev_b64 v[4:5], 24, v[2:3]
	v_lshrrev_b32_e32 v0, 3, v6
	v_cmp_gt_u32_e32 vcc_lo, 8, v6
	s_delay_alu instid0(VALU_DEP_3)
	v_dual_mov_b32 v7, v5 :: v_dual_mov_b32 v6, v4
	s_and_saveexec_b32 s35, vcc_lo
; %bb.52:                               ;   in Loop: Header=BB50_8 Depth=1
	v_and_b32_e32 v0, 7, v14
	s_delay_alu instid0(VALU_DEP_1) | instskip(NEXT) | instid1(VALU_DEP_1)
	v_clz_i32_u32_e32 v0, v0
	v_min_u32_e32 v0, 32, v0
	s_delay_alu instid0(VALU_DEP_1) | instskip(SKIP_1) | instid1(VALU_DEP_2)
	v_subrev_nc_u32_e32 v6, 28, v0
	v_sub_nc_u32_e32 v0, 29, v0
	v_lshlrev_b64 v[6:7], v6, v[4:5]
; %bb.53:                               ;   in Loop: Header=BB50_8 Depth=1
	s_or_b32 exec_lo, exec_lo, s35
	s_delay_alu instid0(VALU_DEP_1) | instskip(SKIP_2) | instid1(VALU_DEP_3)
	v_lshlrev_b32_e32 v5, 20, v6
	v_lshlrev_b32_e32 v4, 24, v4
	v_lshl_add_u32 v0, v0, 23, 0x3c000000
	v_and_b32_e32 v5, 0x700000, v5
	s_delay_alu instid0(VALU_DEP_3) | instskip(NEXT) | instid1(VALU_DEP_1)
	v_and_b32_e32 v4, 0x80000000, v4
	v_or3_b32 v0, v5, v4, v0
.LBB50_54:                              ;   in Loop: Header=BB50_8 Depth=1
	s_or_b32 exec_lo, exec_lo, s34
.LBB50_55:                              ;   in Loop: Header=BB50_8 Depth=1
	s_delay_alu instid0(SALU_CYCLE_1)
	s_or_b32 exec_lo, exec_lo, s31
.LBB50_56:                              ;   in Loop: Header=BB50_8 Depth=1
	s_delay_alu instid0(SALU_CYCLE_1) | instskip(NEXT) | instid1(VALU_DEP_1)
	s_or_b32 exec_lo, exec_lo, s30
	v_mul_f32_e32 v0, s28, v0
	s_mov_b32 s30, exec_lo
                                        ; implicit-def: $vgpr6
	s_delay_alu instid0(VALU_DEP_1) | instskip(NEXT) | instid1(VALU_DEP_1)
	v_and_b32_e32 v4, 0x7f800000, v0
	v_cmpx_ne_u32_e32 0x7f800000, v4
	s_xor_b32 s30, exec_lo, s30
; %bb.57:                               ;   in Loop: Header=BB50_8 Depth=1
	v_bfe_u32 v4, v0, 16, 1
	s_delay_alu instid0(VALU_DEP_1)
	v_add3_u32 v6, v0, v4, 0x7fff
                                        ; implicit-def: $vgpr0
; %bb.58:                               ;   in Loop: Header=BB50_8 Depth=1
	s_and_not1_saveexec_b32 s30, s30
; %bb.59:                               ;   in Loop: Header=BB50_8 Depth=1
	v_and_b32_e32 v4, 0xffff, v0
	v_or_b32_e32 v5, 0x10000, v0
	s_delay_alu instid0(VALU_DEP_2) | instskip(NEXT) | instid1(VALU_DEP_2)
	v_cmp_eq_u32_e32 vcc_lo, 0, v4
	v_cndmask_b32_e32 v6, v5, v0, vcc_lo
; %bb.60:                               ;   in Loop: Header=BB50_8 Depth=1
	s_or_b32 exec_lo, exec_lo, s30
	v_and_b32_e32 v4, 0xff, v3
	v_mov_b32_e32 v0, 0
	s_mov_b32 s30, exec_lo
	s_delay_alu instid0(VALU_DEP_2)
	v_cmpx_ne_u16_e32 0, v4
	s_cbranch_execz .LBB50_68
; %bb.61:                               ;   in Loop: Header=BB50_8 Depth=1
	v_bfrev_b32_e32 v0, 1
	s_mov_b32 s31, exec_lo
	v_cmpx_ne_u16_e32 0x80, v4
	s_cbranch_execz .LBB50_67
; %bb.62:                               ;   in Loop: Header=BB50_8 Depth=1
	v_and_b32_e32 v4, 0x7f, v3
	v_mov_b32_e32 v0, 0x7f800001
	s_mov_b32 s34, exec_lo
	s_delay_alu instid0(VALU_DEP_2)
	v_cmpx_ne_u32_e32 0x7f, v4
	s_cbranch_execz .LBB50_66
; %bb.63:                               ;   in Loop: Header=BB50_8 Depth=1
	v_mov_b32_e32 v0, v3
	v_lshrrev_b32_e32 v7, 3, v4
	v_cmp_gt_u32_e32 vcc_lo, 8, v4
	s_delay_alu instid0(VALU_DEP_3)
	v_dual_mov_b32 v5, v1 :: v_dual_mov_b32 v4, v0
	s_and_saveexec_b32 s35, vcc_lo
; %bb.64:                               ;   in Loop: Header=BB50_8 Depth=1
	v_and_b32_e32 v4, 7, v3
	s_delay_alu instid0(VALU_DEP_1) | instskip(NEXT) | instid1(VALU_DEP_1)
	v_clz_i32_u32_e32 v4, v4
	v_min_u32_e32 v7, 32, v4
	s_delay_alu instid0(VALU_DEP_1) | instskip(SKIP_1) | instid1(VALU_DEP_2)
	v_subrev_nc_u32_e32 v4, 28, v7
	v_sub_nc_u32_e32 v7, 29, v7
	v_lshlrev_b64 v[4:5], v4, v[0:1]
; %bb.65:                               ;   in Loop: Header=BB50_8 Depth=1
	s_or_b32 exec_lo, exec_lo, s35
	s_delay_alu instid0(VALU_DEP_1) | instskip(SKIP_2) | instid1(VALU_DEP_3)
	v_lshlrev_b32_e32 v4, 20, v4
	v_lshlrev_b32_e32 v0, 24, v0
	v_lshl_add_u32 v5, v7, 23, 0x3c000000
	v_and_b32_e32 v4, 0x700000, v4
	s_delay_alu instid0(VALU_DEP_3) | instskip(NEXT) | instid1(VALU_DEP_1)
	v_and_b32_e32 v0, 0x80000000, v0
	v_or3_b32 v0, v4, v0, v5
.LBB50_66:                              ;   in Loop: Header=BB50_8 Depth=1
	s_or_b32 exec_lo, exec_lo, s34
.LBB50_67:                              ;   in Loop: Header=BB50_8 Depth=1
	s_delay_alu instid0(SALU_CYCLE_1)
	s_or_b32 exec_lo, exec_lo, s31
.LBB50_68:                              ;   in Loop: Header=BB50_8 Depth=1
	s_delay_alu instid0(SALU_CYCLE_1) | instskip(NEXT) | instid1(VALU_DEP_1)
	s_or_b32 exec_lo, exec_lo, s30
	v_mul_f32_e32 v0, s28, v0
	s_mov_b32 s30, exec_lo
                                        ; implicit-def: $vgpr7
	s_delay_alu instid0(VALU_DEP_1) | instskip(NEXT) | instid1(VALU_DEP_1)
	v_and_b32_e32 v4, 0x7f800000, v0
	v_cmpx_ne_u32_e32 0x7f800000, v4
	s_xor_b32 s30, exec_lo, s30
; %bb.69:                               ;   in Loop: Header=BB50_8 Depth=1
	v_bfe_u32 v4, v0, 16, 1
	s_delay_alu instid0(VALU_DEP_1)
	v_add3_u32 v7, v0, v4, 0x7fff
                                        ; implicit-def: $vgpr0
; %bb.70:                               ;   in Loop: Header=BB50_8 Depth=1
	s_and_not1_saveexec_b32 s30, s30
; %bb.71:                               ;   in Loop: Header=BB50_8 Depth=1
	v_and_b32_e32 v4, 0xffff, v0
	v_or_b32_e32 v5, 0x10000, v0
	s_delay_alu instid0(VALU_DEP_2) | instskip(NEXT) | instid1(VALU_DEP_2)
	v_cmp_eq_u32_e32 vcc_lo, 0, v4
	v_cndmask_b32_e32 v7, v5, v0, vcc_lo
; %bb.72:                               ;   in Loop: Header=BB50_8 Depth=1
	s_or_b32 exec_lo, exec_lo, s30
	v_lshrrev_b32_e32 v0, 8, v3
	s_mov_b32 s30, exec_lo
	s_delay_alu instid0(VALU_DEP_1) | instskip(NEXT) | instid1(VALU_DEP_1)
	v_dual_mov_b32 v4, 0 :: v_dual_and_b32 v5, 0xff, v0
	v_cmpx_ne_u16_e32 0, v5
	s_cbranch_execz .LBB50_80
; %bb.73:                               ;   in Loop: Header=BB50_8 Depth=1
	v_bfrev_b32_e32 v4, 1
	s_mov_b32 s31, exec_lo
	v_cmpx_ne_u16_e32 0x80, v5
	s_cbranch_execz .LBB50_79
; %bb.74:                               ;   in Loop: Header=BB50_8 Depth=1
	v_bfe_u32 v5, v3, 8, 7
	v_mov_b32_e32 v4, 0x7f800001
	s_mov_b32 s34, exec_lo
	s_delay_alu instid0(VALU_DEP_2)
	v_cmpx_ne_u32_e32 0x7f, v5
	s_cbranch_execz .LBB50_78
; %bb.75:                               ;   in Loop: Header=BB50_8 Depth=1
	v_lshrrev_b32_e32 v14, 3, v5
	v_cmp_gt_u32_e32 vcc_lo, 8, v5
	v_dual_mov_b32 v5, v1 :: v_dual_mov_b32 v4, v0
	s_and_saveexec_b32 s35, vcc_lo
; %bb.76:                               ;   in Loop: Header=BB50_8 Depth=1
	v_and_b32_e32 v4, 7, v0
	s_delay_alu instid0(VALU_DEP_1) | instskip(NEXT) | instid1(VALU_DEP_1)
	v_clz_i32_u32_e32 v4, v4
	v_min_u32_e32 v14, 32, v4
	s_delay_alu instid0(VALU_DEP_1) | instskip(SKIP_1) | instid1(VALU_DEP_2)
	v_subrev_nc_u32_e32 v4, 28, v14
	v_sub_nc_u32_e32 v14, 29, v14
	v_lshlrev_b64 v[4:5], v4, v[0:1]
; %bb.77:                               ;   in Loop: Header=BB50_8 Depth=1
	s_or_b32 exec_lo, exec_lo, s35
	s_delay_alu instid0(VALU_DEP_1) | instskip(SKIP_2) | instid1(VALU_DEP_3)
	v_lshlrev_b32_e32 v4, 20, v4
	v_lshlrev_b32_e32 v0, 24, v0
	v_lshl_add_u32 v5, v14, 23, 0x3c000000
	v_and_b32_e32 v4, 0x700000, v4
	s_delay_alu instid0(VALU_DEP_3) | instskip(NEXT) | instid1(VALU_DEP_1)
	v_and_b32_e32 v0, 0x80000000, v0
	v_or3_b32 v4, v4, v0, v5
.LBB50_78:                              ;   in Loop: Header=BB50_8 Depth=1
	s_or_b32 exec_lo, exec_lo, s34
.LBB50_79:                              ;   in Loop: Header=BB50_8 Depth=1
	s_delay_alu instid0(SALU_CYCLE_1)
	s_or_b32 exec_lo, exec_lo, s31
.LBB50_80:                              ;   in Loop: Header=BB50_8 Depth=1
	s_delay_alu instid0(SALU_CYCLE_1) | instskip(NEXT) | instid1(VALU_DEP_1)
	s_or_b32 exec_lo, exec_lo, s30
	v_mul_f32_e32 v0, s28, v4
	s_mov_b32 s30, exec_lo
                                        ; implicit-def: $vgpr14
	s_delay_alu instid0(VALU_DEP_1) | instskip(NEXT) | instid1(VALU_DEP_1)
	v_and_b32_e32 v4, 0x7f800000, v0
	v_cmpx_ne_u32_e32 0x7f800000, v4
	s_xor_b32 s30, exec_lo, s30
; %bb.81:                               ;   in Loop: Header=BB50_8 Depth=1
	v_bfe_u32 v4, v0, 16, 1
	s_delay_alu instid0(VALU_DEP_1)
	v_add3_u32 v14, v0, v4, 0x7fff
                                        ; implicit-def: $vgpr0
; %bb.82:                               ;   in Loop: Header=BB50_8 Depth=1
	s_and_not1_saveexec_b32 s30, s30
; %bb.83:                               ;   in Loop: Header=BB50_8 Depth=1
	v_and_b32_e32 v4, 0xffff, v0
	v_or_b32_e32 v5, 0x10000, v0
	s_delay_alu instid0(VALU_DEP_2) | instskip(NEXT) | instid1(VALU_DEP_2)
	v_cmp_eq_u32_e32 vcc_lo, 0, v4
	v_cndmask_b32_e32 v14, v5, v0, vcc_lo
; %bb.84:                               ;   in Loop: Header=BB50_8 Depth=1
	s_or_b32 exec_lo, exec_lo, s30
	v_lshrrev_b32_e32 v0, 16, v3
	s_mov_b32 s30, exec_lo
	s_delay_alu instid0(VALU_DEP_1) | instskip(NEXT) | instid1(VALU_DEP_1)
	v_dual_mov_b32 v4, 0 :: v_dual_and_b32 v5, 0xff, v0
	v_cmpx_ne_u16_e32 0, v5
	s_cbranch_execz .LBB50_92
; %bb.85:                               ;   in Loop: Header=BB50_8 Depth=1
	v_bfrev_b32_e32 v4, 1
	s_mov_b32 s31, exec_lo
	v_cmpx_ne_u16_e32 0x80, v5
	s_cbranch_execz .LBB50_91
; %bb.86:                               ;   in Loop: Header=BB50_8 Depth=1
	v_bfe_u32 v5, v3, 16, 7
	v_mov_b32_e32 v4, 0x7f800001
	s_mov_b32 s34, exec_lo
	s_delay_alu instid0(VALU_DEP_2)
	v_cmpx_ne_u32_e32 0x7f, v5
	s_cbranch_execz .LBB50_90
; %bb.87:                               ;   in Loop: Header=BB50_8 Depth=1
	v_lshrrev_b32_e32 v15, 3, v5
	v_cmp_gt_u32_e32 vcc_lo, 8, v5
	v_dual_mov_b32 v5, v1 :: v_dual_mov_b32 v4, v0
	s_and_saveexec_b32 s35, vcc_lo
; %bb.88:                               ;   in Loop: Header=BB50_8 Depth=1
	v_and_b32_e32 v4, 7, v0
	s_delay_alu instid0(VALU_DEP_1) | instskip(NEXT) | instid1(VALU_DEP_1)
	v_clz_i32_u32_e32 v4, v4
	v_min_u32_e32 v15, 32, v4
	s_delay_alu instid0(VALU_DEP_1) | instskip(SKIP_1) | instid1(VALU_DEP_2)
	v_subrev_nc_u32_e32 v4, 28, v15
	v_sub_nc_u32_e32 v15, 29, v15
	v_lshlrev_b64 v[4:5], v4, v[0:1]
; %bb.89:                               ;   in Loop: Header=BB50_8 Depth=1
	s_or_b32 exec_lo, exec_lo, s35
	s_delay_alu instid0(VALU_DEP_1) | instskip(SKIP_2) | instid1(VALU_DEP_3)
	v_lshlrev_b32_e32 v4, 20, v4
	v_lshlrev_b32_e32 v0, 24, v0
	v_lshl_add_u32 v5, v15, 23, 0x3c000000
	v_and_b32_e32 v4, 0x700000, v4
	s_delay_alu instid0(VALU_DEP_3) | instskip(NEXT) | instid1(VALU_DEP_1)
	v_and_b32_e32 v0, 0x80000000, v0
	v_or3_b32 v4, v4, v0, v5
.LBB50_90:                              ;   in Loop: Header=BB50_8 Depth=1
	s_or_b32 exec_lo, exec_lo, s34
.LBB50_91:                              ;   in Loop: Header=BB50_8 Depth=1
	s_delay_alu instid0(SALU_CYCLE_1)
	s_or_b32 exec_lo, exec_lo, s31
.LBB50_92:                              ;   in Loop: Header=BB50_8 Depth=1
	s_delay_alu instid0(SALU_CYCLE_1) | instskip(NEXT) | instid1(VALU_DEP_1)
	s_or_b32 exec_lo, exec_lo, s30
	v_mul_f32_e32 v0, s28, v4
	s_mov_b32 s30, exec_lo
                                        ; implicit-def: $vgpr15
	s_delay_alu instid0(VALU_DEP_1) | instskip(NEXT) | instid1(VALU_DEP_1)
	v_and_b32_e32 v4, 0x7f800000, v0
	v_cmpx_ne_u32_e32 0x7f800000, v4
	s_xor_b32 s30, exec_lo, s30
; %bb.93:                               ;   in Loop: Header=BB50_8 Depth=1
	v_bfe_u32 v4, v0, 16, 1
	s_delay_alu instid0(VALU_DEP_1)
	v_add3_u32 v15, v0, v4, 0x7fff
                                        ; implicit-def: $vgpr0
; %bb.94:                               ;   in Loop: Header=BB50_8 Depth=1
	s_and_not1_saveexec_b32 s30, s30
; %bb.95:                               ;   in Loop: Header=BB50_8 Depth=1
	v_and_b32_e32 v4, 0xffff, v0
	v_or_b32_e32 v5, 0x10000, v0
	s_delay_alu instid0(VALU_DEP_2) | instskip(NEXT) | instid1(VALU_DEP_2)
	v_cmp_eq_u32_e32 vcc_lo, 0, v4
	v_cndmask_b32_e32 v15, v5, v0, vcc_lo
; %bb.96:                               ;   in Loop: Header=BB50_8 Depth=1
	s_or_b32 exec_lo, exec_lo, s30
	v_cmp_lt_u64_e32 vcc_lo, s[6:7], v[2:3]
	v_mov_b32_e32 v2, 0
	s_and_saveexec_b32 s30, vcc_lo
	s_cbranch_execz .LBB50_104
; %bb.97:                               ;   in Loop: Header=BB50_8 Depth=1
	v_lshrrev_b32_e32 v0, 24, v3
	v_bfrev_b32_e32 v2, 1
	s_mov_b32 s31, exec_lo
	s_delay_alu instid0(VALU_DEP_2)
	v_cmpx_ne_u64_e32 0x80, v[0:1]
	s_cbranch_execz .LBB50_103
; %bb.98:                               ;   in Loop: Header=BB50_8 Depth=1
	v_bfe_u32 v4, v3, 24, 7
	v_mov_b32_e32 v2, 0x7f800001
	s_mov_b32 s34, exec_lo
	s_delay_alu instid0(VALU_DEP_2)
	v_cmpx_ne_u32_e32 0x7f, v4
	s_cbranch_execz .LBB50_102
; %bb.99:                               ;   in Loop: Header=BB50_8 Depth=1
	v_lshrrev_b32_e32 v2, 3, v4
	v_cmp_gt_u32_e32 vcc_lo, 8, v4
	v_dual_mov_b32 v5, v1 :: v_dual_mov_b32 v4, v0
	s_and_saveexec_b32 s35, vcc_lo
; %bb.100:                              ;   in Loop: Header=BB50_8 Depth=1
	v_and_b32_e32 v2, 7, v0
	s_delay_alu instid0(VALU_DEP_1) | instskip(NEXT) | instid1(VALU_DEP_1)
	v_clz_i32_u32_e32 v2, v2
	v_min_u32_e32 v2, 32, v2
	s_delay_alu instid0(VALU_DEP_1) | instskip(SKIP_1) | instid1(VALU_DEP_2)
	v_subrev_nc_u32_e32 v4, 28, v2
	v_sub_nc_u32_e32 v2, 29, v2
	v_lshlrev_b64 v[4:5], v4, v[0:1]
; %bb.101:                              ;   in Loop: Header=BB50_8 Depth=1
	s_or_b32 exec_lo, exec_lo, s35
	s_delay_alu instid0(VALU_DEP_1) | instskip(SKIP_2) | instid1(VALU_DEP_3)
	v_lshlrev_b32_e32 v0, 20, v4
	v_and_b32_e32 v3, 0x80000000, v3
	v_lshl_add_u32 v2, v2, 23, 0x3c000000
	v_and_b32_e32 v0, 0x700000, v0
	s_delay_alu instid0(VALU_DEP_1)
	v_or3_b32 v2, v0, v3, v2
.LBB50_102:                             ;   in Loop: Header=BB50_8 Depth=1
	s_or_b32 exec_lo, exec_lo, s34
.LBB50_103:                             ;   in Loop: Header=BB50_8 Depth=1
	s_delay_alu instid0(SALU_CYCLE_1)
	s_or_b32 exec_lo, exec_lo, s31
.LBB50_104:                             ;   in Loop: Header=BB50_8 Depth=1
	s_delay_alu instid0(SALU_CYCLE_1) | instskip(NEXT) | instid1(VALU_DEP_1)
	s_or_b32 exec_lo, exec_lo, s30
	v_mul_f32_e32 v2, s28, v2
	s_delay_alu instid0(VALU_DEP_1) | instskip(NEXT) | instid1(VALU_DEP_1)
	v_and_b32_e32 v0, 0x7f800000, v2
	v_cmp_ne_u32_e32 vcc_lo, 0x7f800000, v0
                                        ; implicit-def: $vgpr0
	s_and_saveexec_b32 s28, vcc_lo
	s_delay_alu instid0(SALU_CYCLE_1)
	s_xor_b32 s28, exec_lo, s28
; %bb.105:                              ;   in Loop: Header=BB50_8 Depth=1
	v_bfe_u32 v0, v2, 16, 1
	s_delay_alu instid0(VALU_DEP_1)
	v_add3_u32 v0, v2, v0, 0x7fff
                                        ; implicit-def: $vgpr2
; %bb.106:                              ;   in Loop: Header=BB50_8 Depth=1
	s_and_not1_saveexec_b32 s28, s28
	s_cbranch_execz .LBB50_5
; %bb.107:                              ;   in Loop: Header=BB50_8 Depth=1
	v_and_b32_e32 v0, 0xffff, v2
	v_or_b32_e32 v3, 0x10000, v2
	s_delay_alu instid0(VALU_DEP_2) | instskip(NEXT) | instid1(VALU_DEP_2)
	v_cmp_eq_u32_e32 vcc_lo, 0, v0
	v_cndmask_b32_e32 v0, v3, v2, vcc_lo
	s_branch .LBB50_5
.LBB50_108:
	s_endpgm
	.section	.rodata,"a",@progbits
	.p2align	6, 0x0
	.amdhsa_kernel _ZN4vllm30gather_and_maybe_dequant_cacheI14__hip_bfloat16hLNS_18Fp8KVCacheDataTypeE1ELi320ELi64EEEvPKT0_PT_PKiS9_S9_iillllPKfS9_
		.amdhsa_group_segment_fixed_size 0
		.amdhsa_private_segment_fixed_size 64
		.amdhsa_kernarg_size 352
		.amdhsa_user_sgpr_count 15
		.amdhsa_user_sgpr_dispatch_ptr 0
		.amdhsa_user_sgpr_queue_ptr 0
		.amdhsa_user_sgpr_kernarg_segment_ptr 1
		.amdhsa_user_sgpr_dispatch_id 0
		.amdhsa_user_sgpr_private_segment_size 0
		.amdhsa_wavefront_size32 1
		.amdhsa_uses_dynamic_stack 0
		.amdhsa_enable_private_segment 1
		.amdhsa_system_sgpr_workgroup_id_x 1
		.amdhsa_system_sgpr_workgroup_id_y 0
		.amdhsa_system_sgpr_workgroup_id_z 0
		.amdhsa_system_sgpr_workgroup_info 0
		.amdhsa_system_vgpr_workitem_id 0
		.amdhsa_next_free_vgpr 53
		.amdhsa_next_free_sgpr 40
		.amdhsa_reserve_vcc 1
		.amdhsa_float_round_mode_32 0
		.amdhsa_float_round_mode_16_64 0
		.amdhsa_float_denorm_mode_32 3
		.amdhsa_float_denorm_mode_16_64 3
		.amdhsa_dx10_clamp 1
		.amdhsa_ieee_mode 1
		.amdhsa_fp16_overflow 0
		.amdhsa_workgroup_processor_mode 1
		.amdhsa_memory_ordered 1
		.amdhsa_forward_progress 0
		.amdhsa_shared_vgpr_count 0
		.amdhsa_exception_fp_ieee_invalid_op 0
		.amdhsa_exception_fp_denorm_src 0
		.amdhsa_exception_fp_ieee_div_zero 0
		.amdhsa_exception_fp_ieee_overflow 0
		.amdhsa_exception_fp_ieee_underflow 0
		.amdhsa_exception_fp_ieee_inexact 0
		.amdhsa_exception_int_div_zero 0
	.end_amdhsa_kernel
	.section	.text._ZN4vllm30gather_and_maybe_dequant_cacheI14__hip_bfloat16hLNS_18Fp8KVCacheDataTypeE1ELi320ELi64EEEvPKT0_PT_PKiS9_S9_iillllPKfS9_,"axG",@progbits,_ZN4vllm30gather_and_maybe_dequant_cacheI14__hip_bfloat16hLNS_18Fp8KVCacheDataTypeE1ELi320ELi64EEEvPKT0_PT_PKiS9_S9_iillllPKfS9_,comdat
.Lfunc_end50:
	.size	_ZN4vllm30gather_and_maybe_dequant_cacheI14__hip_bfloat16hLNS_18Fp8KVCacheDataTypeE1ELi320ELi64EEEvPKT0_PT_PKiS9_S9_iillllPKfS9_, .Lfunc_end50-_ZN4vllm30gather_and_maybe_dequant_cacheI14__hip_bfloat16hLNS_18Fp8KVCacheDataTypeE1ELi320ELi64EEEvPKT0_PT_PKiS9_S9_iillllPKfS9_
                                        ; -- End function
	.section	.AMDGPU.csdata,"",@progbits
; Kernel info:
; codeLenInByte = 3440
; NumSgprs: 42
; NumVgprs: 53
; ScratchSize: 64
; MemoryBound: 0
; FloatMode: 240
; IeeeMode: 1
; LDSByteSize: 0 bytes/workgroup (compile time only)
; SGPRBlocks: 5
; VGPRBlocks: 6
; NumSGPRsForWavesPerEU: 42
; NumVGPRsForWavesPerEU: 53
; Occupancy: 16
; WaveLimiterHint : 1
; COMPUTE_PGM_RSRC2:SCRATCH_EN: 1
; COMPUTE_PGM_RSRC2:USER_SGPR: 15
; COMPUTE_PGM_RSRC2:TRAP_HANDLER: 0
; COMPUTE_PGM_RSRC2:TGID_X_EN: 1
; COMPUTE_PGM_RSRC2:TGID_Y_EN: 0
; COMPUTE_PGM_RSRC2:TGID_Z_EN: 0
; COMPUTE_PGM_RSRC2:TIDIG_COMP_CNT: 0
	.section	.text._ZN4vllm15cp_gather_cacheIjEEvPKT_PS1_PKiS6_iillllS6_,"axG",@progbits,_ZN4vllm15cp_gather_cacheIjEEvPKT_PS1_PKiS6_iillllS6_,comdat
	.protected	_ZN4vllm15cp_gather_cacheIjEEvPKT_PS1_PKiS6_iillllS6_ ; -- Begin function _ZN4vllm15cp_gather_cacheIjEEvPKT_PS1_PKiS6_iillllS6_
	.globl	_ZN4vllm15cp_gather_cacheIjEEvPKT_PS1_PKiS6_iillllS6_
	.p2align	8
	.type	_ZN4vllm15cp_gather_cacheIjEEvPKT_PS1_PKiS6_iillllS6_,@function
_ZN4vllm15cp_gather_cacheIjEEvPKT_PS1_PKiS6_iillllS6_: ; @_ZN4vllm15cp_gather_cacheIjEEvPKT_PS1_PKiS6_iillllS6_
; %bb.0:
	s_clause 0x1
	s_load_b64 s[6:7], s[0:1], 0x18
	s_load_b32 s3, s[0:1], 0x54
	s_mov_b32 s2, s15
	s_mov_b32 s15, 0
	s_add_u32 s12, s0, 0x50
	s_addc_u32 s13, s1, 0
	s_lshl_b64 s[4:5], s[14:15], 2
	s_waitcnt lgkmcnt(0)
	s_add_u32 s6, s6, s4
	s_addc_u32 s7, s7, s5
	s_abs_i32 s8, s3
	s_load_b64 s[20:21], s[6:7], 0x0
	v_cvt_f32_u32_e32 v1, s8
	s_sub_i32 s9, 0, s8
	s_delay_alu instid0(VALU_DEP_1) | instskip(SKIP_4) | instid1(VALU_DEP_1)
	v_rcp_iflag_f32_e32 v1, v1
	s_waitcnt_depctr 0xfff
	v_mul_f32_e32 v1, 0x4f7ffffe, v1
	s_waitcnt lgkmcnt(0)
	s_sub_i32 s6, s21, s20
	v_cvt_u32_f32_e32 v1, v1
	s_add_i32 s10, s3, s6
	s_delay_alu instid0(SALU_CYCLE_1) | instskip(NEXT) | instid1(VALU_DEP_1)
	s_add_i32 s10, s10, -1
	v_readfirstlane_b32 s7, v1
	s_abs_i32 s11, s10
	s_xor_b32 s3, s10, s3
	s_delay_alu instid0(SALU_CYCLE_1) | instskip(NEXT) | instid1(VALU_DEP_1)
	s_ashr_i32 s3, s3, 31
	s_mul_i32 s9, s9, s7
	s_delay_alu instid0(SALU_CYCLE_1) | instskip(NEXT) | instid1(SALU_CYCLE_1)
	s_mul_hi_u32 s9, s7, s9
	s_add_i32 s7, s7, s9
	s_delay_alu instid0(SALU_CYCLE_1) | instskip(NEXT) | instid1(SALU_CYCLE_1)
	s_mul_hi_u32 s7, s11, s7
	s_mul_i32 s9, s7, s8
	s_add_i32 s10, s7, 1
	s_sub_i32 s9, s11, s9
	s_delay_alu instid0(SALU_CYCLE_1)
	s_sub_i32 s11, s9, s8
	s_cmp_ge_u32 s9, s8
	s_cselect_b32 s7, s10, s7
	s_cselect_b32 s9, s11, s9
	s_add_i32 s10, s7, 1
	s_cmp_ge_u32 s9, s8
	s_cselect_b32 s7, s10, s7
	s_delay_alu instid0(SALU_CYCLE_1) | instskip(NEXT) | instid1(SALU_CYCLE_1)
	s_xor_b32 s7, s7, s3
	s_sub_i32 s7, s7, s3
	s_delay_alu instid0(SALU_CYCLE_1) | instskip(NEXT) | instid1(SALU_CYCLE_1)
	s_mul_i32 s15, s7, s2
	s_cmp_ge_i32 s15, s6
	s_cbranch_scc1 .LBB51_9
; %bb.1:
	s_load_b64 s[2:3], s[0:1], 0x48
	s_mov_b32 s23, s15
	s_waitcnt lgkmcnt(0)
	s_cmp_eq_u64 s[2:3], 0
	s_cbranch_scc1 .LBB51_3
; %bb.2:
	s_add_u32 s2, s2, s4
	s_addc_u32 s3, s3, s5
	s_load_b32 s2, s[2:3], 0x0
	s_waitcnt lgkmcnt(0)
	s_add_i32 s23, s2, s15
.LBB51_3:
	s_add_i32 s2, s15, s7
	s_delay_alu instid0(SALU_CYCLE_1) | instskip(NEXT) | instid1(SALU_CYCLE_1)
	s_min_i32 s21, s2, s6
	s_cmp_ge_i32 s15, s21
	s_cbranch_scc1 .LBB51_9
; %bb.4:
	s_clause 0x3
	s_load_b256 s[4:11], s[0:1], 0x28
	s_load_b64 s[24:25], s[0:1], 0x10
	s_load_b128 s[16:19], s[0:1], 0x0
	s_load_b64 s[2:3], s[0:1], 0x20
	s_waitcnt lgkmcnt(0)
	s_mul_i32 s0, s14, s4
	s_mul_i32 s4, s20, s11
	s_ashr_i32 s1, s0, 31
	s_mul_hi_u32 s5, s20, s10
	s_lshl_b64 s[0:1], s[0:1], 2
	v_cmp_gt_i32_e32 vcc_lo, s3, v0
	s_add_u32 s14, s24, s0
	s_addc_u32 s22, s25, s1
	s_ashr_i32 s0, s20, 31
	s_add_i32 s1, s5, s4
	s_mul_i32 s4, s0, s10
	s_mul_i32 s0, s20, s10
	s_add_i32 s1, s1, s4
	s_delay_alu instid0(SALU_CYCLE_1) | instskip(NEXT) | instid1(SALU_CYCLE_1)
	s_lshl_b64 s[0:1], s[0:1], 2
	s_add_u32 s18, s18, s0
	s_addc_u32 s19, s19, s1
	s_abs_i32 s0, s2
	s_abs_i32 s5, s23
	v_cvt_f32_u32_e32 v1, s0
	s_sub_i32 s4, 0, s0
	s_delay_alu instid0(VALU_DEP_1) | instskip(SKIP_2) | instid1(VALU_DEP_1)
	v_rcp_iflag_f32_e32 v1, v1
	s_waitcnt_depctr 0xfff
	v_mul_f32_e32 v1, 0x4f7ffffe, v1
	v_cvt_u32_f32_e32 v1, v1
	s_delay_alu instid0(VALU_DEP_1) | instskip(NEXT) | instid1(VALU_DEP_1)
	v_readfirstlane_b32 s1, v1
	s_mul_i32 s4, s4, s1
	s_delay_alu instid0(SALU_CYCLE_1) | instskip(NEXT) | instid1(SALU_CYCLE_1)
	s_mul_hi_u32 s4, s1, s4
	s_add_i32 s1, s1, s4
	s_xor_b32 s4, s23, s2
	s_mul_hi_u32 s1, s5, s1
	s_ashr_i32 s4, s4, 31
	s_mul_i32 s20, s1, s0
	s_delay_alu instid0(SALU_CYCLE_1)
	s_sub_i32 s5, s5, s20
	s_add_i32 s20, s1, 1
	s_sub_i32 s24, s5, s0
	s_cmp_ge_u32 s5, s0
	s_cselect_b32 s1, s20, s1
	s_cselect_b32 s5, s24, s5
	s_add_i32 s20, s1, 1
	s_cmp_ge_u32 s5, s0
	s_cselect_b32 s0, s20, s1
	s_delay_alu instid0(SALU_CYCLE_1) | instskip(NEXT) | instid1(SALU_CYCLE_1)
	s_xor_b32 s0, s0, s4
	s_sub_i32 s4, s0, s4
	s_delay_alu instid0(SALU_CYCLE_1) | instskip(NEXT) | instid1(SALU_CYCLE_1)
	s_mul_i32 s0, s4, s2
	s_sub_i32 s20, s23, s0
	s_branch .LBB51_6
.LBB51_5:                               ;   in Loop: Header=BB51_6 Depth=1
	s_or_b32 exec_lo, exec_lo, s23
	s_add_i32 s0, s20, 1
	s_delay_alu instid0(SALU_CYCLE_1) | instskip(SKIP_1) | instid1(SALU_CYCLE_1)
	s_cmp_eq_u32 s0, s2
	s_cselect_b32 s1, -1, 0
	s_and_b32 s5, s1, exec_lo
	s_cselect_b32 s20, 0, s0
	s_cmp_lg_u32 s1, 0
	s_addc_u32 s4, s4, 0
	s_add_i32 s15, s15, 1
	s_delay_alu instid0(SALU_CYCLE_1)
	s_cmp_lt_i32 s15, s21
	s_cbranch_scc0 .LBB51_9
.LBB51_6:                               ; =>This Loop Header: Depth=1
                                        ;     Child Loop BB51_8 Depth 2
	s_and_saveexec_b32 s23, vcc_lo
	s_cbranch_execz .LBB51_5
; %bb.7:                                ;   in Loop: Header=BB51_6 Depth=1
	s_ashr_i32 s5, s4, 31
	s_load_b32 s27, s[12:13], 0xc
	s_lshl_b64 s[0:1], s[4:5], 2
	s_mul_i32 s5, s15, s11
	s_add_u32 s0, s14, s0
	s_addc_u32 s1, s22, s1
	s_mul_i32 s28, s20, s9
	s_load_b32 s0, s[0:1], 0x0
	s_mul_hi_u32 s29, s20, s8
	v_mov_b32_e32 v1, v0
	s_waitcnt lgkmcnt(0)
	s_mul_i32 s1, s0, s7
	s_mul_hi_u32 s24, s0, s6
	s_ashr_i32 s25, s0, 31
	s_add_i32 s1, s24, s1
	s_mul_i32 s25, s25, s6
	s_mul_i32 s0, s0, s6
	s_add_i32 s1, s1, s25
	s_mul_hi_u32 s24, s15, s10
	s_lshl_b64 s[0:1], s[0:1], 2
	s_delay_alu instid0(SALU_CYCLE_1)
	s_add_u32 s25, s16, s0
	s_addc_u32 s26, s17, s1
	s_ashr_i32 s0, s15, 31
	s_add_i32 s1, s24, s5
	s_mul_i32 s5, s0, s10
	s_mul_i32 s0, s15, s10
	s_add_i32 s1, s1, s5
	s_delay_alu instid0(SALU_CYCLE_1) | instskip(NEXT) | instid1(SALU_CYCLE_1)
	s_lshl_b64 s[0:1], s[0:1], 2
	s_add_u32 s5, s18, s0
	s_addc_u32 s24, s19, s1
	s_ashr_i32 s0, s20, 31
	s_add_i32 s1, s29, s28
	s_mul_i32 s28, s0, s8
	s_mul_i32 s0, s20, s8
	s_add_i32 s1, s1, s28
	s_mov_b32 s28, 0
	s_lshl_b64 s[0:1], s[0:1], 2
	s_delay_alu instid0(SALU_CYCLE_1)
	s_add_u32 s25, s25, s0
	s_addc_u32 s26, s26, s1
	s_and_b32 s27, s27, 0xffff
	.p2align	6
.LBB51_8:                               ;   Parent Loop BB51_6 Depth=1
                                        ; =>  This Inner Loop Header: Depth=2
	v_ashrrev_i32_e32 v2, 31, v1
	s_delay_alu instid0(VALU_DEP_1) | instskip(SKIP_1) | instid1(VALU_DEP_2)
	v_lshlrev_b64 v[2:3], 2, v[1:2]
	v_add_nc_u32_e32 v1, s27, v1
	v_add_co_u32 v4, s0, s25, v2
	s_delay_alu instid0(VALU_DEP_1) | instskip(NEXT) | instid1(VALU_DEP_3)
	v_add_co_ci_u32_e64 v5, s0, s26, v3, s0
	v_cmp_le_i32_e64 s0, s3, v1
	v_add_co_u32 v2, s1, s5, v2
	global_load_b32 v4, v[4:5], off
	v_add_co_ci_u32_e64 v3, s1, s24, v3, s1
	s_or_b32 s28, s0, s28
	s_waitcnt vmcnt(0)
	global_store_b32 v[2:3], v4, off
	s_and_not1_b32 exec_lo, exec_lo, s28
	s_cbranch_execnz .LBB51_8
	s_branch .LBB51_5
.LBB51_9:
	s_nop 0
	s_sendmsg sendmsg(MSG_DEALLOC_VGPRS)
	s_endpgm
	.section	.rodata,"a",@progbits
	.p2align	6, 0x0
	.amdhsa_kernel _ZN4vllm15cp_gather_cacheIjEEvPKT_PS1_PKiS6_iillllS6_
		.amdhsa_group_segment_fixed_size 0
		.amdhsa_private_segment_fixed_size 0
		.amdhsa_kernarg_size 336
		.amdhsa_user_sgpr_count 14
		.amdhsa_user_sgpr_dispatch_ptr 0
		.amdhsa_user_sgpr_queue_ptr 0
		.amdhsa_user_sgpr_kernarg_segment_ptr 1
		.amdhsa_user_sgpr_dispatch_id 0
		.amdhsa_user_sgpr_private_segment_size 0
		.amdhsa_wavefront_size32 1
		.amdhsa_uses_dynamic_stack 0
		.amdhsa_enable_private_segment 0
		.amdhsa_system_sgpr_workgroup_id_x 1
		.amdhsa_system_sgpr_workgroup_id_y 1
		.amdhsa_system_sgpr_workgroup_id_z 0
		.amdhsa_system_sgpr_workgroup_info 0
		.amdhsa_system_vgpr_workitem_id 0
		.amdhsa_next_free_vgpr 6
		.amdhsa_next_free_sgpr 30
		.amdhsa_reserve_vcc 1
		.amdhsa_float_round_mode_32 0
		.amdhsa_float_round_mode_16_64 0
		.amdhsa_float_denorm_mode_32 3
		.amdhsa_float_denorm_mode_16_64 3
		.amdhsa_dx10_clamp 1
		.amdhsa_ieee_mode 1
		.amdhsa_fp16_overflow 0
		.amdhsa_workgroup_processor_mode 1
		.amdhsa_memory_ordered 1
		.amdhsa_forward_progress 0
		.amdhsa_shared_vgpr_count 0
		.amdhsa_exception_fp_ieee_invalid_op 0
		.amdhsa_exception_fp_denorm_src 0
		.amdhsa_exception_fp_ieee_div_zero 0
		.amdhsa_exception_fp_ieee_overflow 0
		.amdhsa_exception_fp_ieee_underflow 0
		.amdhsa_exception_fp_ieee_inexact 0
		.amdhsa_exception_int_div_zero 0
	.end_amdhsa_kernel
	.section	.text._ZN4vllm15cp_gather_cacheIjEEvPKT_PS1_PKiS6_iillllS6_,"axG",@progbits,_ZN4vllm15cp_gather_cacheIjEEvPKT_PS1_PKiS6_iillllS6_,comdat
.Lfunc_end51:
	.size	_ZN4vllm15cp_gather_cacheIjEEvPKT_PS1_PKiS6_iillllS6_, .Lfunc_end51-_ZN4vllm15cp_gather_cacheIjEEvPKT_PS1_PKiS6_iillllS6_
                                        ; -- End function
	.section	.AMDGPU.csdata,"",@progbits
; Kernel info:
; codeLenInByte = 916
; NumSgprs: 32
; NumVgprs: 6
; ScratchSize: 0
; MemoryBound: 0
; FloatMode: 240
; IeeeMode: 1
; LDSByteSize: 0 bytes/workgroup (compile time only)
; SGPRBlocks: 3
; VGPRBlocks: 0
; NumSGPRsForWavesPerEU: 32
; NumVGPRsForWavesPerEU: 6
; Occupancy: 16
; WaveLimiterHint : 1
; COMPUTE_PGM_RSRC2:SCRATCH_EN: 0
; COMPUTE_PGM_RSRC2:USER_SGPR: 14
; COMPUTE_PGM_RSRC2:TRAP_HANDLER: 0
; COMPUTE_PGM_RSRC2:TGID_X_EN: 1
; COMPUTE_PGM_RSRC2:TGID_Y_EN: 1
; COMPUTE_PGM_RSRC2:TGID_Z_EN: 0
; COMPUTE_PGM_RSRC2:TIDIG_COMP_CNT: 0
	.section	.text._ZN4vllm15cp_gather_cacheItEEvPKT_PS1_PKiS6_iillllS6_,"axG",@progbits,_ZN4vllm15cp_gather_cacheItEEvPKT_PS1_PKiS6_iillllS6_,comdat
	.protected	_ZN4vllm15cp_gather_cacheItEEvPKT_PS1_PKiS6_iillllS6_ ; -- Begin function _ZN4vllm15cp_gather_cacheItEEvPKT_PS1_PKiS6_iillllS6_
	.globl	_ZN4vllm15cp_gather_cacheItEEvPKT_PS1_PKiS6_iillllS6_
	.p2align	8
	.type	_ZN4vllm15cp_gather_cacheItEEvPKT_PS1_PKiS6_iillllS6_,@function
_ZN4vllm15cp_gather_cacheItEEvPKT_PS1_PKiS6_iillllS6_: ; @_ZN4vllm15cp_gather_cacheItEEvPKT_PS1_PKiS6_iillllS6_
; %bb.0:
	s_clause 0x1
	s_load_b64 s[6:7], s[0:1], 0x18
	s_load_b32 s3, s[0:1], 0x54
	s_mov_b32 s2, s15
	s_mov_b32 s15, 0
	s_add_u32 s12, s0, 0x50
	s_addc_u32 s13, s1, 0
	s_lshl_b64 s[4:5], s[14:15], 2
	s_waitcnt lgkmcnt(0)
	s_add_u32 s6, s6, s4
	s_addc_u32 s7, s7, s5
	s_abs_i32 s8, s3
	s_load_b64 s[20:21], s[6:7], 0x0
	v_cvt_f32_u32_e32 v1, s8
	s_sub_i32 s9, 0, s8
	s_delay_alu instid0(VALU_DEP_1) | instskip(SKIP_4) | instid1(VALU_DEP_1)
	v_rcp_iflag_f32_e32 v1, v1
	s_waitcnt_depctr 0xfff
	v_mul_f32_e32 v1, 0x4f7ffffe, v1
	s_waitcnt lgkmcnt(0)
	s_sub_i32 s6, s21, s20
	v_cvt_u32_f32_e32 v1, v1
	s_add_i32 s10, s3, s6
	s_delay_alu instid0(SALU_CYCLE_1) | instskip(NEXT) | instid1(VALU_DEP_1)
	s_add_i32 s10, s10, -1
	v_readfirstlane_b32 s7, v1
	s_abs_i32 s11, s10
	s_xor_b32 s3, s10, s3
	s_delay_alu instid0(SALU_CYCLE_1) | instskip(NEXT) | instid1(VALU_DEP_1)
	s_ashr_i32 s3, s3, 31
	s_mul_i32 s9, s9, s7
	s_delay_alu instid0(SALU_CYCLE_1) | instskip(NEXT) | instid1(SALU_CYCLE_1)
	s_mul_hi_u32 s9, s7, s9
	s_add_i32 s7, s7, s9
	s_delay_alu instid0(SALU_CYCLE_1) | instskip(NEXT) | instid1(SALU_CYCLE_1)
	s_mul_hi_u32 s7, s11, s7
	s_mul_i32 s9, s7, s8
	s_add_i32 s10, s7, 1
	s_sub_i32 s9, s11, s9
	s_delay_alu instid0(SALU_CYCLE_1)
	s_sub_i32 s11, s9, s8
	s_cmp_ge_u32 s9, s8
	s_cselect_b32 s7, s10, s7
	s_cselect_b32 s9, s11, s9
	s_add_i32 s10, s7, 1
	s_cmp_ge_u32 s9, s8
	s_cselect_b32 s7, s10, s7
	s_delay_alu instid0(SALU_CYCLE_1) | instskip(NEXT) | instid1(SALU_CYCLE_1)
	s_xor_b32 s7, s7, s3
	s_sub_i32 s7, s7, s3
	s_delay_alu instid0(SALU_CYCLE_1) | instskip(NEXT) | instid1(SALU_CYCLE_1)
	s_mul_i32 s15, s7, s2
	s_cmp_ge_i32 s15, s6
	s_cbranch_scc1 .LBB52_9
; %bb.1:
	s_load_b64 s[2:3], s[0:1], 0x48
	s_mov_b32 s23, s15
	s_waitcnt lgkmcnt(0)
	s_cmp_eq_u64 s[2:3], 0
	s_cbranch_scc1 .LBB52_3
; %bb.2:
	s_add_u32 s2, s2, s4
	s_addc_u32 s3, s3, s5
	s_load_b32 s2, s[2:3], 0x0
	s_waitcnt lgkmcnt(0)
	s_add_i32 s23, s2, s15
.LBB52_3:
	s_add_i32 s2, s15, s7
	s_delay_alu instid0(SALU_CYCLE_1) | instskip(NEXT) | instid1(SALU_CYCLE_1)
	s_min_i32 s21, s2, s6
	s_cmp_ge_i32 s15, s21
	s_cbranch_scc1 .LBB52_9
; %bb.4:
	s_clause 0x3
	s_load_b256 s[4:11], s[0:1], 0x28
	s_load_b64 s[24:25], s[0:1], 0x10
	s_load_b128 s[16:19], s[0:1], 0x0
	s_load_b64 s[2:3], s[0:1], 0x20
	s_waitcnt lgkmcnt(0)
	s_mul_i32 s0, s14, s4
	s_mul_i32 s4, s20, s11
	s_ashr_i32 s1, s0, 31
	s_mul_hi_u32 s5, s20, s10
	s_lshl_b64 s[0:1], s[0:1], 2
	v_cmp_gt_i32_e32 vcc_lo, s3, v0
	s_add_u32 s14, s24, s0
	s_addc_u32 s22, s25, s1
	s_ashr_i32 s0, s20, 31
	s_add_i32 s1, s5, s4
	s_mul_i32 s4, s0, s10
	s_mul_i32 s0, s20, s10
	s_add_i32 s1, s1, s4
	s_delay_alu instid0(SALU_CYCLE_1) | instskip(NEXT) | instid1(SALU_CYCLE_1)
	s_lshl_b64 s[0:1], s[0:1], 1
	s_add_u32 s18, s18, s0
	s_addc_u32 s19, s19, s1
	s_abs_i32 s0, s2
	s_abs_i32 s5, s23
	v_cvt_f32_u32_e32 v1, s0
	s_sub_i32 s4, 0, s0
	s_delay_alu instid0(VALU_DEP_1) | instskip(SKIP_2) | instid1(VALU_DEP_1)
	v_rcp_iflag_f32_e32 v1, v1
	s_waitcnt_depctr 0xfff
	v_mul_f32_e32 v1, 0x4f7ffffe, v1
	v_cvt_u32_f32_e32 v1, v1
	s_delay_alu instid0(VALU_DEP_1) | instskip(NEXT) | instid1(VALU_DEP_1)
	v_readfirstlane_b32 s1, v1
	s_mul_i32 s4, s4, s1
	s_delay_alu instid0(SALU_CYCLE_1) | instskip(NEXT) | instid1(SALU_CYCLE_1)
	s_mul_hi_u32 s4, s1, s4
	s_add_i32 s1, s1, s4
	s_xor_b32 s4, s23, s2
	s_mul_hi_u32 s1, s5, s1
	s_ashr_i32 s4, s4, 31
	s_mul_i32 s20, s1, s0
	s_delay_alu instid0(SALU_CYCLE_1)
	s_sub_i32 s5, s5, s20
	s_add_i32 s20, s1, 1
	s_sub_i32 s24, s5, s0
	s_cmp_ge_u32 s5, s0
	s_cselect_b32 s1, s20, s1
	s_cselect_b32 s5, s24, s5
	s_add_i32 s20, s1, 1
	s_cmp_ge_u32 s5, s0
	s_cselect_b32 s0, s20, s1
	s_delay_alu instid0(SALU_CYCLE_1) | instskip(NEXT) | instid1(SALU_CYCLE_1)
	s_xor_b32 s0, s0, s4
	s_sub_i32 s4, s0, s4
	s_delay_alu instid0(SALU_CYCLE_1) | instskip(NEXT) | instid1(SALU_CYCLE_1)
	s_mul_i32 s0, s4, s2
	s_sub_i32 s20, s23, s0
	s_branch .LBB52_6
.LBB52_5:                               ;   in Loop: Header=BB52_6 Depth=1
	s_or_b32 exec_lo, exec_lo, s23
	s_add_i32 s0, s20, 1
	s_delay_alu instid0(SALU_CYCLE_1) | instskip(SKIP_1) | instid1(SALU_CYCLE_1)
	s_cmp_eq_u32 s0, s2
	s_cselect_b32 s1, -1, 0
	s_and_b32 s5, s1, exec_lo
	s_cselect_b32 s20, 0, s0
	s_cmp_lg_u32 s1, 0
	s_addc_u32 s4, s4, 0
	s_add_i32 s15, s15, 1
	s_delay_alu instid0(SALU_CYCLE_1)
	s_cmp_lt_i32 s15, s21
	s_cbranch_scc0 .LBB52_9
.LBB52_6:                               ; =>This Loop Header: Depth=1
                                        ;     Child Loop BB52_8 Depth 2
	s_and_saveexec_b32 s23, vcc_lo
	s_cbranch_execz .LBB52_5
; %bb.7:                                ;   in Loop: Header=BB52_6 Depth=1
	s_ashr_i32 s5, s4, 31
	s_load_b32 s27, s[12:13], 0xc
	s_lshl_b64 s[0:1], s[4:5], 2
	s_mul_i32 s5, s15, s11
	s_add_u32 s0, s14, s0
	s_addc_u32 s1, s22, s1
	s_mul_i32 s28, s20, s9
	s_load_b32 s0, s[0:1], 0x0
	s_mul_hi_u32 s29, s20, s8
	v_mov_b32_e32 v1, v0
	s_waitcnt lgkmcnt(0)
	s_mul_i32 s1, s0, s7
	s_mul_hi_u32 s24, s0, s6
	s_ashr_i32 s25, s0, 31
	s_add_i32 s1, s24, s1
	s_mul_i32 s25, s25, s6
	s_mul_i32 s0, s0, s6
	s_add_i32 s1, s1, s25
	s_mul_hi_u32 s24, s15, s10
	s_lshl_b64 s[0:1], s[0:1], 1
	s_delay_alu instid0(SALU_CYCLE_1)
	s_add_u32 s25, s16, s0
	s_addc_u32 s26, s17, s1
	s_ashr_i32 s0, s15, 31
	s_add_i32 s1, s24, s5
	s_mul_i32 s5, s0, s10
	s_mul_i32 s0, s15, s10
	s_add_i32 s1, s1, s5
	s_delay_alu instid0(SALU_CYCLE_1) | instskip(NEXT) | instid1(SALU_CYCLE_1)
	s_lshl_b64 s[0:1], s[0:1], 1
	s_add_u32 s5, s18, s0
	s_addc_u32 s24, s19, s1
	s_ashr_i32 s0, s20, 31
	s_add_i32 s1, s29, s28
	s_mul_i32 s28, s0, s8
	s_mul_i32 s0, s20, s8
	s_add_i32 s1, s1, s28
	s_mov_b32 s28, 0
	s_lshl_b64 s[0:1], s[0:1], 1
	s_delay_alu instid0(SALU_CYCLE_1)
	s_add_u32 s25, s25, s0
	s_addc_u32 s26, s26, s1
	s_and_b32 s27, s27, 0xffff
	.p2align	6
.LBB52_8:                               ;   Parent Loop BB52_6 Depth=1
                                        ; =>  This Inner Loop Header: Depth=2
	v_ashrrev_i32_e32 v2, 31, v1
	s_delay_alu instid0(VALU_DEP_1) | instskip(SKIP_1) | instid1(VALU_DEP_2)
	v_lshlrev_b64 v[2:3], 1, v[1:2]
	v_add_nc_u32_e32 v1, s27, v1
	v_add_co_u32 v4, s0, s25, v2
	s_delay_alu instid0(VALU_DEP_1) | instskip(NEXT) | instid1(VALU_DEP_3)
	v_add_co_ci_u32_e64 v5, s0, s26, v3, s0
	v_cmp_le_i32_e64 s0, s3, v1
	v_add_co_u32 v2, s1, s5, v2
	global_load_u16 v4, v[4:5], off
	v_add_co_ci_u32_e64 v3, s1, s24, v3, s1
	s_or_b32 s28, s0, s28
	s_waitcnt vmcnt(0)
	global_store_b16 v[2:3], v4, off
	s_and_not1_b32 exec_lo, exec_lo, s28
	s_cbranch_execnz .LBB52_8
	s_branch .LBB52_5
.LBB52_9:
	s_nop 0
	s_sendmsg sendmsg(MSG_DEALLOC_VGPRS)
	s_endpgm
	.section	.rodata,"a",@progbits
	.p2align	6, 0x0
	.amdhsa_kernel _ZN4vllm15cp_gather_cacheItEEvPKT_PS1_PKiS6_iillllS6_
		.amdhsa_group_segment_fixed_size 0
		.amdhsa_private_segment_fixed_size 0
		.amdhsa_kernarg_size 336
		.amdhsa_user_sgpr_count 14
		.amdhsa_user_sgpr_dispatch_ptr 0
		.amdhsa_user_sgpr_queue_ptr 0
		.amdhsa_user_sgpr_kernarg_segment_ptr 1
		.amdhsa_user_sgpr_dispatch_id 0
		.amdhsa_user_sgpr_private_segment_size 0
		.amdhsa_wavefront_size32 1
		.amdhsa_uses_dynamic_stack 0
		.amdhsa_enable_private_segment 0
		.amdhsa_system_sgpr_workgroup_id_x 1
		.amdhsa_system_sgpr_workgroup_id_y 1
		.amdhsa_system_sgpr_workgroup_id_z 0
		.amdhsa_system_sgpr_workgroup_info 0
		.amdhsa_system_vgpr_workitem_id 0
		.amdhsa_next_free_vgpr 6
		.amdhsa_next_free_sgpr 30
		.amdhsa_reserve_vcc 1
		.amdhsa_float_round_mode_32 0
		.amdhsa_float_round_mode_16_64 0
		.amdhsa_float_denorm_mode_32 3
		.amdhsa_float_denorm_mode_16_64 3
		.amdhsa_dx10_clamp 1
		.amdhsa_ieee_mode 1
		.amdhsa_fp16_overflow 0
		.amdhsa_workgroup_processor_mode 1
		.amdhsa_memory_ordered 1
		.amdhsa_forward_progress 0
		.amdhsa_shared_vgpr_count 0
		.amdhsa_exception_fp_ieee_invalid_op 0
		.amdhsa_exception_fp_denorm_src 0
		.amdhsa_exception_fp_ieee_div_zero 0
		.amdhsa_exception_fp_ieee_overflow 0
		.amdhsa_exception_fp_ieee_underflow 0
		.amdhsa_exception_fp_ieee_inexact 0
		.amdhsa_exception_int_div_zero 0
	.end_amdhsa_kernel
	.section	.text._ZN4vllm15cp_gather_cacheItEEvPKT_PS1_PKiS6_iillllS6_,"axG",@progbits,_ZN4vllm15cp_gather_cacheItEEvPKT_PS1_PKiS6_iillllS6_,comdat
.Lfunc_end52:
	.size	_ZN4vllm15cp_gather_cacheItEEvPKT_PS1_PKiS6_iillllS6_, .Lfunc_end52-_ZN4vllm15cp_gather_cacheItEEvPKT_PS1_PKiS6_iillllS6_
                                        ; -- End function
	.section	.AMDGPU.csdata,"",@progbits
; Kernel info:
; codeLenInByte = 916
; NumSgprs: 32
; NumVgprs: 6
; ScratchSize: 0
; MemoryBound: 0
; FloatMode: 240
; IeeeMode: 1
; LDSByteSize: 0 bytes/workgroup (compile time only)
; SGPRBlocks: 3
; VGPRBlocks: 0
; NumSGPRsForWavesPerEU: 32
; NumVGPRsForWavesPerEU: 6
; Occupancy: 16
; WaveLimiterHint : 1
; COMPUTE_PGM_RSRC2:SCRATCH_EN: 0
; COMPUTE_PGM_RSRC2:USER_SGPR: 14
; COMPUTE_PGM_RSRC2:TRAP_HANDLER: 0
; COMPUTE_PGM_RSRC2:TGID_X_EN: 1
; COMPUTE_PGM_RSRC2:TGID_Y_EN: 1
; COMPUTE_PGM_RSRC2:TGID_Z_EN: 0
; COMPUTE_PGM_RSRC2:TIDIG_COMP_CNT: 0
	.section	.text._ZN4vllm15cp_gather_cacheIhEEvPKT_PS1_PKiS6_iillllS6_,"axG",@progbits,_ZN4vllm15cp_gather_cacheIhEEvPKT_PS1_PKiS6_iillllS6_,comdat
	.protected	_ZN4vllm15cp_gather_cacheIhEEvPKT_PS1_PKiS6_iillllS6_ ; -- Begin function _ZN4vllm15cp_gather_cacheIhEEvPKT_PS1_PKiS6_iillllS6_
	.globl	_ZN4vllm15cp_gather_cacheIhEEvPKT_PS1_PKiS6_iillllS6_
	.p2align	8
	.type	_ZN4vllm15cp_gather_cacheIhEEvPKT_PS1_PKiS6_iillllS6_,@function
_ZN4vllm15cp_gather_cacheIhEEvPKT_PS1_PKiS6_iillllS6_: ; @_ZN4vllm15cp_gather_cacheIhEEvPKT_PS1_PKiS6_iillllS6_
; %bb.0:
	s_clause 0x1
	s_load_b64 s[6:7], s[0:1], 0x18
	s_load_b32 s3, s[0:1], 0x54
	s_mov_b32 s2, s15
	s_mov_b32 s15, 0
	s_add_u32 s12, s0, 0x50
	s_addc_u32 s13, s1, 0
	s_lshl_b64 s[4:5], s[14:15], 2
	s_waitcnt lgkmcnt(0)
	s_add_u32 s6, s6, s4
	s_addc_u32 s7, s7, s5
	s_abs_i32 s8, s3
	s_load_b64 s[20:21], s[6:7], 0x0
	v_cvt_f32_u32_e32 v1, s8
	s_sub_i32 s9, 0, s8
	s_delay_alu instid0(VALU_DEP_1) | instskip(SKIP_4) | instid1(VALU_DEP_1)
	v_rcp_iflag_f32_e32 v1, v1
	s_waitcnt_depctr 0xfff
	v_mul_f32_e32 v1, 0x4f7ffffe, v1
	s_waitcnt lgkmcnt(0)
	s_sub_i32 s6, s21, s20
	v_cvt_u32_f32_e32 v1, v1
	s_add_i32 s10, s3, s6
	s_delay_alu instid0(SALU_CYCLE_1) | instskip(NEXT) | instid1(VALU_DEP_1)
	s_add_i32 s10, s10, -1
	v_readfirstlane_b32 s7, v1
	s_abs_i32 s11, s10
	s_xor_b32 s3, s10, s3
	s_delay_alu instid0(SALU_CYCLE_1) | instskip(NEXT) | instid1(VALU_DEP_1)
	s_ashr_i32 s3, s3, 31
	s_mul_i32 s9, s9, s7
	s_delay_alu instid0(SALU_CYCLE_1) | instskip(NEXT) | instid1(SALU_CYCLE_1)
	s_mul_hi_u32 s9, s7, s9
	s_add_i32 s7, s7, s9
	s_delay_alu instid0(SALU_CYCLE_1) | instskip(NEXT) | instid1(SALU_CYCLE_1)
	s_mul_hi_u32 s7, s11, s7
	s_mul_i32 s9, s7, s8
	s_add_i32 s10, s7, 1
	s_sub_i32 s9, s11, s9
	s_delay_alu instid0(SALU_CYCLE_1)
	s_sub_i32 s11, s9, s8
	s_cmp_ge_u32 s9, s8
	s_cselect_b32 s7, s10, s7
	s_cselect_b32 s9, s11, s9
	s_add_i32 s10, s7, 1
	s_cmp_ge_u32 s9, s8
	s_cselect_b32 s7, s10, s7
	s_delay_alu instid0(SALU_CYCLE_1) | instskip(NEXT) | instid1(SALU_CYCLE_1)
	s_xor_b32 s7, s7, s3
	s_sub_i32 s7, s7, s3
	s_delay_alu instid0(SALU_CYCLE_1) | instskip(NEXT) | instid1(SALU_CYCLE_1)
	s_mul_i32 s15, s7, s2
	s_cmp_ge_i32 s15, s6
	s_cbranch_scc1 .LBB53_9
; %bb.1:
	s_load_b64 s[2:3], s[0:1], 0x48
	s_mov_b32 s23, s15
	s_waitcnt lgkmcnt(0)
	s_cmp_eq_u64 s[2:3], 0
	s_cbranch_scc1 .LBB53_3
; %bb.2:
	s_add_u32 s2, s2, s4
	s_addc_u32 s3, s3, s5
	s_load_b32 s2, s[2:3], 0x0
	s_waitcnt lgkmcnt(0)
	s_add_i32 s23, s2, s15
.LBB53_3:
	s_add_i32 s2, s15, s7
	s_delay_alu instid0(SALU_CYCLE_1) | instskip(NEXT) | instid1(SALU_CYCLE_1)
	s_min_i32 s21, s2, s6
	s_cmp_ge_i32 s15, s21
	s_cbranch_scc1 .LBB53_9
; %bb.4:
	s_clause 0x3
	s_load_b256 s[4:11], s[0:1], 0x28
	s_load_b64 s[24:25], s[0:1], 0x10
	s_load_b128 s[16:19], s[0:1], 0x0
	s_load_b64 s[2:3], s[0:1], 0x20
	s_waitcnt lgkmcnt(0)
	s_mul_i32 s0, s14, s4
	s_mul_i32 s4, s20, s11
	s_ashr_i32 s1, s0, 31
	s_mul_hi_u32 s5, s20, s10
	s_lshl_b64 s[0:1], s[0:1], 2
	v_cmp_gt_i32_e32 vcc_lo, s3, v0
	s_add_u32 s14, s24, s0
	s_addc_u32 s22, s25, s1
	s_ashr_i32 s0, s20, 31
	s_add_i32 s1, s5, s4
	s_mul_i32 s0, s0, s10
	s_mul_i32 s4, s20, s10
	s_add_i32 s1, s1, s0
	s_add_u32 s18, s18, s4
	s_addc_u32 s19, s19, s1
	s_abs_i32 s0, s2
	s_abs_i32 s5, s23
	v_cvt_f32_u32_e32 v1, s0
	s_sub_i32 s4, 0, s0
	s_delay_alu instid0(VALU_DEP_1) | instskip(SKIP_2) | instid1(VALU_DEP_1)
	v_rcp_iflag_f32_e32 v1, v1
	s_waitcnt_depctr 0xfff
	v_mul_f32_e32 v1, 0x4f7ffffe, v1
	v_cvt_u32_f32_e32 v1, v1
	s_delay_alu instid0(VALU_DEP_1) | instskip(NEXT) | instid1(VALU_DEP_1)
	v_readfirstlane_b32 s1, v1
	s_mul_i32 s4, s4, s1
	s_delay_alu instid0(SALU_CYCLE_1) | instskip(NEXT) | instid1(SALU_CYCLE_1)
	s_mul_hi_u32 s4, s1, s4
	s_add_i32 s1, s1, s4
	s_xor_b32 s4, s23, s2
	s_mul_hi_u32 s1, s5, s1
	s_ashr_i32 s4, s4, 31
	s_mul_i32 s20, s1, s0
	s_delay_alu instid0(SALU_CYCLE_1)
	s_sub_i32 s5, s5, s20
	s_add_i32 s20, s1, 1
	s_sub_i32 s24, s5, s0
	s_cmp_ge_u32 s5, s0
	s_cselect_b32 s1, s20, s1
	s_cselect_b32 s5, s24, s5
	s_add_i32 s20, s1, 1
	s_cmp_ge_u32 s5, s0
	s_cselect_b32 s0, s20, s1
	s_delay_alu instid0(SALU_CYCLE_1) | instskip(NEXT) | instid1(SALU_CYCLE_1)
	s_xor_b32 s0, s0, s4
	s_sub_i32 s4, s0, s4
	s_delay_alu instid0(SALU_CYCLE_1) | instskip(NEXT) | instid1(SALU_CYCLE_1)
	s_mul_i32 s0, s4, s2
	s_sub_i32 s20, s23, s0
	s_branch .LBB53_6
.LBB53_5:                               ;   in Loop: Header=BB53_6 Depth=1
	s_or_b32 exec_lo, exec_lo, s23
	s_add_i32 s0, s20, 1
	s_delay_alu instid0(SALU_CYCLE_1) | instskip(SKIP_1) | instid1(SALU_CYCLE_1)
	s_cmp_eq_u32 s0, s2
	s_cselect_b32 s1, -1, 0
	s_and_b32 s5, s1, exec_lo
	s_cselect_b32 s20, 0, s0
	s_cmp_lg_u32 s1, 0
	s_addc_u32 s4, s4, 0
	s_add_i32 s15, s15, 1
	s_delay_alu instid0(SALU_CYCLE_1)
	s_cmp_lt_i32 s15, s21
	s_cbranch_scc0 .LBB53_9
.LBB53_6:                               ; =>This Loop Header: Depth=1
                                        ;     Child Loop BB53_8 Depth 2
	s_and_saveexec_b32 s23, vcc_lo
	s_cbranch_execz .LBB53_5
; %bb.7:                                ;   in Loop: Header=BB53_6 Depth=1
	s_ashr_i32 s5, s4, 31
	s_load_b32 s27, s[12:13], 0xc
	s_lshl_b64 s[0:1], s[4:5], 2
	s_mul_hi_u32 s5, s15, s10
	s_add_u32 s0, s14, s0
	s_addc_u32 s1, s22, s1
	s_mul_i32 s24, s15, s10
	s_load_b32 s0, s[0:1], 0x0
	s_mul_i32 s1, s15, s11
	s_mul_i32 s25, s20, s9
	s_mul_hi_u32 s26, s20, s8
	v_mov_b32_e32 v1, v0
	s_waitcnt lgkmcnt(0)
	s_mul_i32 s28, s0, s7
	s_mul_hi_u32 s29, s0, s6
	s_ashr_i32 s30, s0, 31
	s_add_i32 s28, s29, s28
	s_mul_i32 s30, s30, s6
	s_mul_i32 s0, s0, s6
	s_add_i32 s28, s28, s30
	s_add_u32 s0, s16, s0
	s_addc_u32 s28, s17, s28
	s_ashr_i32 s29, s15, 31
	s_add_i32 s1, s5, s1
	s_mul_i32 s29, s29, s10
	s_mul_i32 s30, s20, s8
	s_add_i32 s1, s1, s29
	s_add_u32 s5, s18, s24
	s_addc_u32 s24, s19, s1
	s_ashr_i32 s1, s20, 31
	s_add_i32 s25, s26, s25
	s_mul_i32 s1, s1, s8
	s_delay_alu instid0(SALU_CYCLE_1)
	s_add_i32 s1, s25, s1
	s_add_u32 s25, s0, s30
	s_addc_u32 s26, s28, s1
	s_and_b32 s27, s27, 0xffff
	s_mov_b32 s28, 0
	.p2align	6
.LBB53_8:                               ;   Parent Loop BB53_6 Depth=1
                                        ; =>  This Inner Loop Header: Depth=2
	v_ashrrev_i32_e32 v4, 31, v1
	v_add_co_u32 v2, s0, s25, v1
	s_delay_alu instid0(VALU_DEP_1) | instskip(SKIP_4) | instid1(VALU_DEP_2)
	v_add_co_ci_u32_e64 v3, s0, s26, v4, s0
	global_load_u8 v5, v[2:3], off
	v_add_co_u32 v2, s0, s5, v1
	v_add_nc_u32_e32 v1, s27, v1
	v_add_co_ci_u32_e64 v3, s0, s24, v4, s0
	v_cmp_le_i32_e64 s1, s3, v1
	s_delay_alu instid0(VALU_DEP_1)
	s_or_b32 s28, s1, s28
	s_waitcnt vmcnt(0)
	global_store_b8 v[2:3], v5, off
	s_and_not1_b32 exec_lo, exec_lo, s28
	s_cbranch_execnz .LBB53_8
	s_branch .LBB53_5
.LBB53_9:
	s_nop 0
	s_sendmsg sendmsg(MSG_DEALLOC_VGPRS)
	s_endpgm
	.section	.rodata,"a",@progbits
	.p2align	6, 0x0
	.amdhsa_kernel _ZN4vllm15cp_gather_cacheIhEEvPKT_PS1_PKiS6_iillllS6_
		.amdhsa_group_segment_fixed_size 0
		.amdhsa_private_segment_fixed_size 0
		.amdhsa_kernarg_size 336
		.amdhsa_user_sgpr_count 14
		.amdhsa_user_sgpr_dispatch_ptr 0
		.amdhsa_user_sgpr_queue_ptr 0
		.amdhsa_user_sgpr_kernarg_segment_ptr 1
		.amdhsa_user_sgpr_dispatch_id 0
		.amdhsa_user_sgpr_private_segment_size 0
		.amdhsa_wavefront_size32 1
		.amdhsa_uses_dynamic_stack 0
		.amdhsa_enable_private_segment 0
		.amdhsa_system_sgpr_workgroup_id_x 1
		.amdhsa_system_sgpr_workgroup_id_y 1
		.amdhsa_system_sgpr_workgroup_id_z 0
		.amdhsa_system_sgpr_workgroup_info 0
		.amdhsa_system_vgpr_workitem_id 0
		.amdhsa_next_free_vgpr 6
		.amdhsa_next_free_sgpr 31
		.amdhsa_reserve_vcc 1
		.amdhsa_float_round_mode_32 0
		.amdhsa_float_round_mode_16_64 0
		.amdhsa_float_denorm_mode_32 3
		.amdhsa_float_denorm_mode_16_64 3
		.amdhsa_dx10_clamp 1
		.amdhsa_ieee_mode 1
		.amdhsa_fp16_overflow 0
		.amdhsa_workgroup_processor_mode 1
		.amdhsa_memory_ordered 1
		.amdhsa_forward_progress 0
		.amdhsa_shared_vgpr_count 0
		.amdhsa_exception_fp_ieee_invalid_op 0
		.amdhsa_exception_fp_denorm_src 0
		.amdhsa_exception_fp_ieee_div_zero 0
		.amdhsa_exception_fp_ieee_overflow 0
		.amdhsa_exception_fp_ieee_underflow 0
		.amdhsa_exception_fp_ieee_inexact 0
		.amdhsa_exception_int_div_zero 0
	.end_amdhsa_kernel
	.section	.text._ZN4vllm15cp_gather_cacheIhEEvPKT_PS1_PKiS6_iillllS6_,"axG",@progbits,_ZN4vllm15cp_gather_cacheIhEEvPKT_PS1_PKiS6_iillllS6_,comdat
.Lfunc_end53:
	.size	_ZN4vllm15cp_gather_cacheIhEEvPKT_PS1_PKiS6_iillllS6_, .Lfunc_end53-_ZN4vllm15cp_gather_cacheIhEEvPKT_PS1_PKiS6_iillllS6_
                                        ; -- End function
	.section	.AMDGPU.csdata,"",@progbits
; Kernel info:
; codeLenInByte = 880
; NumSgprs: 33
; NumVgprs: 6
; ScratchSize: 0
; MemoryBound: 0
; FloatMode: 240
; IeeeMode: 1
; LDSByteSize: 0 bytes/workgroup (compile time only)
; SGPRBlocks: 4
; VGPRBlocks: 0
; NumSGPRsForWavesPerEU: 33
; NumVGPRsForWavesPerEU: 6
; Occupancy: 16
; WaveLimiterHint : 1
; COMPUTE_PGM_RSRC2:SCRATCH_EN: 0
; COMPUTE_PGM_RSRC2:USER_SGPR: 14
; COMPUTE_PGM_RSRC2:TRAP_HANDLER: 0
; COMPUTE_PGM_RSRC2:TGID_X_EN: 1
; COMPUTE_PGM_RSRC2:TGID_Y_EN: 1
; COMPUTE_PGM_RSRC2:TGID_Z_EN: 0
; COMPUTE_PGM_RSRC2:TIDIG_COMP_CNT: 0
	.section	.text._ZN4vllm32indexer_k_quant_and_cache_kernelIffLNS_18Fp8KVCacheDataTypeE0EEEvPKT_PT0_PKliiiib,"axG",@progbits,_ZN4vllm32indexer_k_quant_and_cache_kernelIffLNS_18Fp8KVCacheDataTypeE0EEEvPKT_PT0_PKliiiib,comdat
	.protected	_ZN4vllm32indexer_k_quant_and_cache_kernelIffLNS_18Fp8KVCacheDataTypeE0EEEvPKT_PT0_PKliiiib ; -- Begin function _ZN4vllm32indexer_k_quant_and_cache_kernelIffLNS_18Fp8KVCacheDataTypeE0EEEvPKT_PT0_PKliiiib
	.globl	_ZN4vllm32indexer_k_quant_and_cache_kernelIffLNS_18Fp8KVCacheDataTypeE0EEEvPKT_PT0_PKliiiib
	.p2align	8
	.type	_ZN4vllm32indexer_k_quant_and_cache_kernelIffLNS_18Fp8KVCacheDataTypeE0EEEvPKT_PT0_PKliiiib,@function
_ZN4vllm32indexer_k_quant_and_cache_kernelIffLNS_18Fp8KVCacheDataTypeE0EEEvPKT_PT0_PKliiiib: ; @_ZN4vllm32indexer_k_quant_and_cache_kernelIffLNS_18Fp8KVCacheDataTypeE0EEEvPKT_PT0_PKliiiib
; %bb.0:
	s_load_b64 s[4:5], s[0:1], 0x10
	s_mov_b32 s2, s14
	s_mov_b32 s3, 0
	;; [unrolled: 1-line block ×3, first 2 shown]
	s_lshl_b64 s[2:3], s[2:3], 3
	s_waitcnt lgkmcnt(0)
	s_add_u32 s2, s4, s2
	s_addc_u32 s3, s5, s3
	s_load_b64 s[2:3], s[2:3], 0x0
	s_waitcnt lgkmcnt(0)
	v_cmp_lt_i64_e64 s2, s[2:3], 0
	s_delay_alu instid0(VALU_DEP_1)
	s_and_b32 vcc_lo, exec_lo, s2
	s_cbranch_vccnz .LBB54_3
; %bb.1:
	s_clause 0x1
	s_load_b32 s3, s[0:1], 0x3c
	s_load_b32 s2, s[0:1], 0x18
	v_bfe_u32 v1, v0, 10, 10
	v_and_b32_e32 v0, 0x3ff, v0
	s_waitcnt lgkmcnt(0)
	s_lshr_b32 s4, s3, 16
	s_and_b32 s3, s3, 0xffff
	v_mad_u64_u32 v[2:3], null, s15, s4, v[1:2]
	s_delay_alu instid0(VALU_DEP_1) | instskip(SKIP_1) | instid1(VALU_DEP_1)
	v_mul_lo_u32 v1, v2, s3
	s_ashr_i32 s3, s2, 31
	v_add_lshl_u32 v0, v1, v0, 2
	v_mov_b32_e32 v1, 0
	s_delay_alu instid0(VALU_DEP_1)
	v_cmp_gt_i64_e32 vcc_lo, s[2:3], v[0:1]
	s_and_saveexec_b32 s2, vcc_lo
	s_cbranch_execz .LBB54_3
; %bb.2:
	s_add_u32 s8, s0, 48
	s_addc_u32 s9, s1, 0
	s_getpc_b64 s[0:1]
	s_add_u32 s0, s0, .str@rel32@lo+4
	s_addc_u32 s1, s1, .str@rel32@hi+12
	s_getpc_b64 s[2:3]
	s_add_u32 s2, s2, .str.1@rel32@lo+4
	s_addc_u32 s3, s3, .str.1@rel32@hi+12
	s_getpc_b64 s[4:5]
	s_add_u32 s4, s4, __PRETTY_FUNCTION__._ZN4vllm3fp814scaled_convertIffLNS_18Fp8KVCacheDataTypeE0EEET_RKT0_f@rel32@lo+4
	s_addc_u32 s5, s5, __PRETTY_FUNCTION__._ZN4vllm3fp814scaled_convertIffLNS_18Fp8KVCacheDataTypeE0EEET_RKT0_f@rel32@hi+12
	v_dual_mov_b32 v0, s0 :: v_dual_mov_b32 v1, s1
	v_dual_mov_b32 v2, s2 :: v_dual_mov_b32 v3, s3
	;; [unrolled: 1-line block ×3, first 2 shown]
	v_mov_b32_e32 v6, s5
	s_getpc_b64 s[6:7]
	s_add_u32 s6, s6, __assert_fail@rel32@lo+4
	s_addc_u32 s7, s7, __assert_fail@rel32@hi+12
	s_delay_alu instid0(SALU_CYCLE_1)
	s_swappc_b64 s[30:31], s[6:7]
	; divergent unreachable
.LBB54_3:
	s_endpgm
	.section	.rodata,"a",@progbits
	.p2align	6, 0x0
	.amdhsa_kernel _ZN4vllm32indexer_k_quant_and_cache_kernelIffLNS_18Fp8KVCacheDataTypeE0EEEvPKT_PT0_PKliiiib
		.amdhsa_group_segment_fixed_size 0
		.amdhsa_private_segment_fixed_size 64
		.amdhsa_kernarg_size 304
		.amdhsa_user_sgpr_count 14
		.amdhsa_user_sgpr_dispatch_ptr 0
		.amdhsa_user_sgpr_queue_ptr 0
		.amdhsa_user_sgpr_kernarg_segment_ptr 1
		.amdhsa_user_sgpr_dispatch_id 0
		.amdhsa_user_sgpr_private_segment_size 0
		.amdhsa_wavefront_size32 1
		.amdhsa_uses_dynamic_stack 0
		.amdhsa_enable_private_segment 1
		.amdhsa_system_sgpr_workgroup_id_x 1
		.amdhsa_system_sgpr_workgroup_id_y 1
		.amdhsa_system_sgpr_workgroup_id_z 0
		.amdhsa_system_sgpr_workgroup_info 0
		.amdhsa_system_vgpr_workitem_id 1
		.amdhsa_next_free_vgpr 53
		.amdhsa_next_free_sgpr 34
		.amdhsa_reserve_vcc 1
		.amdhsa_float_round_mode_32 0
		.amdhsa_float_round_mode_16_64 0
		.amdhsa_float_denorm_mode_32 3
		.amdhsa_float_denorm_mode_16_64 3
		.amdhsa_dx10_clamp 1
		.amdhsa_ieee_mode 1
		.amdhsa_fp16_overflow 0
		.amdhsa_workgroup_processor_mode 1
		.amdhsa_memory_ordered 1
		.amdhsa_forward_progress 0
		.amdhsa_shared_vgpr_count 0
		.amdhsa_exception_fp_ieee_invalid_op 0
		.amdhsa_exception_fp_denorm_src 0
		.amdhsa_exception_fp_ieee_div_zero 0
		.amdhsa_exception_fp_ieee_overflow 0
		.amdhsa_exception_fp_ieee_underflow 0
		.amdhsa_exception_fp_ieee_inexact 0
		.amdhsa_exception_int_div_zero 0
	.end_amdhsa_kernel
	.section	.text._ZN4vllm32indexer_k_quant_and_cache_kernelIffLNS_18Fp8KVCacheDataTypeE0EEEvPKT_PT0_PKliiiib,"axG",@progbits,_ZN4vllm32indexer_k_quant_and_cache_kernelIffLNS_18Fp8KVCacheDataTypeE0EEEvPKT_PT0_PKliiiib,comdat
.Lfunc_end54:
	.size	_ZN4vllm32indexer_k_quant_and_cache_kernelIffLNS_18Fp8KVCacheDataTypeE0EEEvPKT_PT0_PKliiiib, .Lfunc_end54-_ZN4vllm32indexer_k_quant_and_cache_kernelIffLNS_18Fp8KVCacheDataTypeE0EEEvPKT_PT0_PKliiiib
                                        ; -- End function
	.section	.AMDGPU.csdata,"",@progbits
; Kernel info:
; codeLenInByte = 304
; NumSgprs: 36
; NumVgprs: 53
; ScratchSize: 64
; MemoryBound: 0
; FloatMode: 240
; IeeeMode: 1
; LDSByteSize: 0 bytes/workgroup (compile time only)
; SGPRBlocks: 4
; VGPRBlocks: 6
; NumSGPRsForWavesPerEU: 36
; NumVGPRsForWavesPerEU: 53
; Occupancy: 16
; WaveLimiterHint : 1
; COMPUTE_PGM_RSRC2:SCRATCH_EN: 1
; COMPUTE_PGM_RSRC2:USER_SGPR: 14
; COMPUTE_PGM_RSRC2:TRAP_HANDLER: 0
; COMPUTE_PGM_RSRC2:TGID_X_EN: 1
; COMPUTE_PGM_RSRC2:TGID_Y_EN: 1
; COMPUTE_PGM_RSRC2:TGID_Z_EN: 0
; COMPUTE_PGM_RSRC2:TIDIG_COMP_CNT: 1
	.section	.text._ZN4vllm32indexer_k_quant_and_cache_kernelIttLNS_18Fp8KVCacheDataTypeE0EEEvPKT_PT0_PKliiiib,"axG",@progbits,_ZN4vllm32indexer_k_quant_and_cache_kernelIttLNS_18Fp8KVCacheDataTypeE0EEEvPKT_PT0_PKliiiib,comdat
	.protected	_ZN4vllm32indexer_k_quant_and_cache_kernelIttLNS_18Fp8KVCacheDataTypeE0EEEvPKT_PT0_PKliiiib ; -- Begin function _ZN4vllm32indexer_k_quant_and_cache_kernelIttLNS_18Fp8KVCacheDataTypeE0EEEvPKT_PT0_PKliiiib
	.globl	_ZN4vllm32indexer_k_quant_and_cache_kernelIttLNS_18Fp8KVCacheDataTypeE0EEEvPKT_PT0_PKliiiib
	.p2align	8
	.type	_ZN4vllm32indexer_k_quant_and_cache_kernelIttLNS_18Fp8KVCacheDataTypeE0EEEvPKT_PT0_PKliiiib,@function
_ZN4vllm32indexer_k_quant_and_cache_kernelIttLNS_18Fp8KVCacheDataTypeE0EEEvPKT_PT0_PKliiiib: ; @_ZN4vllm32indexer_k_quant_and_cache_kernelIttLNS_18Fp8KVCacheDataTypeE0EEEvPKT_PT0_PKliiiib
; %bb.0:
	s_load_b64 s[4:5], s[0:1], 0x10
	s_mov_b32 s2, s14
	s_mov_b32 s3, 0
	;; [unrolled: 1-line block ×3, first 2 shown]
	s_lshl_b64 s[2:3], s[2:3], 3
	s_waitcnt lgkmcnt(0)
	s_add_u32 s2, s4, s2
	s_addc_u32 s3, s5, s3
	s_load_b64 s[2:3], s[2:3], 0x0
	s_waitcnt lgkmcnt(0)
	v_cmp_lt_i64_e64 s2, s[2:3], 0
	s_delay_alu instid0(VALU_DEP_1)
	s_and_b32 vcc_lo, exec_lo, s2
	s_cbranch_vccnz .LBB55_3
; %bb.1:
	s_clause 0x1
	s_load_b32 s3, s[0:1], 0x3c
	s_load_b32 s2, s[0:1], 0x18
	v_bfe_u32 v1, v0, 10, 10
	v_and_b32_e32 v0, 0x3ff, v0
	s_waitcnt lgkmcnt(0)
	s_lshr_b32 s4, s3, 16
	s_and_b32 s3, s3, 0xffff
	v_mad_u64_u32 v[2:3], null, s15, s4, v[1:2]
	s_delay_alu instid0(VALU_DEP_1) | instskip(SKIP_1) | instid1(VALU_DEP_1)
	v_mul_lo_u32 v1, v2, s3
	s_ashr_i32 s3, s2, 31
	v_add_lshl_u32 v0, v1, v0, 2
	v_mov_b32_e32 v1, 0
	s_delay_alu instid0(VALU_DEP_1)
	v_cmp_gt_i64_e32 vcc_lo, s[2:3], v[0:1]
	s_and_saveexec_b32 s2, vcc_lo
	s_cbranch_execz .LBB55_3
; %bb.2:
	s_add_u32 s8, s0, 48
	s_addc_u32 s9, s1, 0
	s_getpc_b64 s[0:1]
	s_add_u32 s0, s0, .str@rel32@lo+4
	s_addc_u32 s1, s1, .str@rel32@hi+12
	s_getpc_b64 s[2:3]
	s_add_u32 s2, s2, .str.1@rel32@lo+4
	s_addc_u32 s3, s3, .str.1@rel32@hi+12
	s_getpc_b64 s[4:5]
	s_add_u32 s4, s4, __PRETTY_FUNCTION__._ZN4vllm3fp814scaled_convertIttLNS_18Fp8KVCacheDataTypeE0EEET_RKT0_f@rel32@lo+4
	s_addc_u32 s5, s5, __PRETTY_FUNCTION__._ZN4vllm3fp814scaled_convertIttLNS_18Fp8KVCacheDataTypeE0EEET_RKT0_f@rel32@hi+12
	v_dual_mov_b32 v0, s0 :: v_dual_mov_b32 v1, s1
	v_dual_mov_b32 v2, s2 :: v_dual_mov_b32 v3, s3
	;; [unrolled: 1-line block ×3, first 2 shown]
	v_mov_b32_e32 v6, s5
	s_getpc_b64 s[6:7]
	s_add_u32 s6, s6, __assert_fail@rel32@lo+4
	s_addc_u32 s7, s7, __assert_fail@rel32@hi+12
	s_delay_alu instid0(SALU_CYCLE_1)
	s_swappc_b64 s[30:31], s[6:7]
	; divergent unreachable
.LBB55_3:
	s_endpgm
	.section	.rodata,"a",@progbits
	.p2align	6, 0x0
	.amdhsa_kernel _ZN4vllm32indexer_k_quant_and_cache_kernelIttLNS_18Fp8KVCacheDataTypeE0EEEvPKT_PT0_PKliiiib
		.amdhsa_group_segment_fixed_size 0
		.amdhsa_private_segment_fixed_size 64
		.amdhsa_kernarg_size 304
		.amdhsa_user_sgpr_count 14
		.amdhsa_user_sgpr_dispatch_ptr 0
		.amdhsa_user_sgpr_queue_ptr 0
		.amdhsa_user_sgpr_kernarg_segment_ptr 1
		.amdhsa_user_sgpr_dispatch_id 0
		.amdhsa_user_sgpr_private_segment_size 0
		.amdhsa_wavefront_size32 1
		.amdhsa_uses_dynamic_stack 0
		.amdhsa_enable_private_segment 1
		.amdhsa_system_sgpr_workgroup_id_x 1
		.amdhsa_system_sgpr_workgroup_id_y 1
		.amdhsa_system_sgpr_workgroup_id_z 0
		.amdhsa_system_sgpr_workgroup_info 0
		.amdhsa_system_vgpr_workitem_id 1
		.amdhsa_next_free_vgpr 53
		.amdhsa_next_free_sgpr 34
		.amdhsa_reserve_vcc 1
		.amdhsa_float_round_mode_32 0
		.amdhsa_float_round_mode_16_64 0
		.amdhsa_float_denorm_mode_32 3
		.amdhsa_float_denorm_mode_16_64 3
		.amdhsa_dx10_clamp 1
		.amdhsa_ieee_mode 1
		.amdhsa_fp16_overflow 0
		.amdhsa_workgroup_processor_mode 1
		.amdhsa_memory_ordered 1
		.amdhsa_forward_progress 0
		.amdhsa_shared_vgpr_count 0
		.amdhsa_exception_fp_ieee_invalid_op 0
		.amdhsa_exception_fp_denorm_src 0
		.amdhsa_exception_fp_ieee_div_zero 0
		.amdhsa_exception_fp_ieee_overflow 0
		.amdhsa_exception_fp_ieee_underflow 0
		.amdhsa_exception_fp_ieee_inexact 0
		.amdhsa_exception_int_div_zero 0
	.end_amdhsa_kernel
	.section	.text._ZN4vllm32indexer_k_quant_and_cache_kernelIttLNS_18Fp8KVCacheDataTypeE0EEEvPKT_PT0_PKliiiib,"axG",@progbits,_ZN4vllm32indexer_k_quant_and_cache_kernelIttLNS_18Fp8KVCacheDataTypeE0EEEvPKT_PT0_PKliiiib,comdat
.Lfunc_end55:
	.size	_ZN4vllm32indexer_k_quant_and_cache_kernelIttLNS_18Fp8KVCacheDataTypeE0EEEvPKT_PT0_PKliiiib, .Lfunc_end55-_ZN4vllm32indexer_k_quant_and_cache_kernelIttLNS_18Fp8KVCacheDataTypeE0EEEvPKT_PT0_PKliiiib
                                        ; -- End function
	.section	.AMDGPU.csdata,"",@progbits
; Kernel info:
; codeLenInByte = 304
; NumSgprs: 36
; NumVgprs: 53
; ScratchSize: 64
; MemoryBound: 0
; FloatMode: 240
; IeeeMode: 1
; LDSByteSize: 0 bytes/workgroup (compile time only)
; SGPRBlocks: 4
; VGPRBlocks: 6
; NumSGPRsForWavesPerEU: 36
; NumVGPRsForWavesPerEU: 53
; Occupancy: 16
; WaveLimiterHint : 1
; COMPUTE_PGM_RSRC2:SCRATCH_EN: 1
; COMPUTE_PGM_RSRC2:USER_SGPR: 14
; COMPUTE_PGM_RSRC2:TRAP_HANDLER: 0
; COMPUTE_PGM_RSRC2:TGID_X_EN: 1
; COMPUTE_PGM_RSRC2:TGID_Y_EN: 1
; COMPUTE_PGM_RSRC2:TGID_Z_EN: 0
; COMPUTE_PGM_RSRC2:TIDIG_COMP_CNT: 1
	.section	.text._ZN4vllm32indexer_k_quant_and_cache_kernelI14__hip_bfloat16S1_LNS_18Fp8KVCacheDataTypeE0EEEvPKT_PT0_PKliiiib,"axG",@progbits,_ZN4vllm32indexer_k_quant_and_cache_kernelI14__hip_bfloat16S1_LNS_18Fp8KVCacheDataTypeE0EEEvPKT_PT0_PKliiiib,comdat
	.protected	_ZN4vllm32indexer_k_quant_and_cache_kernelI14__hip_bfloat16S1_LNS_18Fp8KVCacheDataTypeE0EEEvPKT_PT0_PKliiiib ; -- Begin function _ZN4vllm32indexer_k_quant_and_cache_kernelI14__hip_bfloat16S1_LNS_18Fp8KVCacheDataTypeE0EEEvPKT_PT0_PKliiiib
	.globl	_ZN4vllm32indexer_k_quant_and_cache_kernelI14__hip_bfloat16S1_LNS_18Fp8KVCacheDataTypeE0EEEvPKT_PT0_PKliiiib
	.p2align	8
	.type	_ZN4vllm32indexer_k_quant_and_cache_kernelI14__hip_bfloat16S1_LNS_18Fp8KVCacheDataTypeE0EEEvPKT_PT0_PKliiiib,@function
_ZN4vllm32indexer_k_quant_and_cache_kernelI14__hip_bfloat16S1_LNS_18Fp8KVCacheDataTypeE0EEEvPKT_PT0_PKliiiib: ; @_ZN4vllm32indexer_k_quant_and_cache_kernelI14__hip_bfloat16S1_LNS_18Fp8KVCacheDataTypeE0EEEvPKT_PT0_PKliiiib
; %bb.0:
	s_load_b64 s[4:5], s[0:1], 0x10
	s_mov_b32 s2, s14
	s_mov_b32 s3, 0
	;; [unrolled: 1-line block ×3, first 2 shown]
	s_lshl_b64 s[2:3], s[2:3], 3
	s_waitcnt lgkmcnt(0)
	s_add_u32 s2, s4, s2
	s_addc_u32 s3, s5, s3
	s_load_b64 s[2:3], s[2:3], 0x0
	s_waitcnt lgkmcnt(0)
	v_cmp_lt_i64_e64 s2, s[2:3], 0
	s_delay_alu instid0(VALU_DEP_1)
	s_and_b32 vcc_lo, exec_lo, s2
	s_cbranch_vccnz .LBB56_3
; %bb.1:
	s_clause 0x1
	s_load_b32 s3, s[0:1], 0x3c
	s_load_b32 s2, s[0:1], 0x18
	v_bfe_u32 v1, v0, 10, 10
	v_and_b32_e32 v0, 0x3ff, v0
	s_waitcnt lgkmcnt(0)
	s_lshr_b32 s4, s3, 16
	s_and_b32 s3, s3, 0xffff
	v_mad_u64_u32 v[2:3], null, s15, s4, v[1:2]
	s_delay_alu instid0(VALU_DEP_1) | instskip(SKIP_1) | instid1(VALU_DEP_1)
	v_mul_lo_u32 v1, v2, s3
	s_ashr_i32 s3, s2, 31
	v_add_lshl_u32 v0, v1, v0, 2
	v_mov_b32_e32 v1, 0
	s_delay_alu instid0(VALU_DEP_1)
	v_cmp_gt_i64_e32 vcc_lo, s[2:3], v[0:1]
	s_and_saveexec_b32 s2, vcc_lo
	s_cbranch_execz .LBB56_3
; %bb.2:
	s_add_u32 s8, s0, 48
	s_addc_u32 s9, s1, 0
	s_getpc_b64 s[0:1]
	s_add_u32 s0, s0, .str@rel32@lo+4
	s_addc_u32 s1, s1, .str@rel32@hi+12
	s_getpc_b64 s[2:3]
	s_add_u32 s2, s2, .str.1@rel32@lo+4
	s_addc_u32 s3, s3, .str.1@rel32@hi+12
	s_getpc_b64 s[4:5]
	s_add_u32 s4, s4, __PRETTY_FUNCTION__._ZN4vllm3fp814scaled_convertI14__hip_bfloat16S2_LNS_18Fp8KVCacheDataTypeE0EEET_RKT0_f@rel32@lo+4
	s_addc_u32 s5, s5, __PRETTY_FUNCTION__._ZN4vllm3fp814scaled_convertI14__hip_bfloat16S2_LNS_18Fp8KVCacheDataTypeE0EEET_RKT0_f@rel32@hi+12
	v_dual_mov_b32 v0, s0 :: v_dual_mov_b32 v1, s1
	v_dual_mov_b32 v2, s2 :: v_dual_mov_b32 v3, s3
	;; [unrolled: 1-line block ×3, first 2 shown]
	v_mov_b32_e32 v6, s5
	s_getpc_b64 s[6:7]
	s_add_u32 s6, s6, __assert_fail@rel32@lo+4
	s_addc_u32 s7, s7, __assert_fail@rel32@hi+12
	s_delay_alu instid0(SALU_CYCLE_1)
	s_swappc_b64 s[30:31], s[6:7]
	; divergent unreachable
.LBB56_3:
	s_endpgm
	.section	.rodata,"a",@progbits
	.p2align	6, 0x0
	.amdhsa_kernel _ZN4vllm32indexer_k_quant_and_cache_kernelI14__hip_bfloat16S1_LNS_18Fp8KVCacheDataTypeE0EEEvPKT_PT0_PKliiiib
		.amdhsa_group_segment_fixed_size 0
		.amdhsa_private_segment_fixed_size 64
		.amdhsa_kernarg_size 304
		.amdhsa_user_sgpr_count 14
		.amdhsa_user_sgpr_dispatch_ptr 0
		.amdhsa_user_sgpr_queue_ptr 0
		.amdhsa_user_sgpr_kernarg_segment_ptr 1
		.amdhsa_user_sgpr_dispatch_id 0
		.amdhsa_user_sgpr_private_segment_size 0
		.amdhsa_wavefront_size32 1
		.amdhsa_uses_dynamic_stack 0
		.amdhsa_enable_private_segment 1
		.amdhsa_system_sgpr_workgroup_id_x 1
		.amdhsa_system_sgpr_workgroup_id_y 1
		.amdhsa_system_sgpr_workgroup_id_z 0
		.amdhsa_system_sgpr_workgroup_info 0
		.amdhsa_system_vgpr_workitem_id 1
		.amdhsa_next_free_vgpr 53
		.amdhsa_next_free_sgpr 34
		.amdhsa_reserve_vcc 1
		.amdhsa_float_round_mode_32 0
		.amdhsa_float_round_mode_16_64 0
		.amdhsa_float_denorm_mode_32 3
		.amdhsa_float_denorm_mode_16_64 3
		.amdhsa_dx10_clamp 1
		.amdhsa_ieee_mode 1
		.amdhsa_fp16_overflow 0
		.amdhsa_workgroup_processor_mode 1
		.amdhsa_memory_ordered 1
		.amdhsa_forward_progress 0
		.amdhsa_shared_vgpr_count 0
		.amdhsa_exception_fp_ieee_invalid_op 0
		.amdhsa_exception_fp_denorm_src 0
		.amdhsa_exception_fp_ieee_div_zero 0
		.amdhsa_exception_fp_ieee_overflow 0
		.amdhsa_exception_fp_ieee_underflow 0
		.amdhsa_exception_fp_ieee_inexact 0
		.amdhsa_exception_int_div_zero 0
	.end_amdhsa_kernel
	.section	.text._ZN4vllm32indexer_k_quant_and_cache_kernelI14__hip_bfloat16S1_LNS_18Fp8KVCacheDataTypeE0EEEvPKT_PT0_PKliiiib,"axG",@progbits,_ZN4vllm32indexer_k_quant_and_cache_kernelI14__hip_bfloat16S1_LNS_18Fp8KVCacheDataTypeE0EEEvPKT_PT0_PKliiiib,comdat
.Lfunc_end56:
	.size	_ZN4vllm32indexer_k_quant_and_cache_kernelI14__hip_bfloat16S1_LNS_18Fp8KVCacheDataTypeE0EEEvPKT_PT0_PKliiiib, .Lfunc_end56-_ZN4vllm32indexer_k_quant_and_cache_kernelI14__hip_bfloat16S1_LNS_18Fp8KVCacheDataTypeE0EEEvPKT_PT0_PKliiiib
                                        ; -- End function
	.section	.AMDGPU.csdata,"",@progbits
; Kernel info:
; codeLenInByte = 304
; NumSgprs: 36
; NumVgprs: 53
; ScratchSize: 64
; MemoryBound: 0
; FloatMode: 240
; IeeeMode: 1
; LDSByteSize: 0 bytes/workgroup (compile time only)
; SGPRBlocks: 4
; VGPRBlocks: 6
; NumSGPRsForWavesPerEU: 36
; NumVGPRsForWavesPerEU: 53
; Occupancy: 16
; WaveLimiterHint : 1
; COMPUTE_PGM_RSRC2:SCRATCH_EN: 1
; COMPUTE_PGM_RSRC2:USER_SGPR: 14
; COMPUTE_PGM_RSRC2:TRAP_HANDLER: 0
; COMPUTE_PGM_RSRC2:TGID_X_EN: 1
; COMPUTE_PGM_RSRC2:TGID_Y_EN: 1
; COMPUTE_PGM_RSRC2:TGID_Z_EN: 0
; COMPUTE_PGM_RSRC2:TIDIG_COMP_CNT: 1
	.section	.text._ZN4vllm32indexer_k_quant_and_cache_kernelIfhLNS_18Fp8KVCacheDataTypeE1EEEvPKT_PT0_PKliiiib,"axG",@progbits,_ZN4vllm32indexer_k_quant_and_cache_kernelIfhLNS_18Fp8KVCacheDataTypeE1EEEvPKT_PT0_PKliiiib,comdat
	.protected	_ZN4vllm32indexer_k_quant_and_cache_kernelIfhLNS_18Fp8KVCacheDataTypeE1EEEvPKT_PT0_PKliiiib ; -- Begin function _ZN4vllm32indexer_k_quant_and_cache_kernelIfhLNS_18Fp8KVCacheDataTypeE1EEEvPKT_PT0_PKliiiib
	.globl	_ZN4vllm32indexer_k_quant_and_cache_kernelIfhLNS_18Fp8KVCacheDataTypeE1EEEvPKT_PT0_PKliiiib
	.p2align	8
	.type	_ZN4vllm32indexer_k_quant_and_cache_kernelIfhLNS_18Fp8KVCacheDataTypeE1EEEvPKT_PT0_PKliiiib,@function
_ZN4vllm32indexer_k_quant_and_cache_kernelIfhLNS_18Fp8KVCacheDataTypeE1EEEvPKT_PT0_PKliiiib: ; @_ZN4vllm32indexer_k_quant_and_cache_kernelIfhLNS_18Fp8KVCacheDataTypeE1EEEvPKT_PT0_PKliiiib
; %bb.0:
	s_endpgm
	.section	.rodata,"a",@progbits
	.p2align	6, 0x0
	.amdhsa_kernel _ZN4vllm32indexer_k_quant_and_cache_kernelIfhLNS_18Fp8KVCacheDataTypeE1EEEvPKT_PT0_PKliiiib
		.amdhsa_group_segment_fixed_size 0
		.amdhsa_private_segment_fixed_size 0
		.amdhsa_kernarg_size 304
		.amdhsa_user_sgpr_count 14
		.amdhsa_user_sgpr_dispatch_ptr 0
		.amdhsa_user_sgpr_queue_ptr 0
		.amdhsa_user_sgpr_kernarg_segment_ptr 1
		.amdhsa_user_sgpr_dispatch_id 0
		.amdhsa_user_sgpr_private_segment_size 0
		.amdhsa_wavefront_size32 1
		.amdhsa_uses_dynamic_stack 0
		.amdhsa_enable_private_segment 0
		.amdhsa_system_sgpr_workgroup_id_x 1
		.amdhsa_system_sgpr_workgroup_id_y 1
		.amdhsa_system_sgpr_workgroup_id_z 0
		.amdhsa_system_sgpr_workgroup_info 0
		.amdhsa_system_vgpr_workitem_id 1
		.amdhsa_next_free_vgpr 1
		.amdhsa_next_free_sgpr 1
		.amdhsa_reserve_vcc 0
		.amdhsa_float_round_mode_32 0
		.amdhsa_float_round_mode_16_64 0
		.amdhsa_float_denorm_mode_32 3
		.amdhsa_float_denorm_mode_16_64 3
		.amdhsa_dx10_clamp 1
		.amdhsa_ieee_mode 1
		.amdhsa_fp16_overflow 0
		.amdhsa_workgroup_processor_mode 1
		.amdhsa_memory_ordered 1
		.amdhsa_forward_progress 0
		.amdhsa_shared_vgpr_count 0
		.amdhsa_exception_fp_ieee_invalid_op 0
		.amdhsa_exception_fp_denorm_src 0
		.amdhsa_exception_fp_ieee_div_zero 0
		.amdhsa_exception_fp_ieee_overflow 0
		.amdhsa_exception_fp_ieee_underflow 0
		.amdhsa_exception_fp_ieee_inexact 0
		.amdhsa_exception_int_div_zero 0
	.end_amdhsa_kernel
	.section	.text._ZN4vllm32indexer_k_quant_and_cache_kernelIfhLNS_18Fp8KVCacheDataTypeE1EEEvPKT_PT0_PKliiiib,"axG",@progbits,_ZN4vllm32indexer_k_quant_and_cache_kernelIfhLNS_18Fp8KVCacheDataTypeE1EEEvPKT_PT0_PKliiiib,comdat
.Lfunc_end57:
	.size	_ZN4vllm32indexer_k_quant_and_cache_kernelIfhLNS_18Fp8KVCacheDataTypeE1EEEvPKT_PT0_PKliiiib, .Lfunc_end57-_ZN4vllm32indexer_k_quant_and_cache_kernelIfhLNS_18Fp8KVCacheDataTypeE1EEEvPKT_PT0_PKliiiib
                                        ; -- End function
	.section	.AMDGPU.csdata,"",@progbits
; Kernel info:
; codeLenInByte = 4
; NumSgprs: 0
; NumVgprs: 0
; ScratchSize: 0
; MemoryBound: 0
; FloatMode: 240
; IeeeMode: 1
; LDSByteSize: 0 bytes/workgroup (compile time only)
; SGPRBlocks: 0
; VGPRBlocks: 0
; NumSGPRsForWavesPerEU: 1
; NumVGPRsForWavesPerEU: 1
; Occupancy: 16
; WaveLimiterHint : 0
; COMPUTE_PGM_RSRC2:SCRATCH_EN: 0
; COMPUTE_PGM_RSRC2:USER_SGPR: 14
; COMPUTE_PGM_RSRC2:TRAP_HANDLER: 0
; COMPUTE_PGM_RSRC2:TGID_X_EN: 1
; COMPUTE_PGM_RSRC2:TGID_Y_EN: 1
; COMPUTE_PGM_RSRC2:TGID_Z_EN: 0
; COMPUTE_PGM_RSRC2:TIDIG_COMP_CNT: 1
	.section	.text._ZN4vllm32indexer_k_quant_and_cache_kernelIthLNS_18Fp8KVCacheDataTypeE1EEEvPKT_PT0_PKliiiib,"axG",@progbits,_ZN4vllm32indexer_k_quant_and_cache_kernelIthLNS_18Fp8KVCacheDataTypeE1EEEvPKT_PT0_PKliiiib,comdat
	.protected	_ZN4vllm32indexer_k_quant_and_cache_kernelIthLNS_18Fp8KVCacheDataTypeE1EEEvPKT_PT0_PKliiiib ; -- Begin function _ZN4vllm32indexer_k_quant_and_cache_kernelIthLNS_18Fp8KVCacheDataTypeE1EEEvPKT_PT0_PKliiiib
	.globl	_ZN4vllm32indexer_k_quant_and_cache_kernelIthLNS_18Fp8KVCacheDataTypeE1EEEvPKT_PT0_PKliiiib
	.p2align	8
	.type	_ZN4vllm32indexer_k_quant_and_cache_kernelIthLNS_18Fp8KVCacheDataTypeE1EEEvPKT_PT0_PKliiiib,@function
_ZN4vllm32indexer_k_quant_and_cache_kernelIthLNS_18Fp8KVCacheDataTypeE1EEEvPKT_PT0_PKliiiib: ; @_ZN4vllm32indexer_k_quant_and_cache_kernelIthLNS_18Fp8KVCacheDataTypeE1EEEvPKT_PT0_PKliiiib
; %bb.0:
	s_clause 0x1
	s_load_b64 s[8:9], s[0:1], 0x10
	s_load_b128 s[4:7], s[0:1], 0x18
	s_mov_b32 s2, s15
	s_mov_b32 s15, 0
	s_delay_alu instid0(SALU_CYCLE_1)
	s_lshl_b64 s[10:11], s[14:15], 3
	s_waitcnt lgkmcnt(0)
	s_add_u32 s8, s8, s10
	s_addc_u32 s9, s9, s11
	s_load_b64 s[10:11], s[8:9], 0x0
	s_ashr_i32 s9, s6, 31
	s_mov_b32 s8, s6
	s_waitcnt lgkmcnt(0)
	s_or_b64 s[12:13], s[10:11], s[8:9]
	s_mov_b32 s12, s15
	s_delay_alu instid0(SALU_CYCLE_1)
	s_cmp_lg_u64 s[12:13], 0
	s_cbranch_scc0 .LBB58_86
; %bb.1:
	s_add_u32 s16, s8, s9
	s_mov_b32 s12, s9
	s_mov_b32 s13, s9
	s_addc_u32 s17, s9, s9
	s_delay_alu instid0(SALU_CYCLE_1) | instskip(NEXT) | instid1(SALU_CYCLE_1)
	s_xor_b64 s[12:13], s[16:17], s[12:13]
	v_cvt_f32_u32_e32 v1, s12
	v_cvt_f32_u32_e32 v2, s13
	s_sub_u32 s9, 0, s12
	s_subb_u32 s16, 0, s13
	s_delay_alu instid0(VALU_DEP_1) | instskip(NEXT) | instid1(VALU_DEP_1)
	v_fmamk_f32 v1, v2, 0x4f800000, v1
	v_rcp_f32_e32 v1, v1
	s_waitcnt_depctr 0xfff
	v_mul_f32_e32 v1, 0x5f7ffffc, v1
	s_delay_alu instid0(VALU_DEP_1) | instskip(NEXT) | instid1(VALU_DEP_1)
	v_mul_f32_e32 v2, 0x2f800000, v1
	v_trunc_f32_e32 v2, v2
	s_delay_alu instid0(VALU_DEP_1) | instskip(SKIP_1) | instid1(VALU_DEP_2)
	v_fmamk_f32 v1, v2, 0xcf800000, v1
	v_cvt_u32_f32_e32 v2, v2
	v_cvt_u32_f32_e32 v1, v1
	s_delay_alu instid0(VALU_DEP_2) | instskip(NEXT) | instid1(VALU_DEP_2)
	v_readfirstlane_b32 s3, v2
	v_readfirstlane_b32 s6, v1
	s_delay_alu instid0(VALU_DEP_2) | instskip(NEXT) | instid1(VALU_DEP_1)
	s_mul_i32 s17, s9, s3
	s_mul_hi_u32 s19, s9, s6
	s_mul_i32 s18, s16, s6
	s_add_i32 s17, s19, s17
	s_mul_i32 s20, s9, s6
	s_add_i32 s17, s17, s18
	s_mul_hi_u32 s19, s6, s20
	s_mul_hi_u32 s21, s3, s20
	s_mul_i32 s18, s3, s20
	s_mul_hi_u32 s20, s6, s17
	s_mul_i32 s6, s6, s17
	s_mul_hi_u32 s22, s3, s17
	s_add_u32 s6, s19, s6
	s_addc_u32 s19, 0, s20
	s_add_u32 s6, s6, s18
	s_mul_i32 s17, s3, s17
	s_addc_u32 s6, s19, s21
	s_addc_u32 s18, s22, 0
	s_add_u32 s6, s6, s17
	s_addc_u32 s17, 0, s18
	v_add_co_u32 v1, s6, v1, s6
	s_delay_alu instid0(VALU_DEP_1) | instskip(SKIP_1) | instid1(VALU_DEP_1)
	s_cmp_lg_u32 s6, 0
	s_addc_u32 s3, s3, s17
	v_readfirstlane_b32 s6, v1
	s_mul_i32 s17, s9, s3
	s_delay_alu instid0(VALU_DEP_1)
	s_mul_hi_u32 s18, s9, s6
	s_mul_i32 s16, s16, s6
	s_add_i32 s17, s18, s17
	s_mul_i32 s9, s9, s6
	s_add_i32 s17, s17, s16
	s_mul_hi_u32 s18, s3, s9
	s_mul_i32 s19, s3, s9
	s_mul_hi_u32 s9, s6, s9
	s_mul_hi_u32 s20, s6, s17
	s_mul_i32 s6, s6, s17
	s_mul_hi_u32 s16, s3, s17
	s_add_u32 s6, s9, s6
	s_addc_u32 s9, 0, s20
	s_add_u32 s6, s6, s19
	s_mul_i32 s17, s3, s17
	s_addc_u32 s6, s9, s18
	s_addc_u32 s9, s16, 0
	s_add_u32 s6, s6, s17
	s_addc_u32 s9, 0, s9
	v_add_co_u32 v1, s6, v1, s6
	s_delay_alu instid0(VALU_DEP_1) | instskip(SKIP_2) | instid1(VALU_DEP_1)
	s_cmp_lg_u32 s6, 0
	s_addc_u32 s3, s3, s9
	s_ashr_i32 s16, s11, 31
	v_readfirstlane_b32 s6, v1
	s_add_u32 s18, s10, s16
	s_mov_b32 s17, s16
	s_addc_u32 s19, s11, s16
	s_delay_alu instid0(SALU_CYCLE_1) | instskip(NEXT) | instid1(SALU_CYCLE_1)
	s_xor_b64 s[18:19], s[18:19], s[16:17]
	s_mul_i32 s20, s18, s3
	s_mul_hi_u32 s21, s18, s6
	s_mul_hi_u32 s9, s18, s3
	s_mul_hi_u32 s23, s19, s6
	s_mul_i32 s6, s19, s6
	s_add_u32 s20, s21, s20
	s_addc_u32 s9, 0, s9
	s_mul_hi_u32 s22, s19, s3
	s_add_u32 s6, s20, s6
	s_mul_i32 s3, s19, s3
	s_addc_u32 s6, s9, s23
	s_addc_u32 s9, s22, 0
	s_add_u32 s3, s6, s3
	s_addc_u32 s6, 0, s9
	s_mul_hi_u32 s9, s12, s3
	s_mul_i32 s20, s13, s3
	s_mul_i32 s3, s12, s3
	;; [unrolled: 1-line block ×3, first 2 shown]
	v_sub_co_u32 v1, s3, s18, s3
	s_add_i32 s6, s9, s6
	s_delay_alu instid0(SALU_CYCLE_1) | instskip(NEXT) | instid1(VALU_DEP_1)
	s_add_i32 s6, s6, s20
	v_sub_co_u32 v2, s18, v1, s12
	s_sub_i32 s9, s19, s6
	s_cmp_lg_u32 s3, 0
	s_subb_u32 s9, s9, s13
	s_cmp_lg_u32 s18, 0
	v_readfirstlane_b32 s20, v2
	s_subb_u32 s21, s9, 0
	v_sub_co_u32 v2, s23, v2, s12
	s_cmp_ge_u32 s21, s13
	s_cselect_b32 s22, -1, 0
	s_cmp_ge_u32 s20, s12
	s_cselect_b32 s24, -1, 0
	s_cmp_eq_u32 s21, s13
	s_cselect_b32 s22, s24, s22
	s_cmp_lg_u32 s18, 0
	v_readfirstlane_b32 s18, v2
	s_subb_u32 s9, s9, s13
	s_cmp_lg_u32 s23, 0
	s_subb_u32 s9, s9, 0
	s_cmp_lg_u32 s22, 0
	s_cselect_b32 s18, s18, s20
	s_cselect_b32 s9, s9, s21
	s_cmp_lg_u32 s3, 0
	v_readfirstlane_b32 s3, v1
	s_subb_u32 s6, s19, s6
	s_delay_alu instid0(SALU_CYCLE_1) | instskip(SKIP_1) | instid1(VALU_DEP_1)
	s_cmp_ge_u32 s6, s13
	s_cselect_b32 s19, -1, 0
	s_cmp_ge_u32 s3, s12
	s_cselect_b32 s12, -1, 0
	s_cmp_eq_u32 s6, s13
	s_cselect_b32 s12, s12, s19
	s_delay_alu instid0(SALU_CYCLE_1) | instskip(SKIP_2) | instid1(SALU_CYCLE_1)
	s_cmp_lg_u32 s12, 0
	s_cselect_b32 s13, s9, s6
	s_cselect_b32 s12, s18, s3
	s_xor_b64 s[12:13], s[12:13], s[16:17]
	s_delay_alu instid0(SALU_CYCLE_1)
	s_sub_u32 s12, s12, s16
	s_subb_u32 s13, s13, s16
	s_and_not1_b32 vcc_lo, exec_lo, s15
	s_cbranch_vccnz .LBB58_3
.LBB58_2:
	v_cvt_f32_u32_e32 v1, s8
	s_sub_i32 s6, 0, s8
	s_mov_b32 s13, 0
	s_delay_alu instid0(VALU_DEP_1) | instskip(SKIP_2) | instid1(VALU_DEP_1)
	v_rcp_iflag_f32_e32 v1, v1
	s_waitcnt_depctr 0xfff
	v_mul_f32_e32 v1, 0x4f7ffffe, v1
	v_cvt_u32_f32_e32 v1, v1
	s_delay_alu instid0(VALU_DEP_1) | instskip(NEXT) | instid1(VALU_DEP_1)
	v_readfirstlane_b32 s3, v1
	s_mul_i32 s6, s6, s3
	s_delay_alu instid0(SALU_CYCLE_1) | instskip(NEXT) | instid1(SALU_CYCLE_1)
	s_mul_hi_u32 s6, s3, s6
	s_add_i32 s3, s3, s6
	s_delay_alu instid0(SALU_CYCLE_1) | instskip(NEXT) | instid1(SALU_CYCLE_1)
	s_mul_hi_u32 s3, s10, s3
	s_mul_i32 s3, s3, s8
	s_delay_alu instid0(SALU_CYCLE_1) | instskip(NEXT) | instid1(SALU_CYCLE_1)
	s_sub_i32 s3, s10, s3
	s_sub_i32 s6, s3, s8
	s_cmp_ge_u32 s3, s8
	s_cselect_b32 s3, s6, s3
	s_delay_alu instid0(SALU_CYCLE_1)
	s_sub_i32 s6, s3, s8
	s_cmp_ge_u32 s3, s8
	s_cselect_b32 s12, s6, s3
.LBB58_3:
	v_cmp_lt_i64_e64 s3, s[10:11], 0
	s_delay_alu instid0(VALU_DEP_1)
	s_and_b32 vcc_lo, exec_lo, s3
	s_cbranch_vccnz .LBB58_85
; %bb.4:
	s_load_b32 s3, s[0:1], 0x3c
	v_bfe_u32 v1, v0, 10, 10
	v_and_b32_e32 v9, 0x3ff, v0
	s_ashr_i32 s17, s4, 31
	s_mov_b32 s16, s4
	s_waitcnt lgkmcnt(0)
	s_lshr_b32 s6, s3, 16
	s_delay_alu instid0(SALU_CYCLE_1)
	v_mad_u64_u32 v[2:3], null, s2, s6, v[1:2]
	s_load_b32 s6, s[0:1], 0x28
	s_and_b32 s2, s3, 0xffff
	s_delay_alu instid0(VALU_DEP_1) | instid1(SALU_CYCLE_1)
	v_mul_lo_u32 v1, v2, s2
	s_mov_b32 s2, exec_lo
	s_delay_alu instid0(VALU_DEP_1) | instskip(SKIP_1) | instid1(VALU_DEP_1)
	v_add_lshl_u32 v0, v1, v9, 2
	v_mov_b32_e32 v1, 0
	v_cmpx_gt_i64_e64 s[16:17], v[0:1]
	s_cbranch_execz .LBB58_85
; %bb.5:
	v_mad_u64_u32 v[2:3], null, s16, s14, v[0:1]
	s_load_b128 s[0:3], s[0:1], 0x0
	s_waitcnt lgkmcnt(0)
	s_bitcmp1_b32 s6, 0
	v_mov_b32_e32 v14, v1
	s_delay_alu instid0(VALU_DEP_2) | instskip(NEXT) | instid1(VALU_DEP_1)
	v_mad_u64_u32 v[4:5], null, s17, s14, v[3:4]
	v_mov_b32_e32 v3, v4
	v_mbcnt_lo_u32_b32 v4, -1, 0
	s_delay_alu instid0(VALU_DEP_2) | instskip(NEXT) | instid1(VALU_DEP_2)
	v_lshlrev_b64 v[2:3], 1, v[2:3]
	v_xor_b32_e32 v6, 16, v4
	s_delay_alu instid0(VALU_DEP_2) | instskip(NEXT) | instid1(VALU_DEP_1)
	v_and_b32_e32 v2, -8, v2
	v_add_co_u32 v2, vcc_lo, s0, v2
	s_delay_alu instid0(VALU_DEP_4) | instskip(NEXT) | instid1(VALU_DEP_4)
	v_add_co_ci_u32_e32 v3, vcc_lo, s1, v3, vcc_lo
	v_cmp_gt_i32_e32 vcc_lo, 32, v6
	s_mov_b32 s0, exec_lo
	global_load_b64 v[2:3], v[2:3], off
	v_cndmask_b32_e32 v6, v4, v6, vcc_lo
	s_waitcnt vmcnt(0)
	v_and_b32_e32 v5, 0xffff, v2
	v_lshrrev_b32_e32 v11, 16, v2
	v_lshrrev_b32_e32 v10, 16, v3
	v_and_b32_e32 v7, 0xffff, v3
	v_cvt_f32_f16_e32 v2, v2
	v_cvt_f32_u32_e32 v5, v5
	v_cvt_f32_u32_e32 v8, v11
	;; [unrolled: 1-line block ×4, first 2 shown]
	s_delay_alu instid0(VALU_DEP_3) | instskip(NEXT) | instid1(VALU_DEP_1)
	v_max3_f32 v5, v5, 0, v8
	v_max3_f32 v5, v5, v7, v12
	v_xor_b32_e32 v7, 8, v4
	s_delay_alu instid0(VALU_DEP_1) | instskip(SKIP_4) | instid1(VALU_DEP_1)
	v_cmp_gt_i32_e32 vcc_lo, 32, v7
	v_dual_cndmask_b32 v7, v4, v7 :: v_dual_lshlrev_b32 v6, 2, v6
	ds_bpermute_b32 v6, v6, v5
	s_waitcnt lgkmcnt(0)
	v_dual_max_f32 v6, v6, v6 :: v_dual_lshlrev_b32 v7, 2, v7
	v_max_f32_e32 v5, v5, v6
	ds_bpermute_b32 v6, v7, v5
	v_xor_b32_e32 v7, 4, v4
	s_delay_alu instid0(VALU_DEP_1) | instskip(SKIP_2) | instid1(VALU_DEP_1)
	v_cmp_gt_i32_e32 vcc_lo, 32, v7
	s_waitcnt lgkmcnt(0)
	v_dual_cndmask_b32 v7, v4, v7 :: v_dual_max_f32 v6, v6, v6
	v_lshlrev_b32_e32 v7, 2, v7
	s_delay_alu instid0(VALU_DEP_2) | instskip(SKIP_2) | instid1(VALU_DEP_1)
	v_max_f32_e32 v5, v5, v6
	ds_bpermute_b32 v6, v7, v5
	v_xor_b32_e32 v7, 2, v4
	v_cmp_gt_i32_e32 vcc_lo, 32, v7
	v_cndmask_b32_e32 v7, v4, v7, vcc_lo
	s_waitcnt lgkmcnt(0)
	s_delay_alu instid0(VALU_DEP_1) | instskip(NEXT) | instid1(VALU_DEP_1)
	v_dual_max_f32 v6, v6, v6 :: v_dual_lshlrev_b32 v7, 2, v7
	v_max_f32_e32 v5, v5, v6
	ds_bpermute_b32 v6, v7, v5
	v_xor_b32_e32 v7, 1, v4
	s_delay_alu instid0(VALU_DEP_1) | instskip(SKIP_1) | instid1(VALU_DEP_1)
	v_cmp_gt_i32_e32 vcc_lo, 32, v7
	v_cndmask_b32_e32 v4, v4, v7, vcc_lo
	v_lshlrev_b32_e32 v4, 2, v4
	s_waitcnt lgkmcnt(0)
	v_max_f32_e32 v6, v6, v6
	s_delay_alu instid0(VALU_DEP_1) | instskip(SKIP_3) | instid1(VALU_DEP_1)
	v_max_f32_e32 v5, v5, v6
	ds_bpermute_b32 v4, v4, v5
	s_waitcnt lgkmcnt(0)
	v_max3_f32 v4, v5, v4, 0x38d1b717
	v_div_scale_f32 v5, null, 0x43e00000, 0x43e00000, v4
	v_div_scale_f32 v8, vcc_lo, v4, 0x43e00000, v4
	s_delay_alu instid0(VALU_DEP_2) | instskip(SKIP_2) | instid1(VALU_DEP_1)
	v_rcp_f32_e32 v6, v5
	s_waitcnt_depctr 0xfff
	v_fma_f32 v7, -v5, v6, 1.0
	v_fmac_f32_e32 v6, v7, v6
	s_delay_alu instid0(VALU_DEP_1) | instskip(NEXT) | instid1(VALU_DEP_1)
	v_mul_f32_e32 v7, v8, v6
	v_fma_f32 v12, -v5, v7, v8
	s_delay_alu instid0(VALU_DEP_1) | instskip(NEXT) | instid1(VALU_DEP_1)
	v_fmac_f32_e32 v7, v12, v6
	v_fma_f32 v5, -v5, v7, v8
	s_delay_alu instid0(VALU_DEP_1) | instskip(NEXT) | instid1(VALU_DEP_1)
	v_div_fmas_f32 v5, v5, v6, v7
	v_div_fixup_f32 v4, v5, 0x43e00000, v4
	s_delay_alu instid0(VALU_DEP_1) | instskip(SKIP_2) | instid1(VALU_DEP_2)
	v_cmp_gt_f32_e32 vcc_lo, 0x800000, v4
	v_cndmask_b32_e64 v5, 1.0, 0x4f800000, vcc_lo
	v_cndmask_b32_e64 v6, 0, 0x42000000, vcc_lo
	v_mul_f32_e32 v5, v4, v5
	s_delay_alu instid0(VALU_DEP_1) | instskip(SKIP_2) | instid1(VALU_DEP_1)
	v_log_f32_e32 v5, v5
	s_waitcnt_depctr 0xfff
	v_sub_f32_e32 v5, v5, v6
	v_ceil_f32_e32 v5, v5
	s_delay_alu instid0(VALU_DEP_1) | instskip(SKIP_1) | instid1(VALU_DEP_1)
	v_cmp_gt_f32_e32 vcc_lo, 0xc2fc0000, v5
	v_cndmask_b32_e64 v6, 0, 0x42800000, vcc_lo
	v_add_f32_e32 v5, v5, v6
	v_cndmask_b32_e64 v6, 1.0, 0x1f800000, vcc_lo
	s_cselect_b32 vcc_lo, -1, 0
	s_delay_alu instid0(VALU_DEP_2) | instskip(SKIP_2) | instid1(VALU_DEP_1)
	v_exp_f32_e32 v5, v5
	s_waitcnt_depctr 0xfff
	v_mul_f32_e32 v5, v5, v6
	v_cndmask_b32_e32 v8, v4, v5, vcc_lo
	s_delay_alu instid0(VALU_DEP_1) | instskip(NEXT) | instid1(VALU_DEP_1)
	v_div_scale_f32 v4, null, v8, v8, v2
	v_rcp_f32_e32 v5, v4
	s_waitcnt_depctr 0xfff
	v_fma_f32 v6, -v4, v5, 1.0
	s_delay_alu instid0(VALU_DEP_1) | instskip(SKIP_1) | instid1(VALU_DEP_1)
	v_fmac_f32_e32 v5, v6, v5
	v_div_scale_f32 v6, vcc_lo, v2, v8, v2
	v_mul_f32_e32 v7, v6, v5
	s_delay_alu instid0(VALU_DEP_1) | instskip(NEXT) | instid1(VALU_DEP_1)
	v_fma_f32 v12, -v4, v7, v6
	v_fmac_f32_e32 v7, v12, v5
	s_delay_alu instid0(VALU_DEP_1) | instskip(NEXT) | instid1(VALU_DEP_1)
	v_fma_f32 v4, -v4, v7, v6
	v_div_fmas_f32 v4, v4, v5, v7
	v_mov_b32_e32 v7, v1
                                        ; implicit-def: $vgpr5
	s_delay_alu instid0(VALU_DEP_2) | instskip(NEXT) | instid1(VALU_DEP_1)
	v_div_fixup_f32 v2, v4, v8, v2
	v_cvt_f16_f32_e32 v2, v2
	s_delay_alu instid0(VALU_DEP_1) | instskip(NEXT) | instid1(VALU_DEP_1)
	v_cvt_f32_f16_e32 v2, v2
	v_and_b32_e32 v6, 0x7fffff, v2
	v_lshrrev_b32_e32 v4, 24, v2
	v_and_b32_e32 v13, 0x7f800000, v2
	s_delay_alu instid0(VALU_DEP_2) | instskip(NEXT) | instid1(VALU_DEP_1)
	v_and_b32_e32 v12, 0x80, v4
	v_or_b32_e32 v1, 0x7e, v12
	s_delay_alu instid0(VALU_DEP_3)
	v_cmpx_ne_u64_e32 0x7f800000, v[13:14]
	s_xor_b32 s1, exec_lo, s0
	s_cbranch_execz .LBB58_23
; %bb.6:
	v_dual_mov_b32 v5, 0 :: v_dual_and_b32 v4, 0x7fffffff, v2
	s_mov_b32 s0, exec_lo
	s_delay_alu instid0(VALU_DEP_1)
	v_cmpx_gt_u64_e32 0x43e00001, v[4:5]
	s_xor_b32 s6, exec_lo, s0
	s_cbranch_execz .LBB58_20
; %bb.7:
	s_mov_b32 s9, exec_lo
	v_cmpx_ne_u32_e32 0, v2
	s_cbranch_execz .LBB58_19
; %bb.8:
	v_bfe_u32 v13, v2, 23, 8
	v_or_b32_e32 v4, 0x800000, v6
	s_delay_alu instid0(VALU_DEP_2) | instskip(SKIP_1) | instid1(VALU_DEP_2)
	v_sub_nc_u32_e32 v1, 0x79, v13
	v_cmp_gt_u32_e32 vcc_lo, 0x7a, v13
	v_cndmask_b32_e32 v1, 0, v1, vcc_lo
	v_cmp_eq_u32_e32 vcc_lo, 0, v13
	v_cndmask_b32_e32 v6, v4, v6, vcc_lo
	s_delay_alu instid0(VALU_DEP_3) | instskip(NEXT) | instid1(VALU_DEP_1)
	v_cndmask_b32_e64 v14, v1, 0x78, vcc_lo
	v_add_nc_u32_e32 v1, 20, v14
	v_add_nc_u32_e32 v4, 19, v14
	s_delay_alu instid0(VALU_DEP_2) | instskip(NEXT) | instid1(VALU_DEP_2)
	v_lshlrev_b64 v[1:2], v1, -1
	v_lshlrev_b64 v[4:5], v4, 1
	s_delay_alu instid0(VALU_DEP_2) | instskip(NEXT) | instid1(VALU_DEP_3)
	v_not_b32_e32 v2, v2
	v_not_b32_e32 v1, v1
	s_delay_alu instid0(VALU_DEP_2) | instskip(NEXT) | instid1(VALU_DEP_2)
	v_and_b32_e32 v16, 0, v2
	v_and_b32_e32 v15, v6, v1
	v_lshrrev_b64 v[1:2], v14, v[6:7]
	s_delay_alu instid0(VALU_DEP_2) | instskip(NEXT) | instid1(VALU_DEP_2)
	v_cmp_eq_u64_e64 s0, v[15:16], v[4:5]
	v_dual_mov_b32 v5, v2 :: v_dual_mov_b32 v4, v1
	s_delay_alu instid0(VALU_DEP_2)
	s_and_saveexec_b32 s14, s0
; %bb.9:
	v_bfe_u32 v4, v1, 20, 1
	s_delay_alu instid0(VALU_DEP_1) | instskip(NEXT) | instid1(VALU_DEP_1)
	v_add_co_u32 v4, s0, v1, v4
	v_add_co_u32 v4, s0, v4, -1
; %bb.10:
	s_or_b32 exec_lo, exec_lo, s14
	v_add_nc_u32_e32 v5, 0xffffff81, v13
	v_lshrrev_b32_e32 v6, 23, v1
	s_delay_alu instid0(VALU_DEP_3) | instskip(SKIP_1) | instid1(VALU_DEP_3)
	v_and_b32_e32 v4, 0xfffff, v4
	s_mov_b32 s0, exec_lo
	v_cndmask_b32_e64 v5, v5, 0xffffff82, vcc_lo
	s_delay_alu instid0(VALU_DEP_2) | instskip(SKIP_1) | instid1(VALU_DEP_3)
	v_add_co_u32 v1, vcc_lo, v4, v1
	v_add_co_ci_u32_e32 v2, vcc_lo, 0, v2, vcc_lo
	v_add3_u32 v5, v14, v5, v6
                                        ; implicit-def: $vgpr4
	s_delay_alu instid0(VALU_DEP_1) | instskip(NEXT) | instid1(VALU_DEP_1)
	v_add_nc_u32_e32 v6, 6, v5
	v_cmpx_ne_u32_e32 0, v6
	s_xor_b32 s0, exec_lo, s0
; %bb.11:
	v_cmp_lt_u64_e32 vcc_lo, 0xffffff, v[1:2]
	v_add_nc_u32_e32 v4, 7, v5
	v_cndmask_b32_e64 v5, 0, 1, vcc_lo
	s_delay_alu instid0(VALU_DEP_2) | instskip(NEXT) | instid1(VALU_DEP_2)
	v_cndmask_b32_e32 v4, v6, v4, vcc_lo
	v_lshrrev_b64 v[1:2], v5, v[1:2]
; %bb.12:
	s_and_not1_saveexec_b32 s0, s0
; %bb.13:
	s_delay_alu instid0(VALU_DEP_1)
	v_bfe_u32 v4, v1, 23, 1
; %bb.14:
	s_or_b32 exec_lo, exec_lo, s0
	s_delay_alu instid0(VALU_DEP_2) | instskip(NEXT) | instid1(VALU_DEP_2)
	v_lshrrev_b64 v[1:2], 20, v[1:2]
	v_cmp_gt_i32_e32 vcc_lo, 16, v4
	v_cmp_ne_u32_e64 s0, 0, v4
                                        ; implicit-def: $vgpr5
	s_delay_alu instid0(VALU_DEP_3) | instskip(NEXT) | instid1(VALU_DEP_1)
	v_dual_cndmask_b32 v2, 0, v2 :: v_dual_cndmask_b32 v1, 7, v1
	v_cmp_ne_u64_e32 vcc_lo, 0, v[1:2]
	s_delay_alu instid0(VALU_DEP_3) | instskip(NEXT) | instid1(SALU_CYCLE_1)
	s_or_b32 s0, s0, vcc_lo
	s_and_saveexec_b32 s14, s0
	s_delay_alu instid0(SALU_CYCLE_1)
	s_xor_b32 s0, exec_lo, s14
; %bb.15:
	v_min_i32_e32 v2, 15, v4
	s_delay_alu instid0(VALU_DEP_1) | instskip(NEXT) | instid1(VALU_DEP_1)
	v_lshl_or_b32 v2, v2, 3, v12
                                        ; implicit-def: $vgpr12
	v_and_or_b32 v5, v1, 7, v2
; %bb.16:
	s_and_not1_saveexec_b32 s0, s0
; %bb.17:
	v_mov_b32_e32 v5, v12
; %bb.18:
	s_or_b32 exec_lo, exec_lo, s0
.LBB58_19:
	s_delay_alu instid0(SALU_CYCLE_1)
	s_or_b32 exec_lo, exec_lo, s9
                                        ; implicit-def: $vgpr1
.LBB58_20:
	s_and_not1_saveexec_b32 s0, s6
; %bb.21:
	v_mov_b32_e32 v5, v1
; %bb.22:
	s_or_b32 exec_lo, exec_lo, s0
                                        ; implicit-def: $vgpr4
                                        ; implicit-def: $vgpr6_vgpr7
                                        ; implicit-def: $vgpr1
.LBB58_23:
	s_and_not1_saveexec_b32 s0, s1
; %bb.24:
	v_cmp_eq_u64_e32 vcc_lo, 0, v[6:7]
	v_or_b32_e32 v2, 0x7f, v4
	s_delay_alu instid0(VALU_DEP_1)
	v_cndmask_b32_e32 v5, v2, v1, vcc_lo
; %bb.25:
	s_or_b32 exec_lo, exec_lo, s0
	v_cvt_f32_f16_e32 v1, v11
	s_sub_u32 s0, s10, s12
	s_mul_i32 s9, s12, s17
	s_mul_hi_u32 s10, s12, s16
	s_mul_i32 s6, s12, s16
	v_div_scale_f32 v2, null, v8, v8, v1
	v_div_scale_f32 v7, vcc_lo, v1, v8, v1
	s_subb_u32 s11, s11, s13
	s_delay_alu instid0(VALU_DEP_2)
	v_rcp_f32_e32 v4, v2
	s_ashr_i32 s12, s7, 31
	s_mul_i32 s14, s13, s16
	s_mul_hi_u32 s13, s0, s7
	s_mul_i32 s1, s0, s7
	s_mul_i32 s0, s0, s12
	s_add_i32 s9, s10, s9
	s_mul_i32 s11, s11, s7
	s_add_i32 s0, s13, s0
	s_add_i32 s7, s9, s14
	s_waitcnt_depctr 0xfff
	v_fma_f32 v6, -v2, v4, 1.0
	s_add_i32 s9, s0, s11
	s_add_u32 s0, s2, s1
	s_addc_u32 s10, s3, s9
	s_add_u32 s0, s0, s6
	v_fmac_f32_e32 v4, v6, v4
	s_addc_u32 s10, s10, s7
	s_delay_alu instid0(VALU_DEP_1) | instskip(NEXT) | instid1(VALU_DEP_1)
	v_mul_f32_e32 v6, v7, v4
	v_fma_f32 v11, -v2, v6, v7
	s_delay_alu instid0(VALU_DEP_1) | instskip(NEXT) | instid1(VALU_DEP_1)
	v_fmac_f32_e32 v6, v11, v4
	v_fma_f32 v2, -v2, v6, v7
	v_mov_b32_e32 v7, 0
	s_delay_alu instid0(VALU_DEP_2) | instskip(NEXT) | instid1(VALU_DEP_1)
	v_div_fmas_f32 v2, v2, v4, v6
	v_div_fixup_f32 v1, v2, v8, v1
	s_delay_alu instid0(VALU_DEP_1) | instskip(NEXT) | instid1(VALU_DEP_1)
	v_cvt_f16_f32_e32 v1, v1
	v_cvt_f32_f16_e32 v4, v1
	v_add_co_u32 v1, s0, s0, v0
	v_mov_b32_e32 v15, v7
	v_add_co_ci_u32_e64 v2, null, s10, 0, s0
	s_delay_alu instid0(VALU_DEP_4)
	v_and_b32_e32 v14, 0x7f800000, v4
	v_lshrrev_b32_e32 v13, 24, v4
	v_and_b32_e32 v6, 0x7fffff, v4
	global_store_b8 v[1:2], v5, off
	s_mov_b32 s0, exec_lo
	v_and_b32_e32 v11, 0x80, v13
	s_delay_alu instid0(VALU_DEP_1)
	v_or_b32_e32 v12, 0x7e, v11
	v_cmpx_ne_u64_e32 0x7f800000, v[14:15]
	s_xor_b32 s10, exec_lo, s0
	s_cbranch_execz .LBB58_41
; %bb.26:
	v_dual_mov_b32 v14, v7 :: v_dual_and_b32 v13, 0x7fffffff, v4
	s_mov_b32 s0, exec_lo
	s_delay_alu instid0(VALU_DEP_1)
	v_cmpx_gt_u64_e32 0x43e00001, v[13:14]
	s_xor_b32 s11, exec_lo, s0
	s_cbranch_execz .LBB58_40
; %bb.27:
	v_mov_b32_e32 v12, 0
	s_mov_b32 s12, exec_lo
	v_cmpx_ne_u32_e32 0, v4
	s_cbranch_execz .LBB58_39
; %bb.28:
	v_bfe_u32 v12, v4, 23, 8
	v_or_b32_e32 v14, 0x800000, v6
	s_mov_b32 s13, exec_lo
	s_delay_alu instid0(VALU_DEP_2) | instskip(SKIP_1) | instid1(VALU_DEP_2)
	v_sub_nc_u32_e32 v4, 0x79, v12
	v_cmp_gt_u32_e32 vcc_lo, 0x7a, v12
	v_cndmask_b32_e32 v4, 0, v4, vcc_lo
	v_cmp_eq_u32_e32 vcc_lo, 0, v12
	s_delay_alu instid0(VALU_DEP_2) | instskip(SKIP_1) | instid1(VALU_DEP_2)
	v_cndmask_b32_e64 v13, v4, 0x78, vcc_lo
	v_cndmask_b32_e32 v6, v14, v6, vcc_lo
	v_add_nc_u32_e32 v4, 20, v13
	s_delay_alu instid0(VALU_DEP_1) | instskip(NEXT) | instid1(VALU_DEP_1)
	v_lshlrev_b64 v[4:5], v4, -1
	v_not_b32_e32 v5, v5
	s_delay_alu instid0(VALU_DEP_2) | instskip(NEXT) | instid1(VALU_DEP_2)
	v_not_b32_e32 v4, v4
	v_and_b32_e32 v17, 0, v5
	s_delay_alu instid0(VALU_DEP_2) | instskip(SKIP_1) | instid1(VALU_DEP_1)
	v_and_b32_e32 v16, v6, v4
	v_lshrrev_b64 v[4:5], v13, v[6:7]
	v_dual_mov_b32 v7, v5 :: v_dual_add_nc_u32 v14, 19, v13
	s_delay_alu instid0(VALU_DEP_1) | instskip(NEXT) | instid1(VALU_DEP_3)
	v_lshlrev_b64 v[14:15], v14, 1
	v_mov_b32_e32 v6, v4
	s_delay_alu instid0(VALU_DEP_2)
	v_cmpx_eq_u64_e64 v[16:17], v[14:15]
; %bb.29:
	v_bfe_u32 v6, v4, 20, 1
	s_delay_alu instid0(VALU_DEP_1) | instskip(NEXT) | instid1(VALU_DEP_1)
	v_add_co_u32 v6, s0, v4, v6
	v_add_co_u32 v6, s0, v6, -1
; %bb.30:
	s_or_b32 exec_lo, exec_lo, s13
	v_add_nc_u32_e32 v7, 0xffffff81, v12
	v_lshrrev_b32_e32 v12, 23, v4
	s_delay_alu instid0(VALU_DEP_3) | instskip(SKIP_1) | instid1(VALU_DEP_3)
	v_and_b32_e32 v6, 0xfffff, v6
	s_mov_b32 s0, exec_lo
	v_cndmask_b32_e64 v7, v7, 0xffffff82, vcc_lo
	s_delay_alu instid0(VALU_DEP_2) | instskip(SKIP_1) | instid1(VALU_DEP_3)
	v_add_co_u32 v4, vcc_lo, v6, v4
	v_add_co_ci_u32_e32 v5, vcc_lo, 0, v5, vcc_lo
	v_add3_u32 v7, v13, v7, v12
                                        ; implicit-def: $vgpr6
	s_delay_alu instid0(VALU_DEP_1) | instskip(NEXT) | instid1(VALU_DEP_1)
	v_add_nc_u32_e32 v12, 6, v7
	v_cmpx_ne_u32_e32 0, v12
	s_xor_b32 s0, exec_lo, s0
; %bb.31:
	v_cmp_lt_u64_e32 vcc_lo, 0xffffff, v[4:5]
	v_add_nc_u32_e32 v6, 7, v7
	v_cndmask_b32_e64 v7, 0, 1, vcc_lo
	s_delay_alu instid0(VALU_DEP_2) | instskip(NEXT) | instid1(VALU_DEP_2)
	v_cndmask_b32_e32 v6, v12, v6, vcc_lo
	v_lshrrev_b64 v[4:5], v7, v[4:5]
; %bb.32:
	s_and_not1_saveexec_b32 s0, s0
; %bb.33:
	s_delay_alu instid0(VALU_DEP_1)
	v_bfe_u32 v6, v4, 23, 1
; %bb.34:
	s_or_b32 exec_lo, exec_lo, s0
	s_delay_alu instid0(VALU_DEP_2) | instskip(NEXT) | instid1(VALU_DEP_2)
	v_lshrrev_b64 v[4:5], 20, v[4:5]
	v_cmp_gt_i32_e32 vcc_lo, 16, v6
	v_cmp_ne_u32_e64 s0, 0, v6
                                        ; implicit-def: $vgpr12
	s_delay_alu instid0(VALU_DEP_3) | instskip(NEXT) | instid1(VALU_DEP_1)
	v_dual_cndmask_b32 v5, 0, v5 :: v_dual_cndmask_b32 v4, 7, v4
	v_cmp_ne_u64_e32 vcc_lo, 0, v[4:5]
	s_delay_alu instid0(VALU_DEP_3) | instskip(NEXT) | instid1(SALU_CYCLE_1)
	s_or_b32 s0, s0, vcc_lo
	s_and_saveexec_b32 s13, s0
	s_delay_alu instid0(SALU_CYCLE_1)
	s_xor_b32 s0, exec_lo, s13
; %bb.35:
	v_min_i32_e32 v5, 15, v6
	s_delay_alu instid0(VALU_DEP_1) | instskip(NEXT) | instid1(VALU_DEP_1)
	v_lshl_or_b32 v5, v5, 3, v11
                                        ; implicit-def: $vgpr11
	v_and_or_b32 v12, v4, 7, v5
; %bb.36:
	s_and_not1_saveexec_b32 s0, s0
; %bb.37:
	v_mov_b32_e32 v12, v11
; %bb.38:
	s_or_b32 exec_lo, exec_lo, s0
.LBB58_39:
	s_delay_alu instid0(SALU_CYCLE_1)
	s_or_b32 exec_lo, exec_lo, s12
.LBB58_40:
	s_and_not1_saveexec_b32 s0, s11
	s_delay_alu instid0(SALU_CYCLE_1)
	s_or_b32 exec_lo, exec_lo, s0
                                        ; implicit-def: $vgpr13
                                        ; implicit-def: $vgpr6_vgpr7
.LBB58_41:
	s_and_not1_saveexec_b32 s0, s10
; %bb.42:
	v_cmp_eq_u64_e32 vcc_lo, 0, v[6:7]
	v_or_b32_e32 v4, 0x7f, v13
	s_delay_alu instid0(VALU_DEP_1)
	v_cndmask_b32_e32 v12, v4, v12, vcc_lo
; %bb.43:
	s_or_b32 exec_lo, exec_lo, s0
	v_cvt_f32_f16_e32 v3, v3
	global_store_b8 v[1:2], v12, off offset:1
	s_mov_b32 s0, exec_lo
	v_div_scale_f32 v4, null, v8, v8, v3
	s_delay_alu instid0(VALU_DEP_1) | instskip(SKIP_2) | instid1(VALU_DEP_1)
	v_rcp_f32_e32 v5, v4
	s_waitcnt_depctr 0xfff
	v_fma_f32 v6, -v4, v5, 1.0
	v_fmac_f32_e32 v5, v6, v5
	v_div_scale_f32 v6, vcc_lo, v3, v8, v3
	s_delay_alu instid0(VALU_DEP_1) | instskip(NEXT) | instid1(VALU_DEP_1)
	v_mul_f32_e32 v7, v6, v5
	v_fma_f32 v11, -v4, v7, v6
	s_delay_alu instid0(VALU_DEP_1) | instskip(NEXT) | instid1(VALU_DEP_1)
	v_fmac_f32_e32 v7, v11, v5
	v_fma_f32 v4, -v4, v7, v6
	s_delay_alu instid0(VALU_DEP_1) | instskip(NEXT) | instid1(VALU_DEP_1)
	v_div_fmas_f32 v4, v4, v5, v7
	v_div_fixup_f32 v3, v4, v8, v3
	v_mov_b32_e32 v4, 0
	s_delay_alu instid0(VALU_DEP_2) | instskip(NEXT) | instid1(VALU_DEP_2)
	v_cvt_f16_f32_e32 v3, v3
	v_mov_b32_e32 v14, v4
	s_delay_alu instid0(VALU_DEP_2) | instskip(NEXT) | instid1(VALU_DEP_1)
	v_cvt_f32_f16_e32 v6, v3
	v_lshrrev_b32_e32 v11, 24, v6
	v_and_b32_e32 v13, 0x7f800000, v6
	v_and_b32_e32 v3, 0x7fffff, v6
	s_delay_alu instid0(VALU_DEP_3) | instskip(NEXT) | instid1(VALU_DEP_1)
	v_and_b32_e32 v7, 0x80, v11
	v_or_b32_e32 v5, 0x7e, v7
	s_delay_alu instid0(VALU_DEP_4)
	v_cmpx_ne_u64_e32 0x7f800000, v[13:14]
	s_xor_b32 s10, exec_lo, s0
	s_cbranch_execz .LBB58_59
; %bb.44:
	v_dual_mov_b32 v12, v4 :: v_dual_and_b32 v11, 0x7fffffff, v6
	s_mov_b32 s0, exec_lo
	s_delay_alu instid0(VALU_DEP_1)
	v_cmpx_gt_u64_e32 0x43e00001, v[11:12]
	s_xor_b32 s11, exec_lo, s0
	s_cbranch_execz .LBB58_58
; %bb.45:
	v_mov_b32_e32 v5, 0
	s_mov_b32 s12, exec_lo
	v_cmpx_ne_u32_e32 0, v6
	s_cbranch_execz .LBB58_57
; %bb.46:
	v_bfe_u32 v11, v6, 23, 8
	v_or_b32_e32 v13, 0x800000, v3
	s_delay_alu instid0(VALU_DEP_2) | instskip(SKIP_1) | instid1(VALU_DEP_2)
	v_sub_nc_u32_e32 v5, 0x79, v11
	v_cmp_gt_u32_e32 vcc_lo, 0x7a, v11
	v_cndmask_b32_e32 v5, 0, v5, vcc_lo
	v_cmp_eq_u32_e32 vcc_lo, 0, v11
	s_delay_alu instid0(VALU_DEP_2) | instskip(SKIP_1) | instid1(VALU_DEP_2)
	v_cndmask_b32_e64 v12, v5, 0x78, vcc_lo
	v_cndmask_b32_e32 v3, v13, v3, vcc_lo
	v_add_nc_u32_e32 v5, 20, v12
	v_add_nc_u32_e32 v13, 19, v12
	s_delay_alu instid0(VALU_DEP_2) | instskip(NEXT) | instid1(VALU_DEP_1)
	v_lshlrev_b64 v[5:6], v5, -1
	v_not_b32_e32 v15, v5
	s_delay_alu instid0(VALU_DEP_2) | instskip(NEXT) | instid1(VALU_DEP_4)
	v_not_b32_e32 v14, v6
	v_lshlrev_b64 v[5:6], v13, 1
	s_delay_alu instid0(VALU_DEP_3) | instskip(SKIP_1) | instid1(VALU_DEP_4)
	v_and_b32_e32 v13, v3, v15
	v_lshrrev_b64 v[3:4], v12, v[3:4]
	v_and_b32_e32 v14, 0, v14
	s_delay_alu instid0(VALU_DEP_1) | instskip(NEXT) | instid1(VALU_DEP_3)
	v_cmp_eq_u64_e64 s0, v[13:14], v[5:6]
	v_dual_mov_b32 v6, v4 :: v_dual_mov_b32 v5, v3
	s_delay_alu instid0(VALU_DEP_2)
	s_and_saveexec_b32 s13, s0
; %bb.47:
	v_bfe_u32 v5, v3, 20, 1
	s_delay_alu instid0(VALU_DEP_1) | instskip(NEXT) | instid1(VALU_DEP_1)
	v_add_co_u32 v5, s0, v3, v5
	v_add_co_u32 v5, s0, v5, -1
; %bb.48:
	s_or_b32 exec_lo, exec_lo, s13
	v_add_nc_u32_e32 v6, 0xffffff81, v11
	v_lshrrev_b32_e32 v11, 23, v3
	s_mov_b32 s0, exec_lo
	s_delay_alu instid0(VALU_DEP_2) | instskip(NEXT) | instid1(VALU_DEP_1)
	v_cndmask_b32_e64 v6, v6, 0xffffff82, vcc_lo
	v_add3_u32 v11, v12, v6, v11
	v_and_b32_e32 v6, 0xfffff, v5
	s_delay_alu instid0(VALU_DEP_2) | instskip(NEXT) | instid1(VALU_DEP_2)
	v_add_nc_u32_e32 v5, 6, v11
	v_add_co_u32 v3, vcc_lo, v6, v3
	v_add_co_ci_u32_e32 v4, vcc_lo, 0, v4, vcc_lo
                                        ; implicit-def: $vgpr6
	s_delay_alu instid0(VALU_DEP_3)
	v_cmpx_ne_u32_e32 0, v5
	s_xor_b32 s0, exec_lo, s0
; %bb.49:
	s_delay_alu instid0(VALU_DEP_2) | instskip(SKIP_1) | instid1(VALU_DEP_1)
	v_cmp_lt_u64_e32 vcc_lo, 0xffffff, v[3:4]
	v_add_nc_u32_e32 v6, 7, v11
	v_cndmask_b32_e32 v6, v5, v6, vcc_lo
	v_cndmask_b32_e64 v5, 0, 1, vcc_lo
	s_delay_alu instid0(VALU_DEP_1)
	v_lshrrev_b64 v[3:4], v5, v[3:4]
; %bb.50:
	s_and_not1_saveexec_b32 s0, s0
; %bb.51:
	s_delay_alu instid0(VALU_DEP_1)
	v_bfe_u32 v6, v3, 23, 1
; %bb.52:
	s_or_b32 exec_lo, exec_lo, s0
	s_delay_alu instid0(VALU_DEP_2) | instskip(NEXT) | instid1(VALU_DEP_2)
	v_lshrrev_b64 v[3:4], 20, v[3:4]
	v_cmp_gt_i32_e32 vcc_lo, 16, v6
	v_cmp_ne_u32_e64 s0, 0, v6
                                        ; implicit-def: $vgpr5
	s_delay_alu instid0(VALU_DEP_3) | instskip(NEXT) | instid1(VALU_DEP_1)
	v_dual_cndmask_b32 v4, 0, v4 :: v_dual_cndmask_b32 v3, 7, v3
	v_cmp_ne_u64_e32 vcc_lo, 0, v[3:4]
	s_delay_alu instid0(VALU_DEP_3) | instskip(NEXT) | instid1(SALU_CYCLE_1)
	s_or_b32 s0, s0, vcc_lo
	s_and_saveexec_b32 s13, s0
	s_delay_alu instid0(SALU_CYCLE_1)
	s_xor_b32 s0, exec_lo, s13
; %bb.53:
	v_min_i32_e32 v4, 15, v6
	s_delay_alu instid0(VALU_DEP_1) | instskip(NEXT) | instid1(VALU_DEP_1)
	v_lshl_or_b32 v4, v4, 3, v7
                                        ; implicit-def: $vgpr7
	v_and_or_b32 v5, v3, 7, v4
; %bb.54:
	s_and_not1_saveexec_b32 s0, s0
; %bb.55:
	v_mov_b32_e32 v5, v7
; %bb.56:
	s_or_b32 exec_lo, exec_lo, s0
.LBB58_57:
	s_delay_alu instid0(SALU_CYCLE_1)
	s_or_b32 exec_lo, exec_lo, s12
.LBB58_58:
	s_and_not1_saveexec_b32 s0, s11
	s_delay_alu instid0(SALU_CYCLE_1)
	s_or_b32 exec_lo, exec_lo, s0
                                        ; implicit-def: $vgpr11
                                        ; implicit-def: $vgpr3_vgpr4
.LBB58_59:
	s_and_not1_saveexec_b32 s0, s10
; %bb.60:
	v_cmp_eq_u64_e32 vcc_lo, 0, v[3:4]
	v_or_b32_e32 v6, 0x7f, v11
	s_delay_alu instid0(VALU_DEP_1)
	v_cndmask_b32_e32 v5, v6, v5, vcc_lo
; %bb.61:
	s_or_b32 exec_lo, exec_lo, s0
	v_cvt_f32_f16_e32 v3, v10
	global_store_b8 v[1:2], v5, off offset:2
	s_mov_b32 s0, exec_lo
	v_div_scale_f32 v4, null, v8, v8, v3
	s_delay_alu instid0(VALU_DEP_1) | instskip(SKIP_2) | instid1(VALU_DEP_1)
	v_rcp_f32_e32 v6, v4
	s_waitcnt_depctr 0xfff
	v_fma_f32 v7, -v4, v6, 1.0
	v_fmac_f32_e32 v6, v7, v6
	v_div_scale_f32 v7, vcc_lo, v3, v8, v3
	s_delay_alu instid0(VALU_DEP_1) | instskip(NEXT) | instid1(VALU_DEP_1)
	v_mul_f32_e32 v10, v7, v6
	v_fma_f32 v11, -v4, v10, v7
	s_delay_alu instid0(VALU_DEP_1) | instskip(NEXT) | instid1(VALU_DEP_1)
	v_fmac_f32_e32 v10, v11, v6
	v_fma_f32 v4, -v4, v10, v7
	s_delay_alu instid0(VALU_DEP_1) | instskip(NEXT) | instid1(VALU_DEP_1)
	v_div_fmas_f32 v4, v4, v6, v10
	v_div_fixup_f32 v3, v4, v8, v3
	s_delay_alu instid0(VALU_DEP_1) | instskip(NEXT) | instid1(VALU_DEP_1)
	v_cvt_f16_f32_e32 v3, v3
	v_cvt_f32_f16_e32 v10, v3
	s_delay_alu instid0(VALU_DEP_1) | instskip(SKIP_1) | instid1(VALU_DEP_2)
	v_dual_mov_b32 v4, 0 :: v_dual_and_b32 v3, 0x7fffff, v10
	v_lshrrev_b32_e32 v11, 24, v10
	v_dual_mov_b32 v13, v4 :: v_dual_and_b32 v12, 0x7f800000, v10
	s_delay_alu instid0(VALU_DEP_2) | instskip(NEXT) | instid1(VALU_DEP_1)
	v_and_b32_e32 v7, 0x80, v11
	v_or_b32_e32 v6, 0x7e, v7
	s_delay_alu instid0(VALU_DEP_3)
	v_cmpx_ne_u64_e32 0x7f800000, v[12:13]
	s_xor_b32 s10, exec_lo, s0
	s_cbranch_execz .LBB58_77
; %bb.62:
	v_dual_mov_b32 v12, v4 :: v_dual_and_b32 v11, 0x7fffffff, v10
	s_mov_b32 s0, exec_lo
	s_delay_alu instid0(VALU_DEP_1)
	v_cmpx_gt_u64_e32 0x43e00001, v[11:12]
	s_xor_b32 s11, exec_lo, s0
	s_cbranch_execz .LBB58_76
; %bb.63:
	v_mov_b32_e32 v6, 0
	s_mov_b32 s12, exec_lo
	v_cmpx_ne_u32_e32 0, v10
	s_cbranch_execz .LBB58_75
; %bb.64:
	v_bfe_u32 v10, v10, 23, 8
	v_or_b32_e32 v12, 0x800000, v3
	s_delay_alu instid0(VALU_DEP_2) | instskip(SKIP_1) | instid1(VALU_DEP_2)
	v_sub_nc_u32_e32 v5, 0x79, v10
	v_cmp_gt_u32_e32 vcc_lo, 0x7a, v10
	v_cndmask_b32_e32 v5, 0, v5, vcc_lo
	v_cmp_eq_u32_e32 vcc_lo, 0, v10
	s_delay_alu instid0(VALU_DEP_2) | instskip(SKIP_1) | instid1(VALU_DEP_2)
	v_cndmask_b32_e64 v11, v5, 0x78, vcc_lo
	v_cndmask_b32_e32 v3, v12, v3, vcc_lo
	v_add_nc_u32_e32 v12, 19, v11
	v_add_nc_u32_e32 v5, 20, v11
	s_delay_alu instid0(VALU_DEP_1) | instskip(NEXT) | instid1(VALU_DEP_1)
	v_lshlrev_b64 v[5:6], v5, -1
	v_not_b32_e32 v14, v5
	s_delay_alu instid0(VALU_DEP_2) | instskip(SKIP_1) | instid1(VALU_DEP_3)
	v_not_b32_e32 v13, v6
	v_lshlrev_b64 v[5:6], v12, 1
	v_and_b32_e32 v12, v3, v14
	v_lshrrev_b64 v[3:4], v11, v[3:4]
	s_delay_alu instid0(VALU_DEP_4) | instskip(NEXT) | instid1(VALU_DEP_1)
	v_and_b32_e32 v13, 0, v13
	v_cmp_eq_u64_e64 s0, v[12:13], v[5:6]
	s_delay_alu instid0(VALU_DEP_3) | instskip(NEXT) | instid1(VALU_DEP_2)
	v_dual_mov_b32 v6, v4 :: v_dual_mov_b32 v5, v3
	s_and_saveexec_b32 s13, s0
; %bb.65:
	v_bfe_u32 v5, v3, 20, 1
	s_delay_alu instid0(VALU_DEP_1) | instskip(NEXT) | instid1(VALU_DEP_1)
	v_add_co_u32 v5, s0, v3, v5
	v_add_co_u32 v5, s0, v5, -1
; %bb.66:
	s_or_b32 exec_lo, exec_lo, s13
	v_add_nc_u32_e32 v6, 0xffffff81, v10
	v_lshrrev_b32_e32 v10, 23, v3
	s_delay_alu instid0(VALU_DEP_3) | instskip(SKIP_1) | instid1(VALU_DEP_3)
	v_and_b32_e32 v5, 0xfffff, v5
	s_mov_b32 s0, exec_lo
	v_cndmask_b32_e64 v6, v6, 0xffffff82, vcc_lo
	s_delay_alu instid0(VALU_DEP_2) | instskip(SKIP_1) | instid1(VALU_DEP_3)
	v_add_co_u32 v3, vcc_lo, v5, v3
	v_add_co_ci_u32_e32 v4, vcc_lo, 0, v4, vcc_lo
	v_add3_u32 v6, v11, v6, v10
                                        ; implicit-def: $vgpr5
	s_delay_alu instid0(VALU_DEP_1) | instskip(NEXT) | instid1(VALU_DEP_1)
	v_add_nc_u32_e32 v10, 6, v6
	v_cmpx_ne_u32_e32 0, v10
	s_xor_b32 s0, exec_lo, s0
; %bb.67:
	v_cmp_lt_u64_e32 vcc_lo, 0xffffff, v[3:4]
	v_add_nc_u32_e32 v5, 7, v6
	v_cndmask_b32_e64 v6, 0, 1, vcc_lo
	s_delay_alu instid0(VALU_DEP_2) | instskip(NEXT) | instid1(VALU_DEP_2)
	v_cndmask_b32_e32 v5, v10, v5, vcc_lo
	v_lshrrev_b64 v[3:4], v6, v[3:4]
; %bb.68:
	s_and_not1_saveexec_b32 s0, s0
; %bb.69:
	s_delay_alu instid0(VALU_DEP_1)
	v_bfe_u32 v5, v3, 23, 1
; %bb.70:
	s_or_b32 exec_lo, exec_lo, s0
	s_delay_alu instid0(VALU_DEP_2) | instskip(NEXT) | instid1(VALU_DEP_2)
	v_lshrrev_b64 v[3:4], 20, v[3:4]
	v_cmp_gt_i32_e32 vcc_lo, 16, v5
	v_cmp_ne_u32_e64 s0, 0, v5
                                        ; implicit-def: $vgpr6
	s_delay_alu instid0(VALU_DEP_3) | instskip(NEXT) | instid1(VALU_DEP_1)
	v_dual_cndmask_b32 v4, 0, v4 :: v_dual_cndmask_b32 v3, 7, v3
	v_cmp_ne_u64_e32 vcc_lo, 0, v[3:4]
	s_delay_alu instid0(VALU_DEP_3) | instskip(NEXT) | instid1(SALU_CYCLE_1)
	s_or_b32 s0, s0, vcc_lo
	s_and_saveexec_b32 s13, s0
	s_delay_alu instid0(SALU_CYCLE_1)
	s_xor_b32 s0, exec_lo, s13
; %bb.71:
	v_min_i32_e32 v4, 15, v5
	s_delay_alu instid0(VALU_DEP_1) | instskip(NEXT) | instid1(VALU_DEP_1)
	v_lshl_or_b32 v4, v4, 3, v7
                                        ; implicit-def: $vgpr7
	v_and_or_b32 v6, v3, 7, v4
; %bb.72:
	s_and_not1_saveexec_b32 s0, s0
; %bb.73:
	v_mov_b32_e32 v6, v7
; %bb.74:
	s_or_b32 exec_lo, exec_lo, s0
.LBB58_75:
	s_delay_alu instid0(SALU_CYCLE_1)
	s_or_b32 exec_lo, exec_lo, s12
.LBB58_76:
	s_and_not1_saveexec_b32 s0, s11
	s_delay_alu instid0(SALU_CYCLE_1)
	s_or_b32 exec_lo, exec_lo, s0
                                        ; implicit-def: $vgpr11
                                        ; implicit-def: $vgpr3_vgpr4
.LBB58_77:
	s_and_not1_saveexec_b32 s0, s10
; %bb.78:
	v_cmp_eq_u64_e32 vcc_lo, 0, v[3:4]
	v_or_b32_e32 v5, 0x7f, v11
	s_delay_alu instid0(VALU_DEP_1)
	v_cndmask_b32_e32 v6, v5, v6, vcc_lo
; %bb.79:
	s_or_b32 exec_lo, exec_lo, s0
	v_cmp_eq_u32_e32 vcc_lo, 0, v9
	global_store_b8 v[1:2], v6, off offset:3
	s_and_b32 exec_lo, exec_lo, vcc_lo
	s_cbranch_execz .LBB58_85
; %bb.80:
	v_add_co_u32 v0, s0, s6, v0
	s_delay_alu instid0(VALU_DEP_1) | instskip(SKIP_2) | instid1(VALU_DEP_2)
	v_add_co_ci_u32_e64 v1, null, s7, 0, s0
	s_ashr_i32 s0, s5, 31
	v_mov_b32_e32 v2, 0
	v_lshlrev_b64 v[0:1], 2, v[0:1]
	s_delay_alu instid0(VALU_DEP_1) | instskip(NEXT) | instid1(VALU_DEP_1)
	v_or_b32_e32 v3, s0, v1
	v_cmp_ne_u64_e32 vcc_lo, 0, v[2:3]
                                        ; implicit-def: $vgpr2_vgpr3
	s_and_saveexec_b32 s6, vcc_lo
	s_delay_alu instid0(SALU_CYCLE_1)
	s_xor_b32 s12, exec_lo, s6
	s_cbranch_execz .LBB58_82
; %bb.81:
	s_add_u32 s10, s5, s0
	s_mov_b32 s6, s0
	s_mov_b32 s7, s0
	s_addc_u32 s11, s0, s0
	s_delay_alu instid0(SALU_CYCLE_1) | instskip(NEXT) | instid1(SALU_CYCLE_1)
	s_xor_b64 s[10:11], s[10:11], s[6:7]
	v_cvt_f32_u32_e32 v2, s10
	v_cvt_f32_u32_e32 v3, s11
	s_sub_u32 s0, 0, s10
	s_subb_u32 s13, 0, s11
	s_delay_alu instid0(VALU_DEP_1) | instskip(NEXT) | instid1(VALU_DEP_1)
	v_fmamk_f32 v2, v3, 0x4f800000, v2
	v_rcp_f32_e32 v2, v2
	s_waitcnt_depctr 0xfff
	v_mul_f32_e32 v2, 0x5f7ffffc, v2
	s_delay_alu instid0(VALU_DEP_1) | instskip(NEXT) | instid1(VALU_DEP_1)
	v_mul_f32_e32 v3, 0x2f800000, v2
	v_trunc_f32_e32 v3, v3
	s_delay_alu instid0(VALU_DEP_1) | instskip(SKIP_1) | instid1(VALU_DEP_2)
	v_fmamk_f32 v2, v3, 0xcf800000, v2
	v_cvt_u32_f32_e32 v3, v3
	v_cvt_u32_f32_e32 v2, v2
	s_delay_alu instid0(VALU_DEP_2) | instskip(NEXT) | instid1(VALU_DEP_2)
	v_mul_lo_u32 v4, s0, v3
	v_mul_hi_u32 v5, s0, v2
	v_mul_lo_u32 v6, s13, v2
	s_delay_alu instid0(VALU_DEP_2) | instskip(SKIP_1) | instid1(VALU_DEP_2)
	v_add_nc_u32_e32 v4, v5, v4
	v_mul_lo_u32 v5, s0, v2
	v_add_nc_u32_e32 v4, v4, v6
	s_delay_alu instid0(VALU_DEP_2) | instskip(NEXT) | instid1(VALU_DEP_2)
	v_mul_hi_u32 v6, v2, v5
	v_mul_lo_u32 v7, v2, v4
	v_mul_hi_u32 v9, v2, v4
	v_mul_hi_u32 v10, v3, v5
	v_mul_lo_u32 v5, v3, v5
	v_mul_hi_u32 v11, v3, v4
	v_mul_lo_u32 v4, v3, v4
	v_add_co_u32 v6, vcc_lo, v6, v7
	v_add_co_ci_u32_e32 v7, vcc_lo, 0, v9, vcc_lo
	s_delay_alu instid0(VALU_DEP_2) | instskip(NEXT) | instid1(VALU_DEP_2)
	v_add_co_u32 v5, vcc_lo, v6, v5
	v_add_co_ci_u32_e32 v5, vcc_lo, v7, v10, vcc_lo
	v_add_co_ci_u32_e32 v6, vcc_lo, 0, v11, vcc_lo
	v_ashrrev_i32_e32 v10, 31, v1
	s_delay_alu instid0(VALU_DEP_3) | instskip(NEXT) | instid1(VALU_DEP_3)
	v_add_co_u32 v4, vcc_lo, v5, v4
	v_add_co_ci_u32_e32 v5, vcc_lo, 0, v6, vcc_lo
	s_delay_alu instid0(VALU_DEP_2) | instskip(NEXT) | instid1(VALU_DEP_2)
	v_add_co_u32 v2, vcc_lo, v2, v4
	v_add_co_ci_u32_e32 v3, vcc_lo, v3, v5, vcc_lo
	s_delay_alu instid0(VALU_DEP_2) | instskip(SKIP_1) | instid1(VALU_DEP_3)
	v_mul_hi_u32 v4, s0, v2
	v_mul_lo_u32 v6, s13, v2
	v_mul_lo_u32 v5, s0, v3
	s_delay_alu instid0(VALU_DEP_1) | instskip(SKIP_1) | instid1(VALU_DEP_2)
	v_add_nc_u32_e32 v4, v4, v5
	v_mul_lo_u32 v5, s0, v2
	v_add_nc_u32_e32 v4, v4, v6
	s_delay_alu instid0(VALU_DEP_2) | instskip(NEXT) | instid1(VALU_DEP_2)
	v_mul_hi_u32 v6, v2, v5
	v_mul_lo_u32 v7, v2, v4
	v_mul_hi_u32 v9, v2, v4
	v_mul_hi_u32 v11, v3, v5
	v_mul_lo_u32 v5, v3, v5
	v_mul_hi_u32 v12, v3, v4
	v_mul_lo_u32 v4, v3, v4
	v_add_co_u32 v6, vcc_lo, v6, v7
	v_add_co_ci_u32_e32 v7, vcc_lo, 0, v9, vcc_lo
	s_delay_alu instid0(VALU_DEP_2) | instskip(NEXT) | instid1(VALU_DEP_2)
	v_add_co_u32 v5, vcc_lo, v6, v5
	v_add_co_ci_u32_e32 v5, vcc_lo, v7, v11, vcc_lo
	v_add_co_ci_u32_e32 v6, vcc_lo, 0, v12, vcc_lo
	v_add_co_u32 v0, vcc_lo, v0, v10
	v_add_co_ci_u32_e32 v1, vcc_lo, v1, v10, vcc_lo
	s_delay_alu instid0(VALU_DEP_4) | instskip(NEXT) | instid1(VALU_DEP_4)
	v_add_co_u32 v4, vcc_lo, v5, v4
	v_add_co_ci_u32_e32 v5, vcc_lo, 0, v6, vcc_lo
	s_delay_alu instid0(VALU_DEP_4) | instskip(NEXT) | instid1(VALU_DEP_3)
	v_xor_b32_e32 v6, v0, v10
	v_add_co_u32 v4, vcc_lo, v2, v4
	s_delay_alu instid0(VALU_DEP_3) | instskip(SKIP_1) | instid1(VALU_DEP_3)
	v_add_co_ci_u32_e32 v7, vcc_lo, v3, v5, vcc_lo
	v_xor_b32_e32 v9, v1, v10
	v_mul_hi_u32 v11, v6, v4
	s_delay_alu instid0(VALU_DEP_3) | instskip(NEXT) | instid1(VALU_DEP_3)
	v_mad_u64_u32 v[0:1], null, v6, v7, 0
	v_mad_u64_u32 v[2:3], null, v9, v4, 0
	;; [unrolled: 1-line block ×3, first 2 shown]
	s_delay_alu instid0(VALU_DEP_3) | instskip(NEXT) | instid1(VALU_DEP_4)
	v_add_co_u32 v0, vcc_lo, v11, v0
	v_add_co_ci_u32_e32 v1, vcc_lo, 0, v1, vcc_lo
	s_delay_alu instid0(VALU_DEP_2) | instskip(NEXT) | instid1(VALU_DEP_2)
	v_add_co_u32 v0, vcc_lo, v0, v2
	v_add_co_ci_u32_e32 v0, vcc_lo, v1, v3, vcc_lo
	v_add_co_ci_u32_e32 v1, vcc_lo, 0, v5, vcc_lo
	s_delay_alu instid0(VALU_DEP_2) | instskip(NEXT) | instid1(VALU_DEP_2)
	v_add_co_u32 v2, vcc_lo, v0, v4
	v_add_co_ci_u32_e32 v3, vcc_lo, 0, v1, vcc_lo
	s_delay_alu instid0(VALU_DEP_2) | instskip(SKIP_1) | instid1(VALU_DEP_3)
	v_mul_lo_u32 v4, s11, v2
	v_mad_u64_u32 v[0:1], null, s10, v2, 0
	v_mul_lo_u32 v5, s10, v3
	s_delay_alu instid0(VALU_DEP_2) | instskip(NEXT) | instid1(VALU_DEP_2)
	v_sub_co_u32 v0, vcc_lo, v6, v0
	v_add3_u32 v1, v1, v5, v4
	s_delay_alu instid0(VALU_DEP_1) | instskip(NEXT) | instid1(VALU_DEP_1)
	v_sub_nc_u32_e32 v4, v9, v1
	v_subrev_co_ci_u32_e64 v4, s0, s11, v4, vcc_lo
	v_add_co_u32 v5, s0, v2, 2
	s_delay_alu instid0(VALU_DEP_1) | instskip(SKIP_3) | instid1(VALU_DEP_3)
	v_add_co_ci_u32_e64 v6, s0, 0, v3, s0
	v_sub_co_u32 v7, s0, v0, s10
	v_sub_co_ci_u32_e32 v1, vcc_lo, v9, v1, vcc_lo
	v_subrev_co_ci_u32_e64 v4, s0, 0, v4, s0
	v_cmp_le_u32_e32 vcc_lo, s10, v7
	s_delay_alu instid0(VALU_DEP_3) | instskip(SKIP_1) | instid1(VALU_DEP_4)
	v_cmp_eq_u32_e64 s0, s11, v1
	v_cndmask_b32_e64 v7, 0, -1, vcc_lo
	v_cmp_le_u32_e32 vcc_lo, s11, v4
	v_cndmask_b32_e64 v9, 0, -1, vcc_lo
	v_cmp_le_u32_e32 vcc_lo, s10, v0
	;; [unrolled: 2-line block ×3, first 2 shown]
	v_cndmask_b32_e64 v11, 0, -1, vcc_lo
	v_cmp_eq_u32_e32 vcc_lo, s11, v4
	s_delay_alu instid0(VALU_DEP_2) | instskip(SKIP_3) | instid1(VALU_DEP_3)
	v_cndmask_b32_e64 v0, v11, v0, s0
	v_cndmask_b32_e32 v4, v9, v7, vcc_lo
	v_add_co_u32 v7, vcc_lo, v2, 1
	v_add_co_ci_u32_e32 v9, vcc_lo, 0, v3, vcc_lo
	v_cmp_ne_u32_e32 vcc_lo, 0, v4
	s_delay_alu instid0(VALU_DEP_2) | instskip(SKIP_2) | instid1(VALU_DEP_3)
	v_dual_cndmask_b32 v1, v9, v6 :: v_dual_cndmask_b32 v4, v7, v5
	v_cmp_ne_u32_e32 vcc_lo, 0, v0
	v_xor_b32_e32 v0, s6, v10
	v_dual_cndmask_b32 v2, v2, v4 :: v_dual_cndmask_b32 v1, v3, v1
	v_xor_b32_e32 v3, s7, v10
	s_delay_alu instid0(VALU_DEP_2) | instskip(NEXT) | instid1(VALU_DEP_2)
	v_xor_b32_e32 v2, v2, v0
	v_xor_b32_e32 v1, v1, v3
	s_delay_alu instid0(VALU_DEP_2) | instskip(NEXT) | instid1(VALU_DEP_2)
	v_sub_co_u32 v2, vcc_lo, v2, v0
	v_sub_co_ci_u32_e32 v3, vcc_lo, v1, v3, vcc_lo
                                        ; implicit-def: $vgpr0_vgpr1
.LBB58_82:
	s_and_not1_saveexec_b32 s0, s12
	s_cbranch_execz .LBB58_84
; %bb.83:
	v_cvt_f32_u32_e32 v1, s5
	s_sub_i32 s6, 0, s5
	s_delay_alu instid0(VALU_DEP_1) | instskip(SKIP_2) | instid1(VALU_DEP_1)
	v_rcp_iflag_f32_e32 v1, v1
	s_waitcnt_depctr 0xfff
	v_mul_f32_e32 v1, 0x4f7ffffe, v1
	v_cvt_u32_f32_e32 v1, v1
	s_delay_alu instid0(VALU_DEP_1) | instskip(NEXT) | instid1(VALU_DEP_1)
	v_mul_lo_u32 v2, s6, v1
	v_mul_hi_u32 v2, v1, v2
	s_delay_alu instid0(VALU_DEP_1) | instskip(NEXT) | instid1(VALU_DEP_1)
	v_add_nc_u32_e32 v1, v1, v2
	v_mul_hi_u32 v1, v0, v1
	s_delay_alu instid0(VALU_DEP_1) | instskip(NEXT) | instid1(VALU_DEP_1)
	v_mul_lo_u32 v2, v1, s5
	v_sub_nc_u32_e32 v0, v0, v2
	v_add_nc_u32_e32 v2, 1, v1
	s_delay_alu instid0(VALU_DEP_2) | instskip(SKIP_1) | instid1(VALU_DEP_2)
	v_subrev_nc_u32_e32 v3, s5, v0
	v_cmp_le_u32_e32 vcc_lo, s5, v0
	v_dual_cndmask_b32 v0, v0, v3 :: v_dual_mov_b32 v3, 0
	s_delay_alu instid0(VALU_DEP_4) | instskip(NEXT) | instid1(VALU_DEP_2)
	v_cndmask_b32_e32 v1, v1, v2, vcc_lo
	v_cmp_le_u32_e32 vcc_lo, s5, v0
	s_delay_alu instid0(VALU_DEP_2) | instskip(NEXT) | instid1(VALU_DEP_1)
	v_add_nc_u32_e32 v2, 1, v1
	v_cndmask_b32_e32 v2, v1, v2, vcc_lo
.LBB58_84:
	s_or_b32 exec_lo, exec_lo, s0
	s_mul_i32 s0, s8, s4
	s_delay_alu instid0(SALU_CYCLE_1) | instskip(SKIP_4) | instid1(VALU_DEP_1)
	s_ashr_i32 s4, s0, 31
	s_add_u32 s0, s1, s0
	s_addc_u32 s1, s9, s4
	v_add_co_u32 v0, vcc_lo, s0, v2
	v_add_co_ci_u32_e32 v1, vcc_lo, s1, v3, vcc_lo
	v_ashrrev_i32_e32 v2, 31, v1
	s_delay_alu instid0(VALU_DEP_1) | instskip(NEXT) | instid1(VALU_DEP_1)
	v_lshrrev_b32_e32 v2, 30, v2
	v_add_co_u32 v0, vcc_lo, v0, v2
	v_add_co_ci_u32_e32 v1, vcc_lo, 0, v1, vcc_lo
	s_delay_alu instid0(VALU_DEP_2) | instskip(NEXT) | instid1(VALU_DEP_1)
	v_and_b32_e32 v0, -4, v0
	v_add_co_u32 v0, vcc_lo, s2, v0
	s_delay_alu instid0(VALU_DEP_3)
	v_add_co_ci_u32_e32 v1, vcc_lo, s3, v1, vcc_lo
	global_store_b32 v[0:1], v8, off
.LBB58_85:
	s_nop 0
	s_sendmsg sendmsg(MSG_DEALLOC_VGPRS)
	s_endpgm
.LBB58_86:
                                        ; implicit-def: $sgpr12_sgpr13
	s_branch .LBB58_2
	.section	.rodata,"a",@progbits
	.p2align	6, 0x0
	.amdhsa_kernel _ZN4vllm32indexer_k_quant_and_cache_kernelIthLNS_18Fp8KVCacheDataTypeE1EEEvPKT_PT0_PKliiiib
		.amdhsa_group_segment_fixed_size 0
		.amdhsa_private_segment_fixed_size 0
		.amdhsa_kernarg_size 304
		.amdhsa_user_sgpr_count 14
		.amdhsa_user_sgpr_dispatch_ptr 0
		.amdhsa_user_sgpr_queue_ptr 0
		.amdhsa_user_sgpr_kernarg_segment_ptr 1
		.amdhsa_user_sgpr_dispatch_id 0
		.amdhsa_user_sgpr_private_segment_size 0
		.amdhsa_wavefront_size32 1
		.amdhsa_uses_dynamic_stack 0
		.amdhsa_enable_private_segment 0
		.amdhsa_system_sgpr_workgroup_id_x 1
		.amdhsa_system_sgpr_workgroup_id_y 1
		.amdhsa_system_sgpr_workgroup_id_z 0
		.amdhsa_system_sgpr_workgroup_info 0
		.amdhsa_system_vgpr_workitem_id 1
		.amdhsa_next_free_vgpr 18
		.amdhsa_next_free_sgpr 25
		.amdhsa_reserve_vcc 1
		.amdhsa_float_round_mode_32 0
		.amdhsa_float_round_mode_16_64 0
		.amdhsa_float_denorm_mode_32 3
		.amdhsa_float_denorm_mode_16_64 3
		.amdhsa_dx10_clamp 1
		.amdhsa_ieee_mode 1
		.amdhsa_fp16_overflow 0
		.amdhsa_workgroup_processor_mode 1
		.amdhsa_memory_ordered 1
		.amdhsa_forward_progress 0
		.amdhsa_shared_vgpr_count 0
		.amdhsa_exception_fp_ieee_invalid_op 0
		.amdhsa_exception_fp_denorm_src 0
		.amdhsa_exception_fp_ieee_div_zero 0
		.amdhsa_exception_fp_ieee_overflow 0
		.amdhsa_exception_fp_ieee_underflow 0
		.amdhsa_exception_fp_ieee_inexact 0
		.amdhsa_exception_int_div_zero 0
	.end_amdhsa_kernel
	.section	.text._ZN4vllm32indexer_k_quant_and_cache_kernelIthLNS_18Fp8KVCacheDataTypeE1EEEvPKT_PT0_PKliiiib,"axG",@progbits,_ZN4vllm32indexer_k_quant_and_cache_kernelIthLNS_18Fp8KVCacheDataTypeE1EEEvPKT_PT0_PKliiiib,comdat
.Lfunc_end58:
	.size	_ZN4vllm32indexer_k_quant_and_cache_kernelIthLNS_18Fp8KVCacheDataTypeE1EEEvPKT_PT0_PKliiiib, .Lfunc_end58-_ZN4vllm32indexer_k_quant_and_cache_kernelIthLNS_18Fp8KVCacheDataTypeE1EEEvPKT_PT0_PKliiiib
                                        ; -- End function
	.section	.AMDGPU.csdata,"",@progbits
; Kernel info:
; codeLenInByte = 5608
; NumSgprs: 27
; NumVgprs: 18
; ScratchSize: 0
; MemoryBound: 0
; FloatMode: 240
; IeeeMode: 1
; LDSByteSize: 0 bytes/workgroup (compile time only)
; SGPRBlocks: 3
; VGPRBlocks: 2
; NumSGPRsForWavesPerEU: 27
; NumVGPRsForWavesPerEU: 18
; Occupancy: 16
; WaveLimiterHint : 0
; COMPUTE_PGM_RSRC2:SCRATCH_EN: 0
; COMPUTE_PGM_RSRC2:USER_SGPR: 14
; COMPUTE_PGM_RSRC2:TRAP_HANDLER: 0
; COMPUTE_PGM_RSRC2:TGID_X_EN: 1
; COMPUTE_PGM_RSRC2:TGID_Y_EN: 1
; COMPUTE_PGM_RSRC2:TGID_Z_EN: 0
; COMPUTE_PGM_RSRC2:TIDIG_COMP_CNT: 1
	.section	.text._ZN4vllm32indexer_k_quant_and_cache_kernelI14__hip_bfloat16hLNS_18Fp8KVCacheDataTypeE1EEEvPKT_PT0_PKliiiib,"axG",@progbits,_ZN4vllm32indexer_k_quant_and_cache_kernelI14__hip_bfloat16hLNS_18Fp8KVCacheDataTypeE1EEEvPKT_PT0_PKliiiib,comdat
	.protected	_ZN4vllm32indexer_k_quant_and_cache_kernelI14__hip_bfloat16hLNS_18Fp8KVCacheDataTypeE1EEEvPKT_PT0_PKliiiib ; -- Begin function _ZN4vllm32indexer_k_quant_and_cache_kernelI14__hip_bfloat16hLNS_18Fp8KVCacheDataTypeE1EEEvPKT_PT0_PKliiiib
	.globl	_ZN4vllm32indexer_k_quant_and_cache_kernelI14__hip_bfloat16hLNS_18Fp8KVCacheDataTypeE1EEEvPKT_PT0_PKliiiib
	.p2align	8
	.type	_ZN4vllm32indexer_k_quant_and_cache_kernelI14__hip_bfloat16hLNS_18Fp8KVCacheDataTypeE1EEEvPKT_PT0_PKliiiib,@function
_ZN4vllm32indexer_k_quant_and_cache_kernelI14__hip_bfloat16hLNS_18Fp8KVCacheDataTypeE1EEEvPKT_PT0_PKliiiib: ; @_ZN4vllm32indexer_k_quant_and_cache_kernelI14__hip_bfloat16hLNS_18Fp8KVCacheDataTypeE1EEEvPKT_PT0_PKliiiib
; %bb.0:
	s_clause 0x1
	s_load_b64 s[8:9], s[0:1], 0x10
	s_load_b128 s[4:7], s[0:1], 0x18
	s_mov_b32 s2, s15
	s_mov_b32 s15, 0
	s_delay_alu instid0(SALU_CYCLE_1)
	s_lshl_b64 s[10:11], s[14:15], 3
	s_waitcnt lgkmcnt(0)
	s_add_u32 s8, s8, s10
	s_addc_u32 s9, s9, s11
	s_load_b64 s[10:11], s[8:9], 0x0
	s_ashr_i32 s9, s6, 31
	s_mov_b32 s8, s6
	s_waitcnt lgkmcnt(0)
	s_or_b64 s[12:13], s[10:11], s[8:9]
	s_mov_b32 s12, s15
	s_delay_alu instid0(SALU_CYCLE_1)
	s_cmp_lg_u64 s[12:13], 0
	s_cbranch_scc0 .LBB59_86
; %bb.1:
	s_add_u32 s16, s8, s9
	s_mov_b32 s12, s9
	s_mov_b32 s13, s9
	s_addc_u32 s17, s9, s9
	s_delay_alu instid0(SALU_CYCLE_1) | instskip(NEXT) | instid1(SALU_CYCLE_1)
	s_xor_b64 s[12:13], s[16:17], s[12:13]
	v_cvt_f32_u32_e32 v1, s12
	v_cvt_f32_u32_e32 v2, s13
	s_sub_u32 s9, 0, s12
	s_subb_u32 s16, 0, s13
	s_delay_alu instid0(VALU_DEP_1) | instskip(NEXT) | instid1(VALU_DEP_1)
	v_fmamk_f32 v1, v2, 0x4f800000, v1
	v_rcp_f32_e32 v1, v1
	s_waitcnt_depctr 0xfff
	v_mul_f32_e32 v1, 0x5f7ffffc, v1
	s_delay_alu instid0(VALU_DEP_1) | instskip(NEXT) | instid1(VALU_DEP_1)
	v_mul_f32_e32 v2, 0x2f800000, v1
	v_trunc_f32_e32 v2, v2
	s_delay_alu instid0(VALU_DEP_1) | instskip(SKIP_1) | instid1(VALU_DEP_2)
	v_fmamk_f32 v1, v2, 0xcf800000, v1
	v_cvt_u32_f32_e32 v2, v2
	v_cvt_u32_f32_e32 v1, v1
	s_delay_alu instid0(VALU_DEP_2) | instskip(NEXT) | instid1(VALU_DEP_2)
	v_readfirstlane_b32 s3, v2
	v_readfirstlane_b32 s6, v1
	s_delay_alu instid0(VALU_DEP_2) | instskip(NEXT) | instid1(VALU_DEP_1)
	s_mul_i32 s17, s9, s3
	s_mul_hi_u32 s19, s9, s6
	s_mul_i32 s18, s16, s6
	s_add_i32 s17, s19, s17
	s_mul_i32 s20, s9, s6
	s_add_i32 s17, s17, s18
	s_mul_hi_u32 s19, s6, s20
	s_mul_hi_u32 s21, s3, s20
	s_mul_i32 s18, s3, s20
	s_mul_hi_u32 s20, s6, s17
	s_mul_i32 s6, s6, s17
	s_mul_hi_u32 s22, s3, s17
	s_add_u32 s6, s19, s6
	s_addc_u32 s19, 0, s20
	s_add_u32 s6, s6, s18
	s_mul_i32 s17, s3, s17
	s_addc_u32 s6, s19, s21
	s_addc_u32 s18, s22, 0
	s_add_u32 s6, s6, s17
	s_addc_u32 s17, 0, s18
	v_add_co_u32 v1, s6, v1, s6
	s_delay_alu instid0(VALU_DEP_1) | instskip(SKIP_1) | instid1(VALU_DEP_1)
	s_cmp_lg_u32 s6, 0
	s_addc_u32 s3, s3, s17
	v_readfirstlane_b32 s6, v1
	s_mul_i32 s17, s9, s3
	s_delay_alu instid0(VALU_DEP_1)
	s_mul_hi_u32 s18, s9, s6
	s_mul_i32 s16, s16, s6
	s_add_i32 s17, s18, s17
	s_mul_i32 s9, s9, s6
	s_add_i32 s17, s17, s16
	s_mul_hi_u32 s18, s3, s9
	s_mul_i32 s19, s3, s9
	s_mul_hi_u32 s9, s6, s9
	s_mul_hi_u32 s20, s6, s17
	s_mul_i32 s6, s6, s17
	s_mul_hi_u32 s16, s3, s17
	s_add_u32 s6, s9, s6
	s_addc_u32 s9, 0, s20
	s_add_u32 s6, s6, s19
	s_mul_i32 s17, s3, s17
	s_addc_u32 s6, s9, s18
	s_addc_u32 s9, s16, 0
	s_add_u32 s6, s6, s17
	s_addc_u32 s9, 0, s9
	v_add_co_u32 v1, s6, v1, s6
	s_delay_alu instid0(VALU_DEP_1) | instskip(SKIP_2) | instid1(VALU_DEP_1)
	s_cmp_lg_u32 s6, 0
	s_addc_u32 s3, s3, s9
	s_ashr_i32 s16, s11, 31
	v_readfirstlane_b32 s6, v1
	s_add_u32 s18, s10, s16
	s_mov_b32 s17, s16
	s_addc_u32 s19, s11, s16
	s_delay_alu instid0(SALU_CYCLE_1) | instskip(NEXT) | instid1(SALU_CYCLE_1)
	s_xor_b64 s[18:19], s[18:19], s[16:17]
	s_mul_i32 s20, s18, s3
	s_mul_hi_u32 s21, s18, s6
	s_mul_hi_u32 s9, s18, s3
	;; [unrolled: 1-line block ×3, first 2 shown]
	s_mul_i32 s6, s19, s6
	s_add_u32 s20, s21, s20
	s_addc_u32 s9, 0, s9
	s_mul_hi_u32 s22, s19, s3
	s_add_u32 s6, s20, s6
	s_mul_i32 s3, s19, s3
	s_addc_u32 s6, s9, s23
	s_addc_u32 s9, s22, 0
	s_add_u32 s3, s6, s3
	s_addc_u32 s6, 0, s9
	s_mul_hi_u32 s9, s12, s3
	s_mul_i32 s20, s13, s3
	s_mul_i32 s3, s12, s3
	;; [unrolled: 1-line block ×3, first 2 shown]
	v_sub_co_u32 v1, s3, s18, s3
	s_add_i32 s6, s9, s6
	s_delay_alu instid0(SALU_CYCLE_1) | instskip(NEXT) | instid1(VALU_DEP_1)
	s_add_i32 s6, s6, s20
	v_sub_co_u32 v2, s18, v1, s12
	s_sub_i32 s9, s19, s6
	s_cmp_lg_u32 s3, 0
	s_subb_u32 s9, s9, s13
	s_cmp_lg_u32 s18, 0
	v_readfirstlane_b32 s20, v2
	s_subb_u32 s21, s9, 0
	v_sub_co_u32 v2, s23, v2, s12
	s_cmp_ge_u32 s21, s13
	s_cselect_b32 s22, -1, 0
	s_cmp_ge_u32 s20, s12
	s_cselect_b32 s24, -1, 0
	s_cmp_eq_u32 s21, s13
	s_cselect_b32 s22, s24, s22
	s_cmp_lg_u32 s18, 0
	v_readfirstlane_b32 s18, v2
	s_subb_u32 s9, s9, s13
	s_cmp_lg_u32 s23, 0
	s_subb_u32 s9, s9, 0
	s_cmp_lg_u32 s22, 0
	s_cselect_b32 s18, s18, s20
	s_cselect_b32 s9, s9, s21
	s_cmp_lg_u32 s3, 0
	v_readfirstlane_b32 s3, v1
	s_subb_u32 s6, s19, s6
	s_delay_alu instid0(SALU_CYCLE_1) | instskip(SKIP_1) | instid1(VALU_DEP_1)
	s_cmp_ge_u32 s6, s13
	s_cselect_b32 s19, -1, 0
	s_cmp_ge_u32 s3, s12
	s_cselect_b32 s12, -1, 0
	s_cmp_eq_u32 s6, s13
	s_cselect_b32 s12, s12, s19
	s_delay_alu instid0(SALU_CYCLE_1) | instskip(SKIP_2) | instid1(SALU_CYCLE_1)
	s_cmp_lg_u32 s12, 0
	s_cselect_b32 s13, s9, s6
	s_cselect_b32 s12, s18, s3
	s_xor_b64 s[12:13], s[12:13], s[16:17]
	s_delay_alu instid0(SALU_CYCLE_1)
	s_sub_u32 s12, s12, s16
	s_subb_u32 s13, s13, s16
	s_and_not1_b32 vcc_lo, exec_lo, s15
	s_cbranch_vccnz .LBB59_3
.LBB59_2:
	v_cvt_f32_u32_e32 v1, s8
	s_sub_i32 s6, 0, s8
	s_mov_b32 s13, 0
	s_delay_alu instid0(VALU_DEP_1) | instskip(SKIP_2) | instid1(VALU_DEP_1)
	v_rcp_iflag_f32_e32 v1, v1
	s_waitcnt_depctr 0xfff
	v_mul_f32_e32 v1, 0x4f7ffffe, v1
	v_cvt_u32_f32_e32 v1, v1
	s_delay_alu instid0(VALU_DEP_1) | instskip(NEXT) | instid1(VALU_DEP_1)
	v_readfirstlane_b32 s3, v1
	s_mul_i32 s6, s6, s3
	s_delay_alu instid0(SALU_CYCLE_1) | instskip(NEXT) | instid1(SALU_CYCLE_1)
	s_mul_hi_u32 s6, s3, s6
	s_add_i32 s3, s3, s6
	s_delay_alu instid0(SALU_CYCLE_1) | instskip(NEXT) | instid1(SALU_CYCLE_1)
	s_mul_hi_u32 s3, s10, s3
	s_mul_i32 s3, s3, s8
	s_delay_alu instid0(SALU_CYCLE_1) | instskip(NEXT) | instid1(SALU_CYCLE_1)
	s_sub_i32 s3, s10, s3
	s_sub_i32 s6, s3, s8
	s_cmp_ge_u32 s3, s8
	s_cselect_b32 s3, s6, s3
	s_delay_alu instid0(SALU_CYCLE_1)
	s_sub_i32 s6, s3, s8
	s_cmp_ge_u32 s3, s8
	s_cselect_b32 s12, s6, s3
.LBB59_3:
	v_cmp_lt_i64_e64 s3, s[10:11], 0
	s_delay_alu instid0(VALU_DEP_1)
	s_and_b32 vcc_lo, exec_lo, s3
	s_cbranch_vccnz .LBB59_85
; %bb.4:
	s_load_b32 s3, s[0:1], 0x3c
	v_bfe_u32 v1, v0, 10, 10
	v_and_b32_e32 v8, 0x3ff, v0
	s_ashr_i32 s17, s4, 31
	s_mov_b32 s16, s4
	s_waitcnt lgkmcnt(0)
	s_lshr_b32 s6, s3, 16
	s_delay_alu instid0(SALU_CYCLE_1)
	v_mad_u64_u32 v[2:3], null, s2, s6, v[1:2]
	s_load_b32 s6, s[0:1], 0x28
	s_and_b32 s2, s3, 0xffff
	s_delay_alu instid0(VALU_DEP_1) | instid1(SALU_CYCLE_1)
	v_mul_lo_u32 v1, v2, s2
	s_mov_b32 s2, exec_lo
	s_delay_alu instid0(VALU_DEP_1) | instskip(SKIP_1) | instid1(VALU_DEP_1)
	v_add_lshl_u32 v0, v1, v8, 2
	v_mov_b32_e32 v1, 0
	v_cmpx_gt_i64_e64 s[16:17], v[0:1]
	s_cbranch_execz .LBB59_85
; %bb.5:
	v_mad_u64_u32 v[2:3], null, s16, s14, v[0:1]
	s_load_b128 s[0:3], s[0:1], 0x0
	s_waitcnt lgkmcnt(0)
	s_bitcmp1_b32 s6, 0
	v_mov_b32_e32 v14, v1
	s_delay_alu instid0(VALU_DEP_2) | instskip(NEXT) | instid1(VALU_DEP_1)
	v_mad_u64_u32 v[4:5], null, s17, s14, v[3:4]
	v_mov_b32_e32 v3, v4
	v_mbcnt_lo_u32_b32 v4, -1, 0
	s_delay_alu instid0(VALU_DEP_2) | instskip(NEXT) | instid1(VALU_DEP_2)
	v_lshlrev_b64 v[2:3], 1, v[2:3]
	v_xor_b32_e32 v5, 16, v4
	s_delay_alu instid0(VALU_DEP_2) | instskip(NEXT) | instid1(VALU_DEP_1)
	v_and_b32_e32 v2, -8, v2
	v_add_co_u32 v2, vcc_lo, s0, v2
	s_delay_alu instid0(VALU_DEP_4) | instskip(NEXT) | instid1(VALU_DEP_4)
	v_add_co_ci_u32_e32 v3, vcc_lo, s1, v3, vcc_lo
	v_cmp_gt_i32_e32 vcc_lo, 32, v5
	s_mov_b32 s0, exec_lo
	global_load_b64 v[2:3], v[2:3], off
	s_waitcnt vmcnt(0)
	v_dual_cndmask_b32 v5, v4, v5 :: v_dual_and_b32 v6, 0xffff0000, v2
	v_lshlrev_b32_e32 v11, 16, v2
	v_alignbit_b32 v2, v3, v2, 16
	v_and_b32_e32 v9, 0xffff0000, v3
	s_delay_alu instid0(VALU_DEP_3) | instskip(NEXT) | instid1(VALU_DEP_3)
	v_max3_f32 v3, |v11|, 0, |v6|
	v_and_b32_e32 v10, 0xffff0000, v2
	v_lshlrev_b32_e32 v2, 2, v5
	v_xor_b32_e32 v5, 8, v4
	s_delay_alu instid0(VALU_DEP_1)
	v_cmp_gt_i32_e32 vcc_lo, 32, v5
	v_cndmask_b32_e32 v5, v4, v5, vcc_lo
	v_max3_f32 v3, v3, |v10|, |v9|
	ds_bpermute_b32 v2, v2, v3
	s_waitcnt lgkmcnt(0)
	v_dual_max_f32 v2, v2, v2 :: v_dual_lshlrev_b32 v5, 2, v5
	s_delay_alu instid0(VALU_DEP_1) | instskip(SKIP_2) | instid1(VALU_DEP_1)
	v_max_f32_e32 v2, v3, v2
	ds_bpermute_b32 v3, v5, v2
	v_xor_b32_e32 v5, 4, v4
	v_cmp_gt_i32_e32 vcc_lo, 32, v5
	s_waitcnt lgkmcnt(0)
	v_max_f32_e32 v3, v3, v3
	s_delay_alu instid0(VALU_DEP_1) | instskip(NEXT) | instid1(VALU_DEP_1)
	v_dual_max_f32 v2, v2, v3 :: v_dual_cndmask_b32 v5, v4, v5
	v_lshlrev_b32_e32 v5, 2, v5
	ds_bpermute_b32 v3, v5, v2
	v_xor_b32_e32 v5, 2, v4
	s_delay_alu instid0(VALU_DEP_1) | instskip(SKIP_1) | instid1(VALU_DEP_1)
	v_cmp_gt_i32_e32 vcc_lo, 32, v5
	v_cndmask_b32_e32 v5, v4, v5, vcc_lo
	v_lshlrev_b32_e32 v5, 2, v5
	s_waitcnt lgkmcnt(0)
	v_max_f32_e32 v3, v3, v3
	s_delay_alu instid0(VALU_DEP_1) | instskip(SKIP_2) | instid1(VALU_DEP_1)
	v_max_f32_e32 v2, v2, v3
	ds_bpermute_b32 v3, v5, v2
	v_xor_b32_e32 v5, 1, v4
	v_cmp_gt_i32_e32 vcc_lo, 32, v5
	v_cndmask_b32_e32 v4, v4, v5, vcc_lo
	s_waitcnt lgkmcnt(0)
	s_delay_alu instid0(VALU_DEP_1) | instskip(NEXT) | instid1(VALU_DEP_1)
	v_dual_max_f32 v3, v3, v3 :: v_dual_lshlrev_b32 v4, 2, v4
	v_max_f32_e32 v2, v2, v3
	ds_bpermute_b32 v3, v4, v2
	s_waitcnt lgkmcnt(0)
	v_max3_f32 v2, v2, v3, 0x38d1b717
	s_delay_alu instid0(VALU_DEP_1) | instskip(SKIP_1) | instid1(VALU_DEP_2)
	v_div_scale_f32 v3, null, 0x43e00000, 0x43e00000, v2
	v_div_scale_f32 v7, vcc_lo, v2, 0x43e00000, v2
	v_rcp_f32_e32 v4, v3
	s_waitcnt_depctr 0xfff
	v_fma_f32 v5, -v3, v4, 1.0
	s_delay_alu instid0(VALU_DEP_1) | instskip(NEXT) | instid1(VALU_DEP_1)
	v_fmac_f32_e32 v4, v5, v4
	v_mul_f32_e32 v5, v7, v4
	s_delay_alu instid0(VALU_DEP_1) | instskip(NEXT) | instid1(VALU_DEP_1)
	v_fma_f32 v12, -v3, v5, v7
	v_fmac_f32_e32 v5, v12, v4
	s_delay_alu instid0(VALU_DEP_1) | instskip(NEXT) | instid1(VALU_DEP_1)
	v_fma_f32 v3, -v3, v5, v7
	v_div_fmas_f32 v3, v3, v4, v5
	s_delay_alu instid0(VALU_DEP_1) | instskip(NEXT) | instid1(VALU_DEP_1)
	v_div_fixup_f32 v2, v3, 0x43e00000, v2
	v_cmp_gt_f32_e32 vcc_lo, 0x800000, v2
	v_cndmask_b32_e64 v3, 1.0, 0x4f800000, vcc_lo
	v_cndmask_b32_e64 v4, 0, 0x42000000, vcc_lo
	s_delay_alu instid0(VALU_DEP_2) | instskip(NEXT) | instid1(VALU_DEP_1)
	v_mul_f32_e32 v3, v2, v3
	v_log_f32_e32 v3, v3
	s_waitcnt_depctr 0xfff
	v_sub_f32_e32 v3, v3, v4
	s_delay_alu instid0(VALU_DEP_1) | instskip(NEXT) | instid1(VALU_DEP_1)
	v_ceil_f32_e32 v3, v3
	v_cmp_gt_f32_e32 vcc_lo, 0xc2fc0000, v3
	v_cndmask_b32_e64 v4, 0, 0x42800000, vcc_lo
	s_delay_alu instid0(VALU_DEP_1) | instskip(SKIP_2) | instid1(VALU_DEP_2)
	v_add_f32_e32 v3, v3, v4
	v_cndmask_b32_e64 v4, 1.0, 0x1f800000, vcc_lo
	s_cselect_b32 vcc_lo, -1, 0
	v_exp_f32_e32 v3, v3
	s_waitcnt_depctr 0xfff
	v_mul_f32_e32 v3, v3, v4
	s_delay_alu instid0(VALU_DEP_1) | instskip(NEXT) | instid1(VALU_DEP_1)
	v_cndmask_b32_e32 v7, v2, v3, vcc_lo
	v_div_scale_f32 v2, null, v7, v7, v11
	s_delay_alu instid0(VALU_DEP_1) | instskip(SKIP_2) | instid1(VALU_DEP_1)
	v_rcp_f32_e32 v3, v2
	s_waitcnt_depctr 0xfff
	v_fma_f32 v4, -v2, v3, 1.0
	v_fmac_f32_e32 v3, v4, v3
	v_div_scale_f32 v4, vcc_lo, v11, v7, v11
	s_delay_alu instid0(VALU_DEP_1) | instskip(NEXT) | instid1(VALU_DEP_1)
	v_mul_f32_e32 v5, v4, v3
	v_fma_f32 v12, -v2, v5, v4
	s_delay_alu instid0(VALU_DEP_1) | instskip(NEXT) | instid1(VALU_DEP_1)
	v_fmac_f32_e32 v5, v12, v3
	v_fma_f32 v2, -v2, v5, v4
	s_delay_alu instid0(VALU_DEP_1) | instskip(SKIP_1) | instid1(VALU_DEP_2)
	v_div_fmas_f32 v2, v2, v3, v5
	v_mov_b32_e32 v5, v1
                                        ; implicit-def: $vgpr3
	v_div_fixup_f32 v12, v2, v7, v11
	s_delay_alu instid0(VALU_DEP_1) | instskip(SKIP_2) | instid1(VALU_DEP_2)
	v_and_b32_e32 v4, 0x7fffff, v12
	v_lshrrev_b32_e32 v2, 24, v12
	v_and_b32_e32 v13, 0x7f800000, v12
	v_and_b32_e32 v11, 0x80, v2
	s_delay_alu instid0(VALU_DEP_1) | instskip(NEXT) | instid1(VALU_DEP_3)
	v_or_b32_e32 v1, 0x7e, v11
	v_cmpx_ne_u64_e32 0x7f800000, v[13:14]
	s_xor_b32 s1, exec_lo, s0
	s_cbranch_execz .LBB59_23
; %bb.6:
	v_dual_mov_b32 v3, 0 :: v_dual_and_b32 v2, 0x7fffffff, v12
	s_mov_b32 s0, exec_lo
	s_delay_alu instid0(VALU_DEP_1)
	v_cmpx_gt_u64_e32 0x43e00001, v[2:3]
	s_xor_b32 s6, exec_lo, s0
	s_cbranch_execz .LBB59_20
; %bb.7:
	s_mov_b32 s9, exec_lo
	v_cmpx_ne_u32_e32 0, v12
	s_cbranch_execz .LBB59_19
; %bb.8:
	v_bfe_u32 v12, v12, 23, 8
	v_or_b32_e32 v3, 0x800000, v4
	s_mov_b32 s14, exec_lo
	s_delay_alu instid0(VALU_DEP_2) | instskip(SKIP_1) | instid1(VALU_DEP_2)
	v_sub_nc_u32_e32 v1, 0x79, v12
	v_cmp_gt_u32_e32 vcc_lo, 0x7a, v12
	v_cndmask_b32_e32 v1, 0, v1, vcc_lo
	v_cmp_eq_u32_e32 vcc_lo, 0, v12
	v_cndmask_b32_e32 v4, v3, v4, vcc_lo
	s_delay_alu instid0(VALU_DEP_3) | instskip(NEXT) | instid1(VALU_DEP_1)
	v_cndmask_b32_e64 v13, v1, 0x78, vcc_lo
	v_add_nc_u32_e32 v1, 20, v13
	v_add_nc_u32_e32 v3, 19, v13
	s_delay_alu instid0(VALU_DEP_2) | instskip(NEXT) | instid1(VALU_DEP_2)
	v_lshlrev_b64 v[1:2], v1, -1
	v_lshlrev_b64 v[14:15], v3, 1
	s_delay_alu instid0(VALU_DEP_2) | instskip(NEXT) | instid1(VALU_DEP_3)
	v_not_b32_e32 v2, v2
	v_not_b32_e32 v1, v1
	s_delay_alu instid0(VALU_DEP_2) | instskip(NEXT) | instid1(VALU_DEP_2)
	v_and_b32_e32 v17, 0, v2
	v_and_b32_e32 v16, v4, v1
	v_lshrrev_b64 v[1:2], v13, v[4:5]
	s_delay_alu instid0(VALU_DEP_1) | instskip(NEXT) | instid1(VALU_DEP_3)
	v_dual_mov_b32 v4, v2 :: v_dual_mov_b32 v3, v1
	v_cmpx_eq_u64_e64 v[16:17], v[14:15]
; %bb.9:
	v_bfe_u32 v3, v1, 20, 1
	s_delay_alu instid0(VALU_DEP_1) | instskip(NEXT) | instid1(VALU_DEP_1)
	v_add_co_u32 v3, s0, v1, v3
	v_add_co_u32 v3, s0, v3, -1
; %bb.10:
	s_or_b32 exec_lo, exec_lo, s14
	v_add_nc_u32_e32 v4, 0xffffff81, v12
	v_lshrrev_b32_e32 v5, 23, v1
	s_mov_b32 s0, exec_lo
	s_delay_alu instid0(VALU_DEP_2) | instskip(NEXT) | instid1(VALU_DEP_1)
	v_cndmask_b32_e64 v4, v4, 0xffffff82, vcc_lo
	v_add3_u32 v5, v13, v4, v5
	v_and_b32_e32 v4, 0xfffff, v3
	s_delay_alu instid0(VALU_DEP_2) | instskip(NEXT) | instid1(VALU_DEP_2)
	v_add_nc_u32_e32 v3, 6, v5
	v_add_co_u32 v1, vcc_lo, v4, v1
	v_add_co_ci_u32_e32 v2, vcc_lo, 0, v2, vcc_lo
                                        ; implicit-def: $vgpr4
	s_delay_alu instid0(VALU_DEP_3)
	v_cmpx_ne_u32_e32 0, v3
	s_xor_b32 s0, exec_lo, s0
; %bb.11:
	s_delay_alu instid0(VALU_DEP_2) | instskip(SKIP_1) | instid1(VALU_DEP_1)
	v_cmp_lt_u64_e32 vcc_lo, 0xffffff, v[1:2]
	v_add_nc_u32_e32 v4, 7, v5
	v_cndmask_b32_e32 v4, v3, v4, vcc_lo
	v_cndmask_b32_e64 v3, 0, 1, vcc_lo
	s_delay_alu instid0(VALU_DEP_1)
	v_lshrrev_b64 v[1:2], v3, v[1:2]
; %bb.12:
	s_and_not1_saveexec_b32 s0, s0
; %bb.13:
	s_delay_alu instid0(VALU_DEP_1)
	v_bfe_u32 v4, v1, 23, 1
; %bb.14:
	s_or_b32 exec_lo, exec_lo, s0
	s_delay_alu instid0(VALU_DEP_2) | instskip(NEXT) | instid1(VALU_DEP_2)
	v_lshrrev_b64 v[1:2], 20, v[1:2]
	v_cmp_gt_i32_e32 vcc_lo, 16, v4
	v_cmp_ne_u32_e64 s0, 0, v4
                                        ; implicit-def: $vgpr3
	s_delay_alu instid0(VALU_DEP_3) | instskip(NEXT) | instid1(VALU_DEP_1)
	v_dual_cndmask_b32 v2, 0, v2 :: v_dual_cndmask_b32 v1, 7, v1
	v_cmp_ne_u64_e32 vcc_lo, 0, v[1:2]
	s_delay_alu instid0(VALU_DEP_3) | instskip(NEXT) | instid1(SALU_CYCLE_1)
	s_or_b32 s0, s0, vcc_lo
	s_and_saveexec_b32 s14, s0
	s_delay_alu instid0(SALU_CYCLE_1)
	s_xor_b32 s0, exec_lo, s14
; %bb.15:
	v_min_i32_e32 v2, 15, v4
	s_delay_alu instid0(VALU_DEP_1) | instskip(NEXT) | instid1(VALU_DEP_1)
	v_lshl_or_b32 v2, v2, 3, v11
                                        ; implicit-def: $vgpr11
	v_and_or_b32 v3, v1, 7, v2
; %bb.16:
	s_and_not1_saveexec_b32 s0, s0
; %bb.17:
	v_mov_b32_e32 v3, v11
; %bb.18:
	s_or_b32 exec_lo, exec_lo, s0
.LBB59_19:
	s_delay_alu instid0(SALU_CYCLE_1)
	s_or_b32 exec_lo, exec_lo, s9
                                        ; implicit-def: $vgpr1
.LBB59_20:
	s_and_not1_saveexec_b32 s0, s6
; %bb.21:
	v_mov_b32_e32 v3, v1
; %bb.22:
	s_or_b32 exec_lo, exec_lo, s0
                                        ; implicit-def: $vgpr2
                                        ; implicit-def: $vgpr4_vgpr5
                                        ; implicit-def: $vgpr1
.LBB59_23:
	s_and_not1_saveexec_b32 s0, s1
; %bb.24:
	v_cmp_eq_u64_e32 vcc_lo, 0, v[4:5]
	v_or_b32_e32 v2, 0x7f, v2
	s_delay_alu instid0(VALU_DEP_1)
	v_cndmask_b32_e32 v3, v2, v1, vcc_lo
; %bb.25:
	s_or_b32 exec_lo, exec_lo, s0
	v_div_scale_f32 v1, null, v7, v7, v6
	v_div_scale_f32 v11, vcc_lo, v6, v7, v6
	s_sub_u32 s0, s10, s12
	s_delay_alu instid0(VALU_DEP_2)
	v_rcp_f32_e32 v2, v1
	s_mul_i32 s9, s12, s17
	s_mul_hi_u32 s10, s12, s16
	s_mul_i32 s6, s12, s16
	s_subb_u32 s11, s11, s13
	s_ashr_i32 s12, s7, 31
	s_mul_i32 s14, s13, s16
	s_mul_hi_u32 s13, s0, s7
	s_mul_i32 s1, s0, s7
	s_mul_i32 s0, s0, s12
	s_waitcnt_depctr 0xfff
	v_fma_f32 v4, -v1, v2, 1.0
	s_add_i32 s9, s10, s9
	s_mul_i32 s11, s11, s7
	s_add_i32 s0, s13, s0
	s_add_i32 s7, s9, s14
	v_fmac_f32_e32 v2, v4, v2
	s_add_i32 s9, s0, s11
	s_add_u32 s0, s2, s1
	s_addc_u32 s10, s3, s9
	s_add_u32 s0, s0, s6
	v_mul_f32_e32 v4, v11, v2
	s_addc_u32 s10, s10, s7
	s_delay_alu instid0(VALU_DEP_1) | instskip(NEXT) | instid1(VALU_DEP_1)
	v_fma_f32 v5, -v1, v4, v11
	v_dual_fmac_f32 v4, v5, v2 :: v_dual_mov_b32 v5, 0
	s_delay_alu instid0(VALU_DEP_1) | instskip(NEXT) | instid1(VALU_DEP_2)
	v_fma_f32 v1, -v1, v4, v11
	v_mov_b32_e32 v15, v5
	s_delay_alu instid0(VALU_DEP_2) | instskip(NEXT) | instid1(VALU_DEP_1)
	v_div_fmas_f32 v1, v1, v2, v4
	v_div_fixup_f32 v12, v1, v7, v6
	v_add_co_u32 v1, s0, s0, v0
	s_delay_alu instid0(VALU_DEP_1) | instskip(NEXT) | instid1(VALU_DEP_3)
	v_add_co_ci_u32_e64 v2, null, s10, 0, s0
	v_lshrrev_b32_e32 v13, 24, v12
	v_and_b32_e32 v14, 0x7f800000, v12
	v_and_b32_e32 v4, 0x7fffff, v12
	global_store_b8 v[1:2], v3, off
	s_mov_b32 s0, exec_lo
	v_and_b32_e32 v11, 0x80, v13
	s_delay_alu instid0(VALU_DEP_1)
	v_or_b32_e32 v6, 0x7e, v11
	v_cmpx_ne_u64_e32 0x7f800000, v[14:15]
	s_xor_b32 s10, exec_lo, s0
	s_cbranch_execz .LBB59_41
; %bb.26:
	v_dual_mov_b32 v14, v5 :: v_dual_and_b32 v13, 0x7fffffff, v12
	s_mov_b32 s0, exec_lo
	s_delay_alu instid0(VALU_DEP_1)
	v_cmpx_gt_u64_e32 0x43e00001, v[13:14]
	s_xor_b32 s11, exec_lo, s0
	s_cbranch_execz .LBB59_40
; %bb.27:
	v_mov_b32_e32 v6, 0
	s_mov_b32 s12, exec_lo
	v_cmpx_ne_u32_e32 0, v12
	s_cbranch_execz .LBB59_39
; %bb.28:
	v_bfe_u32 v12, v12, 23, 8
	v_or_b32_e32 v6, 0x800000, v4
	s_mov_b32 s13, exec_lo
	s_delay_alu instid0(VALU_DEP_2) | instskip(SKIP_1) | instid1(VALU_DEP_2)
	v_sub_nc_u32_e32 v3, 0x79, v12
	v_cmp_gt_u32_e32 vcc_lo, 0x7a, v12
	v_cndmask_b32_e32 v3, 0, v3, vcc_lo
	v_cmp_eq_u32_e32 vcc_lo, 0, v12
	v_cndmask_b32_e32 v4, v6, v4, vcc_lo
	s_delay_alu instid0(VALU_DEP_3) | instskip(NEXT) | instid1(VALU_DEP_1)
	v_cndmask_b32_e64 v13, v3, 0x78, vcc_lo
	v_add_nc_u32_e32 v3, 20, v13
	s_delay_alu instid0(VALU_DEP_1) | instskip(SKIP_1) | instid1(VALU_DEP_2)
	v_lshlrev_b64 v[14:15], v3, -1
	v_add_nc_u32_e32 v3, 19, v13
	v_not_b32_e32 v16, v14
	s_delay_alu instid0(VALU_DEP_3) | instskip(NEXT) | instid1(VALU_DEP_3)
	v_not_b32_e32 v6, v15
	v_lshlrev_b64 v[14:15], v3, 1
	s_delay_alu instid0(VALU_DEP_3) | instskip(SKIP_1) | instid1(VALU_DEP_1)
	v_and_b32_e32 v16, v4, v16
	v_lshrrev_b64 v[3:4], v13, v[4:5]
	v_dual_mov_b32 v6, v4 :: v_dual_and_b32 v17, 0, v6
	s_delay_alu instid0(VALU_DEP_2) | instskip(NEXT) | instid1(VALU_DEP_2)
	v_mov_b32_e32 v5, v3
	v_cmpx_eq_u64_e64 v[16:17], v[14:15]
; %bb.29:
	v_bfe_u32 v5, v3, 20, 1
	s_delay_alu instid0(VALU_DEP_1) | instskip(NEXT) | instid1(VALU_DEP_1)
	v_add_co_u32 v5, s0, v3, v5
	v_add_co_u32 v5, s0, v5, -1
; %bb.30:
	s_or_b32 exec_lo, exec_lo, s13
	v_add_nc_u32_e32 v6, 0xffffff81, v12
	v_lshrrev_b32_e32 v12, 23, v3
	s_delay_alu instid0(VALU_DEP_3) | instskip(SKIP_1) | instid1(VALU_DEP_3)
	v_and_b32_e32 v5, 0xfffff, v5
	s_mov_b32 s0, exec_lo
	v_cndmask_b32_e64 v6, v6, 0xffffff82, vcc_lo
	s_delay_alu instid0(VALU_DEP_2) | instskip(SKIP_1) | instid1(VALU_DEP_3)
	v_add_co_u32 v3, vcc_lo, v5, v3
	v_add_co_ci_u32_e32 v4, vcc_lo, 0, v4, vcc_lo
	v_add3_u32 v6, v13, v6, v12
                                        ; implicit-def: $vgpr5
	s_delay_alu instid0(VALU_DEP_1) | instskip(NEXT) | instid1(VALU_DEP_1)
	v_add_nc_u32_e32 v12, 6, v6
	v_cmpx_ne_u32_e32 0, v12
	s_xor_b32 s0, exec_lo, s0
; %bb.31:
	v_cmp_lt_u64_e32 vcc_lo, 0xffffff, v[3:4]
	v_add_nc_u32_e32 v5, 7, v6
	v_cndmask_b32_e64 v6, 0, 1, vcc_lo
	s_delay_alu instid0(VALU_DEP_2) | instskip(NEXT) | instid1(VALU_DEP_2)
	v_cndmask_b32_e32 v5, v12, v5, vcc_lo
	v_lshrrev_b64 v[3:4], v6, v[3:4]
; %bb.32:
	s_and_not1_saveexec_b32 s0, s0
; %bb.33:
	s_delay_alu instid0(VALU_DEP_1)
	v_bfe_u32 v5, v3, 23, 1
; %bb.34:
	s_or_b32 exec_lo, exec_lo, s0
	s_delay_alu instid0(VALU_DEP_2) | instskip(NEXT) | instid1(VALU_DEP_2)
	v_lshrrev_b64 v[3:4], 20, v[3:4]
	v_cmp_gt_i32_e32 vcc_lo, 16, v5
	v_cmp_ne_u32_e64 s0, 0, v5
                                        ; implicit-def: $vgpr6
	s_delay_alu instid0(VALU_DEP_3) | instskip(NEXT) | instid1(VALU_DEP_1)
	v_dual_cndmask_b32 v4, 0, v4 :: v_dual_cndmask_b32 v3, 7, v3
	v_cmp_ne_u64_e32 vcc_lo, 0, v[3:4]
	s_delay_alu instid0(VALU_DEP_3) | instskip(NEXT) | instid1(SALU_CYCLE_1)
	s_or_b32 s0, s0, vcc_lo
	s_and_saveexec_b32 s13, s0
	s_delay_alu instid0(SALU_CYCLE_1)
	s_xor_b32 s0, exec_lo, s13
; %bb.35:
	v_min_i32_e32 v4, 15, v5
	s_delay_alu instid0(VALU_DEP_1) | instskip(NEXT) | instid1(VALU_DEP_1)
	v_lshl_or_b32 v4, v4, 3, v11
                                        ; implicit-def: $vgpr11
	v_and_or_b32 v6, v3, 7, v4
; %bb.36:
	s_and_not1_saveexec_b32 s0, s0
; %bb.37:
	v_mov_b32_e32 v6, v11
; %bb.38:
	s_or_b32 exec_lo, exec_lo, s0
.LBB59_39:
	s_delay_alu instid0(SALU_CYCLE_1)
	s_or_b32 exec_lo, exec_lo, s12
.LBB59_40:
	s_and_not1_saveexec_b32 s0, s11
	s_delay_alu instid0(SALU_CYCLE_1)
	s_or_b32 exec_lo, exec_lo, s0
                                        ; implicit-def: $vgpr13
                                        ; implicit-def: $vgpr4_vgpr5
.LBB59_41:
	s_and_not1_saveexec_b32 s0, s10
; %bb.42:
	v_cmp_eq_u64_e32 vcc_lo, 0, v[4:5]
	v_or_b32_e32 v3, 0x7f, v13
	s_delay_alu instid0(VALU_DEP_1)
	v_cndmask_b32_e32 v6, v3, v6, vcc_lo
; %bb.43:
	s_or_b32 exec_lo, exec_lo, s0
	v_div_scale_f32 v3, null, v7, v7, v10
	global_store_b8 v[1:2], v6, off offset:1
	s_mov_b32 s0, exec_lo
	v_rcp_f32_e32 v4, v3
	s_waitcnt_depctr 0xfff
	v_fma_f32 v5, -v3, v4, 1.0
	s_delay_alu instid0(VALU_DEP_1) | instskip(SKIP_1) | instid1(VALU_DEP_1)
	v_fmac_f32_e32 v4, v5, v4
	v_div_scale_f32 v5, vcc_lo, v10, v7, v10
	v_mul_f32_e32 v11, v5, v4
	s_delay_alu instid0(VALU_DEP_1) | instskip(NEXT) | instid1(VALU_DEP_1)
	v_fma_f32 v12, -v3, v11, v5
	v_fmac_f32_e32 v11, v12, v4
	s_delay_alu instid0(VALU_DEP_1) | instskip(NEXT) | instid1(VALU_DEP_1)
	v_fma_f32 v3, -v3, v11, v5
	v_div_fmas_f32 v3, v3, v4, v11
	v_mov_b32_e32 v4, 0
	s_delay_alu instid0(VALU_DEP_2) | instskip(NEXT) | instid1(VALU_DEP_1)
	v_div_fixup_f32 v11, v3, v7, v10
	v_dual_mov_b32 v14, v4 :: v_dual_and_b32 v3, 0x7fffff, v11
	v_lshrrev_b32_e32 v12, 24, v11
	v_and_b32_e32 v13, 0x7f800000, v11
	s_delay_alu instid0(VALU_DEP_2) | instskip(NEXT) | instid1(VALU_DEP_1)
	v_and_b32_e32 v10, 0x80, v12
	v_or_b32_e32 v5, 0x7e, v10
	s_delay_alu instid0(VALU_DEP_3)
	v_cmpx_ne_u64_e32 0x7f800000, v[13:14]
	s_xor_b32 s10, exec_lo, s0
	s_cbranch_execz .LBB59_59
; %bb.44:
	v_dual_mov_b32 v13, v4 :: v_dual_and_b32 v12, 0x7fffffff, v11
	s_mov_b32 s0, exec_lo
	s_delay_alu instid0(VALU_DEP_1)
	v_cmpx_gt_u64_e32 0x43e00001, v[12:13]
	s_xor_b32 s11, exec_lo, s0
	s_cbranch_execz .LBB59_58
; %bb.45:
	v_mov_b32_e32 v5, 0
	s_mov_b32 s12, exec_lo
	v_cmpx_ne_u32_e32 0, v11
	s_cbranch_execz .LBB59_57
; %bb.46:
	v_bfe_u32 v11, v11, 23, 8
	v_or_b32_e32 v13, 0x800000, v3
	s_delay_alu instid0(VALU_DEP_2) | instskip(SKIP_1) | instid1(VALU_DEP_2)
	v_sub_nc_u32_e32 v5, 0x79, v11
	v_cmp_gt_u32_e32 vcc_lo, 0x7a, v11
	v_cndmask_b32_e32 v5, 0, v5, vcc_lo
	v_cmp_eq_u32_e32 vcc_lo, 0, v11
	s_delay_alu instid0(VALU_DEP_2) | instskip(SKIP_1) | instid1(VALU_DEP_2)
	v_cndmask_b32_e64 v12, v5, 0x78, vcc_lo
	v_cndmask_b32_e32 v3, v13, v3, vcc_lo
	v_add_nc_u32_e32 v5, 20, v12
	v_add_nc_u32_e32 v13, 19, v12
	s_delay_alu instid0(VALU_DEP_2) | instskip(NEXT) | instid1(VALU_DEP_1)
	v_lshlrev_b64 v[5:6], v5, -1
	v_not_b32_e32 v15, v5
	s_delay_alu instid0(VALU_DEP_2) | instskip(NEXT) | instid1(VALU_DEP_4)
	v_not_b32_e32 v14, v6
	v_lshlrev_b64 v[5:6], v13, 1
	s_delay_alu instid0(VALU_DEP_3) | instskip(SKIP_1) | instid1(VALU_DEP_4)
	v_and_b32_e32 v13, v3, v15
	v_lshrrev_b64 v[3:4], v12, v[3:4]
	v_and_b32_e32 v14, 0, v14
	s_delay_alu instid0(VALU_DEP_1) | instskip(NEXT) | instid1(VALU_DEP_3)
	v_cmp_eq_u64_e64 s0, v[13:14], v[5:6]
	v_dual_mov_b32 v6, v4 :: v_dual_mov_b32 v5, v3
	s_delay_alu instid0(VALU_DEP_2)
	s_and_saveexec_b32 s13, s0
; %bb.47:
	v_bfe_u32 v5, v3, 20, 1
	s_delay_alu instid0(VALU_DEP_1) | instskip(NEXT) | instid1(VALU_DEP_1)
	v_add_co_u32 v5, s0, v3, v5
	v_add_co_u32 v5, s0, v5, -1
; %bb.48:
	s_or_b32 exec_lo, exec_lo, s13
	v_add_nc_u32_e32 v6, 0xffffff81, v11
	v_lshrrev_b32_e32 v11, 23, v3
	s_mov_b32 s0, exec_lo
	s_delay_alu instid0(VALU_DEP_2) | instskip(NEXT) | instid1(VALU_DEP_1)
	v_cndmask_b32_e64 v6, v6, 0xffffff82, vcc_lo
	v_add3_u32 v11, v12, v6, v11
	v_and_b32_e32 v6, 0xfffff, v5
	s_delay_alu instid0(VALU_DEP_2) | instskip(NEXT) | instid1(VALU_DEP_2)
	v_add_nc_u32_e32 v5, 6, v11
	v_add_co_u32 v3, vcc_lo, v6, v3
	v_add_co_ci_u32_e32 v4, vcc_lo, 0, v4, vcc_lo
                                        ; implicit-def: $vgpr6
	s_delay_alu instid0(VALU_DEP_3)
	v_cmpx_ne_u32_e32 0, v5
	s_xor_b32 s0, exec_lo, s0
; %bb.49:
	s_delay_alu instid0(VALU_DEP_2) | instskip(SKIP_1) | instid1(VALU_DEP_1)
	v_cmp_lt_u64_e32 vcc_lo, 0xffffff, v[3:4]
	v_add_nc_u32_e32 v6, 7, v11
	v_cndmask_b32_e32 v6, v5, v6, vcc_lo
	v_cndmask_b32_e64 v5, 0, 1, vcc_lo
	s_delay_alu instid0(VALU_DEP_1)
	v_lshrrev_b64 v[3:4], v5, v[3:4]
; %bb.50:
	s_and_not1_saveexec_b32 s0, s0
; %bb.51:
	s_delay_alu instid0(VALU_DEP_1)
	v_bfe_u32 v6, v3, 23, 1
; %bb.52:
	s_or_b32 exec_lo, exec_lo, s0
	s_delay_alu instid0(VALU_DEP_2) | instskip(NEXT) | instid1(VALU_DEP_2)
	v_lshrrev_b64 v[3:4], 20, v[3:4]
	v_cmp_gt_i32_e32 vcc_lo, 16, v6
	v_cmp_ne_u32_e64 s0, 0, v6
                                        ; implicit-def: $vgpr5
	s_delay_alu instid0(VALU_DEP_3) | instskip(NEXT) | instid1(VALU_DEP_1)
	v_dual_cndmask_b32 v4, 0, v4 :: v_dual_cndmask_b32 v3, 7, v3
	v_cmp_ne_u64_e32 vcc_lo, 0, v[3:4]
	s_delay_alu instid0(VALU_DEP_3) | instskip(NEXT) | instid1(SALU_CYCLE_1)
	s_or_b32 s0, s0, vcc_lo
	s_and_saveexec_b32 s13, s0
	s_delay_alu instid0(SALU_CYCLE_1)
	s_xor_b32 s0, exec_lo, s13
; %bb.53:
	v_min_i32_e32 v4, 15, v6
	s_delay_alu instid0(VALU_DEP_1) | instskip(NEXT) | instid1(VALU_DEP_1)
	v_lshl_or_b32 v4, v4, 3, v10
                                        ; implicit-def: $vgpr10
	v_and_or_b32 v5, v3, 7, v4
; %bb.54:
	s_and_not1_saveexec_b32 s0, s0
; %bb.55:
	v_mov_b32_e32 v5, v10
; %bb.56:
	s_or_b32 exec_lo, exec_lo, s0
.LBB59_57:
	s_delay_alu instid0(SALU_CYCLE_1)
	s_or_b32 exec_lo, exec_lo, s12
.LBB59_58:
	s_and_not1_saveexec_b32 s0, s11
	s_delay_alu instid0(SALU_CYCLE_1)
	s_or_b32 exec_lo, exec_lo, s0
                                        ; implicit-def: $vgpr12
                                        ; implicit-def: $vgpr3_vgpr4
.LBB59_59:
	s_and_not1_saveexec_b32 s0, s10
; %bb.60:
	v_cmp_eq_u64_e32 vcc_lo, 0, v[3:4]
	v_or_b32_e32 v6, 0x7f, v12
	s_delay_alu instid0(VALU_DEP_1)
	v_cndmask_b32_e32 v5, v6, v5, vcc_lo
; %bb.61:
	s_or_b32 exec_lo, exec_lo, s0
	v_div_scale_f32 v3, null, v7, v7, v9
	global_store_b8 v[1:2], v5, off offset:2
	s_mov_b32 s0, exec_lo
	v_rcp_f32_e32 v4, v3
	s_waitcnt_depctr 0xfff
	v_fma_f32 v6, -v3, v4, 1.0
	s_delay_alu instid0(VALU_DEP_1) | instskip(SKIP_1) | instid1(VALU_DEP_1)
	v_fmac_f32_e32 v4, v6, v4
	v_div_scale_f32 v6, vcc_lo, v9, v7, v9
	v_mul_f32_e32 v10, v6, v4
	s_delay_alu instid0(VALU_DEP_1) | instskip(NEXT) | instid1(VALU_DEP_1)
	v_fma_f32 v11, -v3, v10, v6
	v_fmac_f32_e32 v10, v11, v4
	s_delay_alu instid0(VALU_DEP_1) | instskip(NEXT) | instid1(VALU_DEP_1)
	v_fma_f32 v3, -v3, v10, v6
	v_div_fmas_f32 v3, v3, v4, v10
	s_delay_alu instid0(VALU_DEP_1) | instskip(NEXT) | instid1(VALU_DEP_1)
	v_div_fixup_f32 v10, v3, v7, v9
	v_dual_mov_b32 v4, 0 :: v_dual_and_b32 v3, 0x7fffff, v10
	v_lshrrev_b32_e32 v11, 24, v10
	s_delay_alu instid0(VALU_DEP_2) | instskip(NEXT) | instid1(VALU_DEP_2)
	v_dual_mov_b32 v13, v4 :: v_dual_and_b32 v12, 0x7f800000, v10
	v_and_b32_e32 v9, 0x80, v11
	s_delay_alu instid0(VALU_DEP_1) | instskip(NEXT) | instid1(VALU_DEP_3)
	v_or_b32_e32 v6, 0x7e, v9
	v_cmpx_ne_u64_e32 0x7f800000, v[12:13]
	s_xor_b32 s10, exec_lo, s0
	s_cbranch_execz .LBB59_77
; %bb.62:
	v_dual_mov_b32 v12, v4 :: v_dual_and_b32 v11, 0x7fffffff, v10
	s_mov_b32 s0, exec_lo
	s_delay_alu instid0(VALU_DEP_1)
	v_cmpx_gt_u64_e32 0x43e00001, v[11:12]
	s_xor_b32 s11, exec_lo, s0
	s_cbranch_execz .LBB59_76
; %bb.63:
	v_mov_b32_e32 v6, 0
	s_mov_b32 s12, exec_lo
	v_cmpx_ne_u32_e32 0, v10
	s_cbranch_execz .LBB59_75
; %bb.64:
	v_bfe_u32 v10, v10, 23, 8
	v_or_b32_e32 v12, 0x800000, v3
	s_delay_alu instid0(VALU_DEP_2) | instskip(SKIP_1) | instid1(VALU_DEP_2)
	v_sub_nc_u32_e32 v5, 0x79, v10
	v_cmp_gt_u32_e32 vcc_lo, 0x7a, v10
	v_cndmask_b32_e32 v5, 0, v5, vcc_lo
	v_cmp_eq_u32_e32 vcc_lo, 0, v10
	s_delay_alu instid0(VALU_DEP_2) | instskip(SKIP_1) | instid1(VALU_DEP_2)
	v_cndmask_b32_e64 v11, v5, 0x78, vcc_lo
	v_cndmask_b32_e32 v3, v12, v3, vcc_lo
	v_add_nc_u32_e32 v12, 19, v11
	v_add_nc_u32_e32 v5, 20, v11
	s_delay_alu instid0(VALU_DEP_1) | instskip(NEXT) | instid1(VALU_DEP_1)
	v_lshlrev_b64 v[5:6], v5, -1
	v_not_b32_e32 v14, v5
	s_delay_alu instid0(VALU_DEP_2) | instskip(SKIP_1) | instid1(VALU_DEP_3)
	v_not_b32_e32 v13, v6
	v_lshlrev_b64 v[5:6], v12, 1
	v_and_b32_e32 v12, v3, v14
	v_lshrrev_b64 v[3:4], v11, v[3:4]
	s_delay_alu instid0(VALU_DEP_4) | instskip(NEXT) | instid1(VALU_DEP_1)
	v_and_b32_e32 v13, 0, v13
	v_cmp_eq_u64_e64 s0, v[12:13], v[5:6]
	s_delay_alu instid0(VALU_DEP_3) | instskip(NEXT) | instid1(VALU_DEP_2)
	v_dual_mov_b32 v6, v4 :: v_dual_mov_b32 v5, v3
	s_and_saveexec_b32 s13, s0
; %bb.65:
	v_bfe_u32 v5, v3, 20, 1
	s_delay_alu instid0(VALU_DEP_1) | instskip(NEXT) | instid1(VALU_DEP_1)
	v_add_co_u32 v5, s0, v3, v5
	v_add_co_u32 v5, s0, v5, -1
; %bb.66:
	s_or_b32 exec_lo, exec_lo, s13
	v_add_nc_u32_e32 v6, 0xffffff81, v10
	v_lshrrev_b32_e32 v10, 23, v3
	s_delay_alu instid0(VALU_DEP_3) | instskip(SKIP_1) | instid1(VALU_DEP_3)
	v_and_b32_e32 v5, 0xfffff, v5
	s_mov_b32 s0, exec_lo
	v_cndmask_b32_e64 v6, v6, 0xffffff82, vcc_lo
	s_delay_alu instid0(VALU_DEP_2) | instskip(SKIP_1) | instid1(VALU_DEP_3)
	v_add_co_u32 v3, vcc_lo, v5, v3
	v_add_co_ci_u32_e32 v4, vcc_lo, 0, v4, vcc_lo
	v_add3_u32 v6, v11, v6, v10
                                        ; implicit-def: $vgpr5
	s_delay_alu instid0(VALU_DEP_1) | instskip(NEXT) | instid1(VALU_DEP_1)
	v_add_nc_u32_e32 v10, 6, v6
	v_cmpx_ne_u32_e32 0, v10
	s_xor_b32 s0, exec_lo, s0
; %bb.67:
	v_cmp_lt_u64_e32 vcc_lo, 0xffffff, v[3:4]
	v_add_nc_u32_e32 v5, 7, v6
	v_cndmask_b32_e64 v6, 0, 1, vcc_lo
	s_delay_alu instid0(VALU_DEP_2) | instskip(NEXT) | instid1(VALU_DEP_2)
	v_cndmask_b32_e32 v5, v10, v5, vcc_lo
	v_lshrrev_b64 v[3:4], v6, v[3:4]
; %bb.68:
	s_and_not1_saveexec_b32 s0, s0
; %bb.69:
	s_delay_alu instid0(VALU_DEP_1)
	v_bfe_u32 v5, v3, 23, 1
; %bb.70:
	s_or_b32 exec_lo, exec_lo, s0
	s_delay_alu instid0(VALU_DEP_2) | instskip(NEXT) | instid1(VALU_DEP_2)
	v_lshrrev_b64 v[3:4], 20, v[3:4]
	v_cmp_gt_i32_e32 vcc_lo, 16, v5
	v_cmp_ne_u32_e64 s0, 0, v5
                                        ; implicit-def: $vgpr6
	s_delay_alu instid0(VALU_DEP_3) | instskip(NEXT) | instid1(VALU_DEP_1)
	v_dual_cndmask_b32 v4, 0, v4 :: v_dual_cndmask_b32 v3, 7, v3
	v_cmp_ne_u64_e32 vcc_lo, 0, v[3:4]
	s_delay_alu instid0(VALU_DEP_3) | instskip(NEXT) | instid1(SALU_CYCLE_1)
	s_or_b32 s0, s0, vcc_lo
	s_and_saveexec_b32 s13, s0
	s_delay_alu instid0(SALU_CYCLE_1)
	s_xor_b32 s0, exec_lo, s13
; %bb.71:
	v_min_i32_e32 v4, 15, v5
	s_delay_alu instid0(VALU_DEP_1) | instskip(NEXT) | instid1(VALU_DEP_1)
	v_lshl_or_b32 v4, v4, 3, v9
                                        ; implicit-def: $vgpr9
	v_and_or_b32 v6, v3, 7, v4
; %bb.72:
	s_and_not1_saveexec_b32 s0, s0
; %bb.73:
	v_mov_b32_e32 v6, v9
; %bb.74:
	s_or_b32 exec_lo, exec_lo, s0
.LBB59_75:
	s_delay_alu instid0(SALU_CYCLE_1)
	s_or_b32 exec_lo, exec_lo, s12
.LBB59_76:
	s_and_not1_saveexec_b32 s0, s11
	s_delay_alu instid0(SALU_CYCLE_1)
	s_or_b32 exec_lo, exec_lo, s0
                                        ; implicit-def: $vgpr11
                                        ; implicit-def: $vgpr3_vgpr4
.LBB59_77:
	s_and_not1_saveexec_b32 s0, s10
; %bb.78:
	v_cmp_eq_u64_e32 vcc_lo, 0, v[3:4]
	v_or_b32_e32 v5, 0x7f, v11
	s_delay_alu instid0(VALU_DEP_1)
	v_cndmask_b32_e32 v6, v5, v6, vcc_lo
; %bb.79:
	s_or_b32 exec_lo, exec_lo, s0
	v_cmp_eq_u32_e32 vcc_lo, 0, v8
	global_store_b8 v[1:2], v6, off offset:3
	s_and_b32 exec_lo, exec_lo, vcc_lo
	s_cbranch_execz .LBB59_85
; %bb.80:
	v_add_co_u32 v0, s0, s6, v0
	s_delay_alu instid0(VALU_DEP_1) | instskip(SKIP_2) | instid1(VALU_DEP_2)
	v_add_co_ci_u32_e64 v1, null, s7, 0, s0
	s_ashr_i32 s0, s5, 31
	v_mov_b32_e32 v2, 0
	v_lshlrev_b64 v[0:1], 2, v[0:1]
	s_delay_alu instid0(VALU_DEP_1) | instskip(NEXT) | instid1(VALU_DEP_1)
	v_or_b32_e32 v3, s0, v1
	v_cmp_ne_u64_e32 vcc_lo, 0, v[2:3]
                                        ; implicit-def: $vgpr2_vgpr3
	s_and_saveexec_b32 s6, vcc_lo
	s_delay_alu instid0(SALU_CYCLE_1)
	s_xor_b32 s12, exec_lo, s6
	s_cbranch_execz .LBB59_82
; %bb.81:
	s_add_u32 s10, s5, s0
	s_mov_b32 s6, s0
	s_mov_b32 s7, s0
	s_addc_u32 s11, s0, s0
	s_delay_alu instid0(SALU_CYCLE_1) | instskip(NEXT) | instid1(SALU_CYCLE_1)
	s_xor_b64 s[10:11], s[10:11], s[6:7]
	v_cvt_f32_u32_e32 v2, s10
	v_cvt_f32_u32_e32 v3, s11
	s_sub_u32 s0, 0, s10
	s_subb_u32 s13, 0, s11
	s_delay_alu instid0(VALU_DEP_1) | instskip(NEXT) | instid1(VALU_DEP_1)
	v_fmamk_f32 v2, v3, 0x4f800000, v2
	v_rcp_f32_e32 v2, v2
	s_waitcnt_depctr 0xfff
	v_mul_f32_e32 v2, 0x5f7ffffc, v2
	s_delay_alu instid0(VALU_DEP_1) | instskip(NEXT) | instid1(VALU_DEP_1)
	v_mul_f32_e32 v3, 0x2f800000, v2
	v_trunc_f32_e32 v3, v3
	s_delay_alu instid0(VALU_DEP_1) | instskip(SKIP_1) | instid1(VALU_DEP_2)
	v_fmamk_f32 v2, v3, 0xcf800000, v2
	v_cvt_u32_f32_e32 v3, v3
	v_cvt_u32_f32_e32 v2, v2
	s_delay_alu instid0(VALU_DEP_2) | instskip(NEXT) | instid1(VALU_DEP_2)
	v_mul_lo_u32 v4, s0, v3
	v_mul_hi_u32 v5, s0, v2
	v_mul_lo_u32 v6, s13, v2
	s_delay_alu instid0(VALU_DEP_2) | instskip(SKIP_1) | instid1(VALU_DEP_2)
	v_add_nc_u32_e32 v4, v5, v4
	v_mul_lo_u32 v5, s0, v2
	v_add_nc_u32_e32 v4, v4, v6
	s_delay_alu instid0(VALU_DEP_2) | instskip(NEXT) | instid1(VALU_DEP_2)
	v_mul_hi_u32 v6, v2, v5
	v_mul_lo_u32 v8, v2, v4
	v_mul_hi_u32 v9, v2, v4
	v_mul_hi_u32 v10, v3, v5
	v_mul_lo_u32 v5, v3, v5
	v_mul_hi_u32 v11, v3, v4
	v_mul_lo_u32 v4, v3, v4
	v_add_co_u32 v6, vcc_lo, v6, v8
	v_add_co_ci_u32_e32 v8, vcc_lo, 0, v9, vcc_lo
	s_delay_alu instid0(VALU_DEP_2) | instskip(NEXT) | instid1(VALU_DEP_2)
	v_add_co_u32 v5, vcc_lo, v6, v5
	v_add_co_ci_u32_e32 v5, vcc_lo, v8, v10, vcc_lo
	v_add_co_ci_u32_e32 v6, vcc_lo, 0, v11, vcc_lo
	v_ashrrev_i32_e32 v10, 31, v1
	s_delay_alu instid0(VALU_DEP_3) | instskip(NEXT) | instid1(VALU_DEP_3)
	v_add_co_u32 v4, vcc_lo, v5, v4
	v_add_co_ci_u32_e32 v5, vcc_lo, 0, v6, vcc_lo
	s_delay_alu instid0(VALU_DEP_2) | instskip(NEXT) | instid1(VALU_DEP_2)
	v_add_co_u32 v2, vcc_lo, v2, v4
	v_add_co_ci_u32_e32 v3, vcc_lo, v3, v5, vcc_lo
	s_delay_alu instid0(VALU_DEP_2) | instskip(SKIP_1) | instid1(VALU_DEP_3)
	v_mul_hi_u32 v4, s0, v2
	v_mul_lo_u32 v6, s13, v2
	v_mul_lo_u32 v5, s0, v3
	s_delay_alu instid0(VALU_DEP_1) | instskip(SKIP_1) | instid1(VALU_DEP_2)
	v_add_nc_u32_e32 v4, v4, v5
	v_mul_lo_u32 v5, s0, v2
	v_add_nc_u32_e32 v4, v4, v6
	s_delay_alu instid0(VALU_DEP_2) | instskip(NEXT) | instid1(VALU_DEP_2)
	v_mul_hi_u32 v6, v2, v5
	v_mul_lo_u32 v8, v2, v4
	v_mul_hi_u32 v9, v2, v4
	v_mul_hi_u32 v11, v3, v5
	v_mul_lo_u32 v5, v3, v5
	v_mul_hi_u32 v12, v3, v4
	v_mul_lo_u32 v4, v3, v4
	v_add_co_u32 v6, vcc_lo, v6, v8
	v_add_co_ci_u32_e32 v8, vcc_lo, 0, v9, vcc_lo
	s_delay_alu instid0(VALU_DEP_2) | instskip(NEXT) | instid1(VALU_DEP_2)
	v_add_co_u32 v5, vcc_lo, v6, v5
	v_add_co_ci_u32_e32 v5, vcc_lo, v8, v11, vcc_lo
	v_add_co_ci_u32_e32 v6, vcc_lo, 0, v12, vcc_lo
	v_add_co_u32 v0, vcc_lo, v0, v10
	v_add_co_ci_u32_e32 v1, vcc_lo, v1, v10, vcc_lo
	s_delay_alu instid0(VALU_DEP_4) | instskip(NEXT) | instid1(VALU_DEP_4)
	v_add_co_u32 v4, vcc_lo, v5, v4
	v_add_co_ci_u32_e32 v5, vcc_lo, 0, v6, vcc_lo
	s_delay_alu instid0(VALU_DEP_4) | instskip(NEXT) | instid1(VALU_DEP_3)
	v_xor_b32_e32 v6, v0, v10
	v_add_co_u32 v4, vcc_lo, v2, v4
	s_delay_alu instid0(VALU_DEP_3) | instskip(SKIP_1) | instid1(VALU_DEP_3)
	v_add_co_ci_u32_e32 v8, vcc_lo, v3, v5, vcc_lo
	v_xor_b32_e32 v9, v1, v10
	v_mul_hi_u32 v11, v6, v4
	s_delay_alu instid0(VALU_DEP_3) | instskip(NEXT) | instid1(VALU_DEP_3)
	v_mad_u64_u32 v[0:1], null, v6, v8, 0
	v_mad_u64_u32 v[2:3], null, v9, v4, 0
	;; [unrolled: 1-line block ×3, first 2 shown]
	s_delay_alu instid0(VALU_DEP_3) | instskip(NEXT) | instid1(VALU_DEP_4)
	v_add_co_u32 v0, vcc_lo, v11, v0
	v_add_co_ci_u32_e32 v1, vcc_lo, 0, v1, vcc_lo
	s_delay_alu instid0(VALU_DEP_2) | instskip(NEXT) | instid1(VALU_DEP_2)
	v_add_co_u32 v0, vcc_lo, v0, v2
	v_add_co_ci_u32_e32 v0, vcc_lo, v1, v3, vcc_lo
	v_add_co_ci_u32_e32 v1, vcc_lo, 0, v5, vcc_lo
	s_delay_alu instid0(VALU_DEP_2) | instskip(NEXT) | instid1(VALU_DEP_2)
	v_add_co_u32 v2, vcc_lo, v0, v4
	v_add_co_ci_u32_e32 v3, vcc_lo, 0, v1, vcc_lo
	s_delay_alu instid0(VALU_DEP_2) | instskip(SKIP_1) | instid1(VALU_DEP_3)
	v_mul_lo_u32 v4, s11, v2
	v_mad_u64_u32 v[0:1], null, s10, v2, 0
	v_mul_lo_u32 v5, s10, v3
	s_delay_alu instid0(VALU_DEP_2) | instskip(NEXT) | instid1(VALU_DEP_2)
	v_sub_co_u32 v0, vcc_lo, v6, v0
	v_add3_u32 v1, v1, v5, v4
	s_delay_alu instid0(VALU_DEP_1) | instskip(NEXT) | instid1(VALU_DEP_1)
	v_sub_nc_u32_e32 v4, v9, v1
	v_subrev_co_ci_u32_e64 v4, s0, s11, v4, vcc_lo
	v_add_co_u32 v5, s0, v2, 2
	s_delay_alu instid0(VALU_DEP_1) | instskip(SKIP_3) | instid1(VALU_DEP_3)
	v_add_co_ci_u32_e64 v6, s0, 0, v3, s0
	v_sub_co_u32 v8, s0, v0, s10
	v_sub_co_ci_u32_e32 v1, vcc_lo, v9, v1, vcc_lo
	v_subrev_co_ci_u32_e64 v4, s0, 0, v4, s0
	v_cmp_le_u32_e32 vcc_lo, s10, v8
	s_delay_alu instid0(VALU_DEP_3) | instskip(SKIP_1) | instid1(VALU_DEP_4)
	v_cmp_eq_u32_e64 s0, s11, v1
	v_cndmask_b32_e64 v8, 0, -1, vcc_lo
	v_cmp_le_u32_e32 vcc_lo, s11, v4
	v_cndmask_b32_e64 v9, 0, -1, vcc_lo
	v_cmp_le_u32_e32 vcc_lo, s10, v0
	;; [unrolled: 2-line block ×3, first 2 shown]
	v_cndmask_b32_e64 v11, 0, -1, vcc_lo
	v_cmp_eq_u32_e32 vcc_lo, s11, v4
	s_delay_alu instid0(VALU_DEP_2) | instskip(SKIP_3) | instid1(VALU_DEP_3)
	v_cndmask_b32_e64 v0, v11, v0, s0
	v_cndmask_b32_e32 v4, v9, v8, vcc_lo
	v_add_co_u32 v8, vcc_lo, v2, 1
	v_add_co_ci_u32_e32 v9, vcc_lo, 0, v3, vcc_lo
	v_cmp_ne_u32_e32 vcc_lo, 0, v4
	s_delay_alu instid0(VALU_DEP_2) | instskip(SKIP_2) | instid1(VALU_DEP_3)
	v_dual_cndmask_b32 v1, v9, v6 :: v_dual_cndmask_b32 v4, v8, v5
	v_cmp_ne_u32_e32 vcc_lo, 0, v0
	v_xor_b32_e32 v0, s6, v10
	v_dual_cndmask_b32 v2, v2, v4 :: v_dual_cndmask_b32 v1, v3, v1
	v_xor_b32_e32 v3, s7, v10
	s_delay_alu instid0(VALU_DEP_2) | instskip(NEXT) | instid1(VALU_DEP_2)
	v_xor_b32_e32 v2, v2, v0
	v_xor_b32_e32 v1, v1, v3
	s_delay_alu instid0(VALU_DEP_2) | instskip(NEXT) | instid1(VALU_DEP_2)
	v_sub_co_u32 v2, vcc_lo, v2, v0
	v_sub_co_ci_u32_e32 v3, vcc_lo, v1, v3, vcc_lo
                                        ; implicit-def: $vgpr0_vgpr1
.LBB59_82:
	s_and_not1_saveexec_b32 s0, s12
	s_cbranch_execz .LBB59_84
; %bb.83:
	v_cvt_f32_u32_e32 v1, s5
	s_sub_i32 s6, 0, s5
	s_delay_alu instid0(VALU_DEP_1) | instskip(SKIP_2) | instid1(VALU_DEP_1)
	v_rcp_iflag_f32_e32 v1, v1
	s_waitcnt_depctr 0xfff
	v_mul_f32_e32 v1, 0x4f7ffffe, v1
	v_cvt_u32_f32_e32 v1, v1
	s_delay_alu instid0(VALU_DEP_1) | instskip(NEXT) | instid1(VALU_DEP_1)
	v_mul_lo_u32 v2, s6, v1
	v_mul_hi_u32 v2, v1, v2
	s_delay_alu instid0(VALU_DEP_1) | instskip(NEXT) | instid1(VALU_DEP_1)
	v_add_nc_u32_e32 v1, v1, v2
	v_mul_hi_u32 v1, v0, v1
	s_delay_alu instid0(VALU_DEP_1) | instskip(NEXT) | instid1(VALU_DEP_1)
	v_mul_lo_u32 v2, v1, s5
	v_sub_nc_u32_e32 v0, v0, v2
	v_add_nc_u32_e32 v2, 1, v1
	s_delay_alu instid0(VALU_DEP_2) | instskip(SKIP_1) | instid1(VALU_DEP_2)
	v_subrev_nc_u32_e32 v3, s5, v0
	v_cmp_le_u32_e32 vcc_lo, s5, v0
	v_dual_cndmask_b32 v0, v0, v3 :: v_dual_mov_b32 v3, 0
	s_delay_alu instid0(VALU_DEP_4) | instskip(NEXT) | instid1(VALU_DEP_2)
	v_cndmask_b32_e32 v1, v1, v2, vcc_lo
	v_cmp_le_u32_e32 vcc_lo, s5, v0
	s_delay_alu instid0(VALU_DEP_2) | instskip(NEXT) | instid1(VALU_DEP_1)
	v_add_nc_u32_e32 v2, 1, v1
	v_cndmask_b32_e32 v2, v1, v2, vcc_lo
.LBB59_84:
	s_or_b32 exec_lo, exec_lo, s0
	s_mul_i32 s0, s8, s4
	s_delay_alu instid0(SALU_CYCLE_1) | instskip(SKIP_4) | instid1(VALU_DEP_1)
	s_ashr_i32 s4, s0, 31
	s_add_u32 s0, s1, s0
	s_addc_u32 s1, s9, s4
	v_add_co_u32 v0, vcc_lo, s0, v2
	v_add_co_ci_u32_e32 v1, vcc_lo, s1, v3, vcc_lo
	v_ashrrev_i32_e32 v2, 31, v1
	s_delay_alu instid0(VALU_DEP_1) | instskip(NEXT) | instid1(VALU_DEP_1)
	v_lshrrev_b32_e32 v2, 30, v2
	v_add_co_u32 v0, vcc_lo, v0, v2
	v_add_co_ci_u32_e32 v1, vcc_lo, 0, v1, vcc_lo
	s_delay_alu instid0(VALU_DEP_2) | instskip(NEXT) | instid1(VALU_DEP_1)
	v_and_b32_e32 v0, -4, v0
	v_add_co_u32 v0, vcc_lo, s2, v0
	s_delay_alu instid0(VALU_DEP_3)
	v_add_co_ci_u32_e32 v1, vcc_lo, s3, v1, vcc_lo
	global_store_b32 v[0:1], v7, off
.LBB59_85:
	s_nop 0
	s_sendmsg sendmsg(MSG_DEALLOC_VGPRS)
	s_endpgm
.LBB59_86:
                                        ; implicit-def: $sgpr12_sgpr13
	s_branch .LBB59_2
	.section	.rodata,"a",@progbits
	.p2align	6, 0x0
	.amdhsa_kernel _ZN4vllm32indexer_k_quant_and_cache_kernelI14__hip_bfloat16hLNS_18Fp8KVCacheDataTypeE1EEEvPKT_PT0_PKliiiib
		.amdhsa_group_segment_fixed_size 0
		.amdhsa_private_segment_fixed_size 0
		.amdhsa_kernarg_size 304
		.amdhsa_user_sgpr_count 14
		.amdhsa_user_sgpr_dispatch_ptr 0
		.amdhsa_user_sgpr_queue_ptr 0
		.amdhsa_user_sgpr_kernarg_segment_ptr 1
		.amdhsa_user_sgpr_dispatch_id 0
		.amdhsa_user_sgpr_private_segment_size 0
		.amdhsa_wavefront_size32 1
		.amdhsa_uses_dynamic_stack 0
		.amdhsa_enable_private_segment 0
		.amdhsa_system_sgpr_workgroup_id_x 1
		.amdhsa_system_sgpr_workgroup_id_y 1
		.amdhsa_system_sgpr_workgroup_id_z 0
		.amdhsa_system_sgpr_workgroup_info 0
		.amdhsa_system_vgpr_workitem_id 1
		.amdhsa_next_free_vgpr 18
		.amdhsa_next_free_sgpr 25
		.amdhsa_reserve_vcc 1
		.amdhsa_float_round_mode_32 0
		.amdhsa_float_round_mode_16_64 0
		.amdhsa_float_denorm_mode_32 3
		.amdhsa_float_denorm_mode_16_64 3
		.amdhsa_dx10_clamp 1
		.amdhsa_ieee_mode 1
		.amdhsa_fp16_overflow 0
		.amdhsa_workgroup_processor_mode 1
		.amdhsa_memory_ordered 1
		.amdhsa_forward_progress 0
		.amdhsa_shared_vgpr_count 0
		.amdhsa_exception_fp_ieee_invalid_op 0
		.amdhsa_exception_fp_denorm_src 0
		.amdhsa_exception_fp_ieee_div_zero 0
		.amdhsa_exception_fp_ieee_overflow 0
		.amdhsa_exception_fp_ieee_underflow 0
		.amdhsa_exception_fp_ieee_inexact 0
		.amdhsa_exception_int_div_zero 0
	.end_amdhsa_kernel
	.section	.text._ZN4vllm32indexer_k_quant_and_cache_kernelI14__hip_bfloat16hLNS_18Fp8KVCacheDataTypeE1EEEvPKT_PT0_PKliiiib,"axG",@progbits,_ZN4vllm32indexer_k_quant_and_cache_kernelI14__hip_bfloat16hLNS_18Fp8KVCacheDataTypeE1EEEvPKT_PT0_PKliiiib,comdat
.Lfunc_end59:
	.size	_ZN4vllm32indexer_k_quant_and_cache_kernelI14__hip_bfloat16hLNS_18Fp8KVCacheDataTypeE1EEEvPKT_PT0_PKliiiib, .Lfunc_end59-_ZN4vllm32indexer_k_quant_and_cache_kernelI14__hip_bfloat16hLNS_18Fp8KVCacheDataTypeE1EEEvPKT_PT0_PKliiiib
                                        ; -- End function
	.section	.AMDGPU.csdata,"",@progbits
; Kernel info:
; codeLenInByte = 5528
; NumSgprs: 27
; NumVgprs: 18
; ScratchSize: 0
; MemoryBound: 0
; FloatMode: 240
; IeeeMode: 1
; LDSByteSize: 0 bytes/workgroup (compile time only)
; SGPRBlocks: 3
; VGPRBlocks: 2
; NumSGPRsForWavesPerEU: 27
; NumVGPRsForWavesPerEU: 18
; Occupancy: 16
; WaveLimiterHint : 0
; COMPUTE_PGM_RSRC2:SCRATCH_EN: 0
; COMPUTE_PGM_RSRC2:USER_SGPR: 14
; COMPUTE_PGM_RSRC2:TRAP_HANDLER: 0
; COMPUTE_PGM_RSRC2:TGID_X_EN: 1
; COMPUTE_PGM_RSRC2:TGID_Y_EN: 1
; COMPUTE_PGM_RSRC2:TGID_Z_EN: 0
; COMPUTE_PGM_RSRC2:TIDIG_COMP_CNT: 1
	.section	.text._ZN4vllm38cp_gather_indexer_k_quant_cache_kernelILi1EEEvPKcPcS3_PKiS5_illllliii,"axG",@progbits,_ZN4vllm38cp_gather_indexer_k_quant_cache_kernelILi1EEEvPKcPcS3_PKiS5_illllliii,comdat
	.protected	_ZN4vllm38cp_gather_indexer_k_quant_cache_kernelILi1EEEvPKcPcS3_PKiS5_illllliii ; -- Begin function _ZN4vllm38cp_gather_indexer_k_quant_cache_kernelILi1EEEvPKcPcS3_PKiS5_illllliii
	.globl	_ZN4vllm38cp_gather_indexer_k_quant_cache_kernelILi1EEEvPKcPcS3_PKiS5_illllliii
	.p2align	8
	.type	_ZN4vllm38cp_gather_indexer_k_quant_cache_kernelILi1EEEvPKcPcS3_PKiS5_illllliii,@function
_ZN4vllm38cp_gather_indexer_k_quant_cache_kernelILi1EEEvPKcPcS3_PKiS5_illllliii: ; @_ZN4vllm38cp_gather_indexer_k_quant_cache_kernelILi1EEEvPKcPcS3_PKiS5_illllliii
; %bb.0:
	s_clause 0x1
	s_load_b64 s[12:13], s[0:1], 0x20
	s_load_b32 s5, s[0:1], 0x74
	v_and_b32_e32 v4, 0x3ff, v0
	v_bfe_u32 v2, v0, 10, 10
	s_delay_alu instid0(VALU_DEP_2) | instskip(NEXT) | instid1(VALU_DEP_2)
	v_cmp_eq_u32_e64 s2, 0, v4
	v_lshlrev_b32_e32 v5, 2, v2
	s_delay_alu instid0(VALU_DEP_2)
	s_and_saveexec_b32 s3, s2
	s_cbranch_execz .LBB60_2
; %bb.1:
	v_mov_b32_e32 v0, -1
	ds_store_b32 v5, v0
.LBB60_2:
	s_or_b32 exec_lo, exec_lo, s3
	s_waitcnt lgkmcnt(0)
	s_and_b32 s3, s5, 0xffff
	s_load_b32 s4, s[0:1], 0x28
	v_cvt_f32_u32_e32 v0, s3
	s_sub_i32 s7, 0, s3
	s_lshr_b32 s5, s5, 16
	s_waitcnt lgkmcnt(0)
	s_barrier
	v_rcp_iflag_f32_e32 v0, v0
	buffer_gl0_inv
	v_mul_f32_e32 v0, 0x4f7ffffe, v0
	s_add_i32 s8, s4, s3
	s_delay_alu instid0(VALU_DEP_1) | instskip(SKIP_1) | instid1(SALU_CYCLE_1)
	v_cvt_u32_f32_e32 v0, v0
	s_add_i32 s8, s8, -1
	s_abs_i32 s9, s8
	s_ashr_i32 s8, s8, 31
	s_delay_alu instid0(VALU_DEP_1) | instskip(SKIP_1) | instid1(VALU_DEP_2)
	v_readfirstlane_b32 s6, v0
	v_mad_u64_u32 v[0:1], null, s14, s5, v[2:3]
	s_mul_i32 s7, s7, s6
	s_delay_alu instid0(SALU_CYCLE_1) | instskip(NEXT) | instid1(SALU_CYCLE_1)
	s_mul_hi_u32 s7, s6, s7
	s_add_i32 s6, s6, s7
	s_delay_alu instid0(SALU_CYCLE_1) | instskip(NEXT) | instid1(SALU_CYCLE_1)
	s_mul_hi_u32 s6, s9, s6
	s_mul_i32 s7, s6, s3
	s_delay_alu instid0(SALU_CYCLE_1)
	s_sub_i32 s7, s9, s7
	s_add_i32 s9, s6, 1
	s_sub_i32 s10, s7, s3
	s_cmp_ge_u32 s7, s3
	s_cselect_b32 s6, s9, s6
	s_cselect_b32 s7, s10, s7
	s_add_i32 s9, s6, 1
	s_cmp_ge_u32 s7, s3
	s_cselect_b32 s6, s9, s6
	s_delay_alu instid0(SALU_CYCLE_1) | instskip(NEXT) | instid1(SALU_CYCLE_1)
	s_xor_b32 s5, s6, s8
	s_sub_i32 s5, s5, s8
	s_delay_alu instid0(SALU_CYCLE_1)
	s_cmp_lt_i32 s5, 1
	s_cbranch_scc1 .LBB60_9
; %bb.3:
	v_mov_b32_e32 v1, v4
	s_set_inst_prefetch_distance 0x1
	s_branch .LBB60_5
	.p2align	6
.LBB60_4:                               ;   in Loop: Header=BB60_5 Depth=1
	s_or_b32 exec_lo, exec_lo, s6
	v_add_nc_u32_e32 v1, s3, v1
	s_add_i32 s5, s5, -1
	s_delay_alu instid0(SALU_CYCLE_1)
	s_cmp_eq_u32 s5, 0
	s_cbranch_scc1 .LBB60_9
.LBB60_5:                               ; =>This Inner Loop Header: Depth=1
	s_mov_b32 s6, exec_lo
	s_delay_alu instid0(VALU_DEP_1)
	v_cmpx_gt_i32_e64 s4, v1
	s_cbranch_execz .LBB60_4
; %bb.6:                                ;   in Loop: Header=BB60_5 Depth=1
	v_ashrrev_i32_e32 v2, 31, v1
	s_delay_alu instid0(VALU_DEP_1) | instskip(NEXT) | instid1(VALU_DEP_1)
	v_lshlrev_b64 v[2:3], 2, v[1:2]
	v_add_co_u32 v2, vcc_lo, s12, v2
	s_delay_alu instid0(VALU_DEP_2)
	v_add_co_ci_u32_e32 v3, vcc_lo, s13, v3, vcc_lo
	global_load_b32 v6, v[2:3], off
	s_waitcnt vmcnt(0)
	v_cmp_ge_i32_e32 vcc_lo, v0, v6
	s_and_b32 exec_lo, exec_lo, vcc_lo
	s_cbranch_execz .LBB60_4
; %bb.7:                                ;   in Loop: Header=BB60_5 Depth=1
	global_load_b32 v2, v[2:3], off offset:4
	s_waitcnt vmcnt(0)
	v_cmp_lt_i32_e32 vcc_lo, v0, v2
	s_and_b32 exec_lo, exec_lo, vcc_lo
	s_cbranch_execz .LBB60_4
; %bb.8:                                ;   in Loop: Header=BB60_5 Depth=1
	ds_store_b32 v5, v1
	s_branch .LBB60_4
.LBB60_9:
	s_set_inst_prefetch_distance 0x2
	s_load_b128 s[8:11], s[0:1], 0x30
	s_mul_i32 s15, s15, s3
	s_waitcnt lgkmcnt(0)
	v_add_lshl_u32 v3, s15, v4, 4
	s_barrier
	buffer_gl0_inv
	s_mov_b32 s3, exec_lo
	v_ashrrev_i32_e32 v4, 31, v3
	s_delay_alu instid0(VALU_DEP_1)
	v_cmpx_gt_i64_e64 s[10:11], v[3:4]
	s_cbranch_execz .LBB60_25
; %bb.10:
	s_load_b128 s[4:7], s[0:1], 0x58
	ds_load_b32 v1, v5
	s_waitcnt lgkmcnt(0)
	v_cmp_gt_i32_e32 vcc_lo, s5, v0
	v_cmp_lt_i32_e64 s3, -1, v1
	s_delay_alu instid0(VALU_DEP_1) | instskip(NEXT) | instid1(SALU_CYCLE_1)
	s_and_b32 s3, vcc_lo, s3
	s_and_b32 exec_lo, exec_lo, s3
	s_cbranch_execz .LBB60_25
; %bb.11:
	v_mov_b32_e32 v2, 0
	s_delay_alu instid0(VALU_DEP_1) | instskip(NEXT) | instid1(VALU_DEP_1)
	v_lshlrev_b64 v[5:6], 2, v[1:2]
	v_add_co_u32 v5, vcc_lo, s12, v5
	s_delay_alu instid0(VALU_DEP_2)
	v_add_co_ci_u32_e32 v6, vcc_lo, s13, v6, vcc_lo
	global_load_b32 v5, v[5:6], off
	s_clause 0x3
	s_load_b64 s[16:17], s[0:1], 0x50
	s_load_b64 s[18:19], s[0:1], 0x40
	s_load_b128 s[12:15], s[0:1], 0x0
	s_load_b64 s[20:21], s[0:1], 0x18
	s_waitcnt vmcnt(0)
	v_sub_nc_u32_e32 v7, v0, v5
	v_mov_b32_e32 v5, v2
	s_delay_alu instid0(VALU_DEP_2) | instskip(SKIP_1) | instid1(VALU_DEP_1)
	v_ashrrev_i32_e32 v8, 31, v7
	s_waitcnt lgkmcnt(0)
	v_or_b32_e32 v6, s17, v8
	s_delay_alu instid0(VALU_DEP_1) | instskip(SKIP_1) | instid1(SALU_CYCLE_1)
	v_cmp_ne_u64_e32 vcc_lo, 0, v[5:6]
                                        ; implicit-def: $vgpr5_vgpr6
	s_and_saveexec_b32 s3, vcc_lo
	s_xor_b32 s5, exec_lo, s3
	s_cbranch_execz .LBB60_13
; %bb.12:
	s_ashr_i32 s22, s17, 31
	s_delay_alu instid0(SALU_CYCLE_1) | instskip(SKIP_2) | instid1(SALU_CYCLE_1)
	s_add_u32 s24, s16, s22
	s_mov_b32 s23, s22
	s_addc_u32 s25, s17, s22
	s_xor_b64 s[24:25], s[24:25], s[22:23]
	s_delay_alu instid0(SALU_CYCLE_1) | instskip(SKIP_3) | instid1(VALU_DEP_1)
	v_cvt_f32_u32_e32 v2, s24
	v_cvt_f32_u32_e32 v5, s25
	s_sub_u32 s3, 0, s24
	s_subb_u32 s7, 0, s25
	v_fmamk_f32 v2, v5, 0x4f800000, v2
	s_delay_alu instid0(VALU_DEP_1) | instskip(SKIP_2) | instid1(VALU_DEP_1)
	v_rcp_f32_e32 v2, v2
	s_waitcnt_depctr 0xfff
	v_mul_f32_e32 v2, 0x5f7ffffc, v2
	v_mul_f32_e32 v5, 0x2f800000, v2
	s_delay_alu instid0(VALU_DEP_1) | instskip(NEXT) | instid1(VALU_DEP_1)
	v_trunc_f32_e32 v5, v5
	v_fmamk_f32 v2, v5, 0xcf800000, v2
	v_cvt_u32_f32_e32 v5, v5
	s_delay_alu instid0(VALU_DEP_2) | instskip(NEXT) | instid1(VALU_DEP_2)
	v_cvt_u32_f32_e32 v2, v2
	v_mul_lo_u32 v6, s3, v5
	s_delay_alu instid0(VALU_DEP_2) | instskip(SKIP_1) | instid1(VALU_DEP_2)
	v_mul_hi_u32 v9, s3, v2
	v_mul_lo_u32 v10, s7, v2
	v_add_nc_u32_e32 v6, v9, v6
	v_mul_lo_u32 v9, s3, v2
	s_delay_alu instid0(VALU_DEP_2) | instskip(NEXT) | instid1(VALU_DEP_2)
	v_add_nc_u32_e32 v6, v6, v10
	v_mul_hi_u32 v10, v2, v9
	s_delay_alu instid0(VALU_DEP_2)
	v_mul_lo_u32 v11, v2, v6
	v_mul_hi_u32 v12, v2, v6
	v_mul_hi_u32 v13, v5, v9
	v_mul_lo_u32 v9, v5, v9
	v_mul_hi_u32 v14, v5, v6
	v_mul_lo_u32 v6, v5, v6
	v_add_co_u32 v10, vcc_lo, v10, v11
	v_add_co_ci_u32_e32 v11, vcc_lo, 0, v12, vcc_lo
	s_delay_alu instid0(VALU_DEP_2) | instskip(NEXT) | instid1(VALU_DEP_2)
	v_add_co_u32 v9, vcc_lo, v10, v9
	v_add_co_ci_u32_e32 v9, vcc_lo, v11, v13, vcc_lo
	v_add_co_ci_u32_e32 v10, vcc_lo, 0, v14, vcc_lo
	v_mov_b32_e32 v13, v8
	s_delay_alu instid0(VALU_DEP_3) | instskip(NEXT) | instid1(VALU_DEP_3)
	v_add_co_u32 v6, vcc_lo, v9, v6
	v_add_co_ci_u32_e32 v9, vcc_lo, 0, v10, vcc_lo
	v_mov_b32_e32 v14, v8
	s_delay_alu instid0(VALU_DEP_3) | instskip(NEXT) | instid1(VALU_DEP_3)
	v_add_co_u32 v2, vcc_lo, v2, v6
	v_add_co_ci_u32_e32 v5, vcc_lo, v5, v9, vcc_lo
	s_delay_alu instid0(VALU_DEP_2) | instskip(SKIP_1) | instid1(VALU_DEP_3)
	v_mul_hi_u32 v6, s3, v2
	v_mul_lo_u32 v10, s7, v2
	v_mul_lo_u32 v9, s3, v5
	s_delay_alu instid0(VALU_DEP_1) | instskip(SKIP_1) | instid1(VALU_DEP_2)
	v_add_nc_u32_e32 v6, v6, v9
	v_mul_lo_u32 v9, s3, v2
	v_add_nc_u32_e32 v6, v6, v10
	s_delay_alu instid0(VALU_DEP_2) | instskip(NEXT) | instid1(VALU_DEP_2)
	v_mul_hi_u32 v10, v2, v9
	v_mul_lo_u32 v11, v2, v6
	v_mul_hi_u32 v12, v2, v6
	v_mul_hi_u32 v15, v5, v9
	v_mul_lo_u32 v9, v5, v9
	v_mul_hi_u32 v16, v5, v6
	v_mul_lo_u32 v6, v5, v6
	v_add_co_u32 v10, vcc_lo, v10, v11
	v_add_co_ci_u32_e32 v11, vcc_lo, 0, v12, vcc_lo
	s_delay_alu instid0(VALU_DEP_2) | instskip(NEXT) | instid1(VALU_DEP_2)
	v_add_co_u32 v9, vcc_lo, v10, v9
	v_add_co_ci_u32_e32 v9, vcc_lo, v11, v15, vcc_lo
	v_add_co_ci_u32_e32 v10, vcc_lo, 0, v16, vcc_lo
	v_add_co_u32 v11, vcc_lo, v7, v13
	v_add_co_ci_u32_e32 v12, vcc_lo, v8, v14, vcc_lo
	s_delay_alu instid0(VALU_DEP_4) | instskip(NEXT) | instid1(VALU_DEP_4)
	v_add_co_u32 v6, vcc_lo, v9, v6
	v_add_co_ci_u32_e32 v9, vcc_lo, 0, v10, vcc_lo
	s_delay_alu instid0(VALU_DEP_4) | instskip(NEXT) | instid1(VALU_DEP_3)
	v_xor_b32_e32 v15, v11, v13
	v_add_co_u32 v2, vcc_lo, v2, v6
	s_delay_alu instid0(VALU_DEP_3) | instskip(SKIP_1) | instid1(VALU_DEP_3)
	v_add_co_ci_u32_e32 v16, vcc_lo, v5, v9, vcc_lo
	v_xor_b32_e32 v17, v12, v14
	v_mul_hi_u32 v18, v15, v2
	s_delay_alu instid0(VALU_DEP_3) | instskip(NEXT) | instid1(VALU_DEP_3)
	v_mad_u64_u32 v[5:6], null, v15, v16, 0
	v_mad_u64_u32 v[9:10], null, v17, v2, 0
	;; [unrolled: 1-line block ×3, first 2 shown]
	s_delay_alu instid0(VALU_DEP_3) | instskip(NEXT) | instid1(VALU_DEP_4)
	v_add_co_u32 v2, vcc_lo, v18, v5
	v_add_co_ci_u32_e32 v5, vcc_lo, 0, v6, vcc_lo
	s_delay_alu instid0(VALU_DEP_2) | instskip(NEXT) | instid1(VALU_DEP_2)
	v_add_co_u32 v2, vcc_lo, v2, v9
	v_add_co_ci_u32_e32 v2, vcc_lo, v5, v10, vcc_lo
	v_add_co_ci_u32_e32 v5, vcc_lo, 0, v12, vcc_lo
	s_delay_alu instid0(VALU_DEP_2) | instskip(NEXT) | instid1(VALU_DEP_2)
	v_add_co_u32 v2, vcc_lo, v2, v11
	v_add_co_ci_u32_e32 v9, vcc_lo, 0, v5, vcc_lo
	s_delay_alu instid0(VALU_DEP_2) | instskip(SKIP_1) | instid1(VALU_DEP_3)
	v_mul_lo_u32 v10, s25, v2
	v_mad_u64_u32 v[5:6], null, s24, v2, 0
	v_mul_lo_u32 v11, s24, v9
	s_delay_alu instid0(VALU_DEP_2) | instskip(NEXT) | instid1(VALU_DEP_2)
	v_sub_co_u32 v5, vcc_lo, v15, v5
	v_add3_u32 v6, v6, v11, v10
	s_delay_alu instid0(VALU_DEP_1) | instskip(NEXT) | instid1(VALU_DEP_1)
	v_sub_nc_u32_e32 v10, v17, v6
	v_subrev_co_ci_u32_e64 v10, s3, s25, v10, vcc_lo
	v_add_co_u32 v11, s3, v2, 2
	s_delay_alu instid0(VALU_DEP_1) | instskip(SKIP_3) | instid1(VALU_DEP_3)
	v_add_co_ci_u32_e64 v12, s3, 0, v9, s3
	v_sub_co_u32 v15, s3, v5, s24
	v_sub_co_ci_u32_e32 v6, vcc_lo, v17, v6, vcc_lo
	v_subrev_co_ci_u32_e64 v10, s3, 0, v10, s3
	v_cmp_le_u32_e32 vcc_lo, s24, v15
	s_delay_alu instid0(VALU_DEP_3) | instskip(SKIP_1) | instid1(VALU_DEP_4)
	v_cmp_eq_u32_e64 s3, s25, v6
	v_cndmask_b32_e64 v15, 0, -1, vcc_lo
	v_cmp_le_u32_e32 vcc_lo, s25, v10
	v_cndmask_b32_e64 v16, 0, -1, vcc_lo
	v_cmp_le_u32_e32 vcc_lo, s24, v5
	v_cndmask_b32_e64 v5, 0, -1, vcc_lo
	v_cmp_le_u32_e32 vcc_lo, s25, v6
	v_cndmask_b32_e64 v17, 0, -1, vcc_lo
	v_cmp_eq_u32_e32 vcc_lo, s25, v10
	s_delay_alu instid0(VALU_DEP_2) | instskip(SKIP_3) | instid1(VALU_DEP_3)
	v_cndmask_b32_e64 v5, v17, v5, s3
	v_cndmask_b32_e32 v10, v16, v15, vcc_lo
	v_add_co_u32 v15, vcc_lo, v2, 1
	v_add_co_ci_u32_e32 v16, vcc_lo, 0, v9, vcc_lo
	v_cmp_ne_u32_e32 vcc_lo, 0, v10
	s_delay_alu instid0(VALU_DEP_2) | instskip(NEXT) | instid1(VALU_DEP_4)
	v_cndmask_b32_e32 v6, v16, v12, vcc_lo
	v_cndmask_b32_e32 v10, v15, v11, vcc_lo
	v_cmp_ne_u32_e32 vcc_lo, 0, v5
	v_xor_b32_e32 v5, s22, v13
	s_delay_alu instid0(VALU_DEP_3) | instskip(SKIP_2) | instid1(VALU_DEP_3)
	v_cndmask_b32_e32 v2, v2, v10, vcc_lo
	v_cndmask_b32_e32 v6, v9, v6, vcc_lo
	v_xor_b32_e32 v9, s22, v14
	v_xor_b32_e32 v2, v2, v5
	s_delay_alu instid0(VALU_DEP_2) | instskip(NEXT) | instid1(VALU_DEP_2)
	v_xor_b32_e32 v6, v6, v9
	v_sub_co_u32 v5, vcc_lo, v2, v5
	s_delay_alu instid0(VALU_DEP_2)
	v_sub_co_ci_u32_e32 v6, vcc_lo, v6, v9, vcc_lo
.LBB60_13:
	s_and_not1_saveexec_b32 s3, s5
	s_cbranch_execz .LBB60_15
; %bb.14:
	v_cvt_f32_u32_e32 v2, s16
	s_sub_i32 s5, 0, s16
	s_delay_alu instid0(VALU_DEP_1) | instskip(SKIP_2) | instid1(VALU_DEP_1)
	v_rcp_iflag_f32_e32 v2, v2
	s_waitcnt_depctr 0xfff
	v_mul_f32_e32 v2, 0x4f7ffffe, v2
	v_cvt_u32_f32_e32 v2, v2
	s_delay_alu instid0(VALU_DEP_1) | instskip(NEXT) | instid1(VALU_DEP_1)
	v_mul_lo_u32 v5, s5, v2
	v_mul_hi_u32 v5, v2, v5
	s_delay_alu instid0(VALU_DEP_1) | instskip(NEXT) | instid1(VALU_DEP_1)
	v_add_nc_u32_e32 v2, v2, v5
	v_mul_hi_u32 v2, v7, v2
	s_delay_alu instid0(VALU_DEP_1) | instskip(SKIP_1) | instid1(VALU_DEP_2)
	v_mul_lo_u32 v5, v2, s16
	v_add_nc_u32_e32 v6, 1, v2
	v_sub_nc_u32_e32 v5, v7, v5
	s_delay_alu instid0(VALU_DEP_1) | instskip(SKIP_1) | instid1(VALU_DEP_2)
	v_subrev_nc_u32_e32 v9, s16, v5
	v_cmp_le_u32_e32 vcc_lo, s16, v5
	v_dual_cndmask_b32 v5, v5, v9 :: v_dual_cndmask_b32 v2, v2, v6
	s_delay_alu instid0(VALU_DEP_1) | instskip(NEXT) | instid1(VALU_DEP_2)
	v_cmp_le_u32_e32 vcc_lo, s16, v5
	v_add_nc_u32_e32 v6, 1, v2
	s_delay_alu instid0(VALU_DEP_1)
	v_dual_cndmask_b32 v5, v2, v6 :: v_dual_mov_b32 v6, 0
.LBB60_15:
	s_or_b32 exec_lo, exec_lo, s3
	v_mul_lo_u32 v1, v1, s4
	s_delay_alu instid0(VALU_DEP_2) | instskip(SKIP_2) | instid1(VALU_DEP_3)
	v_lshlrev_b64 v[9:10], 2, v[5:6]
	v_mul_lo_u32 v6, v6, s16
	v_ashrrev_i32_e32 v13, 31, v0
	v_add_co_u32 v9, vcc_lo, s20, v9
	v_ashrrev_i32_e32 v2, 31, v1
	v_add_co_ci_u32_e32 v10, vcc_lo, s21, v10, vcc_lo
	s_delay_alu instid0(VALU_DEP_2) | instskip(NEXT) | instid1(VALU_DEP_1)
	v_lshlrev_b64 v[1:2], 2, v[1:2]
	v_add_co_u32 v1, vcc_lo, v9, v1
	s_delay_alu instid0(VALU_DEP_2) | instskip(SKIP_3) | instid1(VALU_DEP_1)
	v_add_co_ci_u32_e32 v2, vcc_lo, v10, v2, vcc_lo
	v_mul_lo_u32 v10, v5, s17
	global_load_b32 v9, v[1:2], off
	v_mad_u64_u32 v[1:2], null, v5, s16, 0
	v_add3_u32 v2, v2, v10, v6
	s_delay_alu instid0(VALU_DEP_2) | instskip(NEXT) | instid1(VALU_DEP_2)
	v_sub_co_u32 v1, vcc_lo, v7, v1
	v_sub_co_ci_u32_e32 v2, vcc_lo, v8, v2, vcc_lo
	s_delay_alu instid0(VALU_DEP_2) | instskip(SKIP_1) | instid1(VALU_DEP_3)
	v_mul_lo_u32 v10, v1, s11
	v_mad_u64_u32 v[7:8], null, v1, s10, v[3:4]
	v_mul_lo_u32 v2, v2, s10
	s_delay_alu instid0(VALU_DEP_1) | instskip(SKIP_4) | instid1(VALU_DEP_3)
	v_add3_u32 v8, v2, v8, v10
	s_waitcnt vmcnt(0)
	v_ashrrev_i32_e32 v1, 31, v9
	v_mul_lo_u32 v11, v9, s19
	v_mad_u64_u32 v[5:6], null, v9, s18, 0
	v_mul_lo_u32 v1, v1, s18
	s_delay_alu instid0(VALU_DEP_1) | instskip(NEXT) | instid1(VALU_DEP_3)
	v_add3_u32 v6, v6, v11, v1
	v_add_co_u32 v1, vcc_lo, v7, v5
	s_delay_alu instid0(VALU_DEP_2) | instskip(NEXT) | instid1(VALU_DEP_1)
	v_add_co_ci_u32_e32 v2, vcc_lo, v8, v6, vcc_lo
	v_ashrrev_i32_e32 v9, 31, v2
	s_delay_alu instid0(VALU_DEP_1) | instskip(NEXT) | instid1(VALU_DEP_1)
	v_lshrrev_b32_e32 v9, 28, v9
	v_add_co_u32 v1, vcc_lo, v1, v9
	v_add_co_ci_u32_e32 v2, vcc_lo, 0, v2, vcc_lo
	s_delay_alu instid0(VALU_DEP_2) | instskip(NEXT) | instid1(VALU_DEP_1)
	v_and_b32_e32 v1, -16, v1
	v_add_co_u32 v1, vcc_lo, s12, v1
	s_delay_alu instid0(VALU_DEP_3) | instskip(SKIP_4) | instid1(VALU_DEP_1)
	v_add_co_ci_u32_e32 v2, vcc_lo, s13, v2, vcc_lo
	global_load_b128 v[9:12], v[1:2], off
	v_mad_u64_u32 v[1:2], null, v0, s8, v[3:4]
	v_mul_lo_u32 v0, v0, s9
	v_mul_lo_u32 v3, v13, s8
	v_add3_u32 v2, v3, v2, v0
	s_delay_alu instid0(VALU_DEP_1) | instskip(NEXT) | instid1(VALU_DEP_1)
	v_ashrrev_i32_e32 v0, 31, v2
	v_lshrrev_b32_e32 v0, 28, v0
	s_delay_alu instid0(VALU_DEP_1) | instskip(SKIP_1) | instid1(VALU_DEP_2)
	v_add_co_u32 v0, vcc_lo, v1, v0
	v_add_co_ci_u32_e32 v4, vcc_lo, 0, v2, vcc_lo
	v_and_b32_e32 v0, -16, v0
	s_delay_alu instid0(VALU_DEP_1) | instskip(NEXT) | instid1(VALU_DEP_3)
	v_add_co_u32 v3, vcc_lo, s14, v0
	v_add_co_ci_u32_e32 v4, vcc_lo, s15, v4, vcc_lo
	s_waitcnt vmcnt(0)
	global_store_b128 v[3:4], v[9:12], off
	s_and_b32 exec_lo, exec_lo, s2
	s_cbranch_execz .LBB60_25
; %bb.16:
	v_lshlrev_b64 v[3:4], 2, v[7:8]
	s_ashr_i32 s7, s6, 31
	v_mov_b32_e32 v7, 0
	s_delay_alu instid0(VALU_DEP_2) | instskip(NEXT) | instid1(VALU_DEP_1)
	v_or_b32_e32 v8, s7, v4
	v_cmp_ne_u64_e32 vcc_lo, 0, v[7:8]
                                        ; implicit-def: $vgpr7_vgpr8
	s_and_saveexec_b32 s2, vcc_lo
	s_delay_alu instid0(SALU_CYCLE_1)
	s_xor_b32 s3, exec_lo, s2
	s_cbranch_execz .LBB60_18
; %bb.17:
	s_add_u32 s8, s6, s7
	s_mov_b32 s4, s7
	s_mov_b32 s5, s7
	s_addc_u32 s9, s7, s7
	s_delay_alu instid0(SALU_CYCLE_1) | instskip(NEXT) | instid1(SALU_CYCLE_1)
	s_xor_b64 s[8:9], s[8:9], s[4:5]
	v_cvt_f32_u32_e32 v0, s8
	v_cvt_f32_u32_e32 v7, s9
	s_sub_u32 s2, 0, s8
	s_subb_u32 s14, 0, s9
	s_delay_alu instid0(VALU_DEP_1) | instskip(NEXT) | instid1(VALU_DEP_1)
	v_fmamk_f32 v0, v7, 0x4f800000, v0
	v_rcp_f32_e32 v0, v0
	s_waitcnt_depctr 0xfff
	v_mul_f32_e32 v0, 0x5f7ffffc, v0
	s_delay_alu instid0(VALU_DEP_1) | instskip(NEXT) | instid1(VALU_DEP_1)
	v_mul_f32_e32 v7, 0x2f800000, v0
	v_trunc_f32_e32 v7, v7
	s_delay_alu instid0(VALU_DEP_1) | instskip(SKIP_1) | instid1(VALU_DEP_2)
	v_fmamk_f32 v0, v7, 0xcf800000, v0
	v_cvt_u32_f32_e32 v7, v7
	v_cvt_u32_f32_e32 v0, v0
	s_delay_alu instid0(VALU_DEP_2) | instskip(NEXT) | instid1(VALU_DEP_2)
	v_mul_lo_u32 v8, s2, v7
	v_mul_hi_u32 v9, s2, v0
	v_mul_lo_u32 v10, s14, v0
	s_delay_alu instid0(VALU_DEP_2) | instskip(SKIP_1) | instid1(VALU_DEP_2)
	v_add_nc_u32_e32 v8, v9, v8
	v_mul_lo_u32 v9, s2, v0
	v_add_nc_u32_e32 v8, v8, v10
	s_delay_alu instid0(VALU_DEP_2) | instskip(NEXT) | instid1(VALU_DEP_2)
	v_mul_hi_u32 v10, v0, v9
	v_mul_lo_u32 v11, v0, v8
	v_mul_hi_u32 v12, v0, v8
	v_mul_hi_u32 v13, v7, v9
	v_mul_lo_u32 v9, v7, v9
	v_mul_hi_u32 v14, v7, v8
	v_mul_lo_u32 v8, v7, v8
	v_add_co_u32 v10, vcc_lo, v10, v11
	v_add_co_ci_u32_e32 v11, vcc_lo, 0, v12, vcc_lo
	s_delay_alu instid0(VALU_DEP_2) | instskip(NEXT) | instid1(VALU_DEP_2)
	v_add_co_u32 v9, vcc_lo, v10, v9
	v_add_co_ci_u32_e32 v9, vcc_lo, v11, v13, vcc_lo
	v_add_co_ci_u32_e32 v10, vcc_lo, 0, v14, vcc_lo
	v_ashrrev_i32_e32 v13, 31, v4
	s_delay_alu instid0(VALU_DEP_3) | instskip(NEXT) | instid1(VALU_DEP_3)
	v_add_co_u32 v8, vcc_lo, v9, v8
	v_add_co_ci_u32_e32 v9, vcc_lo, 0, v10, vcc_lo
	s_delay_alu instid0(VALU_DEP_2) | instskip(NEXT) | instid1(VALU_DEP_2)
	v_add_co_u32 v0, vcc_lo, v0, v8
	v_add_co_ci_u32_e32 v7, vcc_lo, v7, v9, vcc_lo
	s_delay_alu instid0(VALU_DEP_2) | instskip(SKIP_1) | instid1(VALU_DEP_3)
	v_mul_hi_u32 v8, s2, v0
	v_mul_lo_u32 v10, s14, v0
	v_mul_lo_u32 v9, s2, v7
	s_delay_alu instid0(VALU_DEP_1) | instskip(SKIP_1) | instid1(VALU_DEP_2)
	v_add_nc_u32_e32 v8, v8, v9
	v_mul_lo_u32 v9, s2, v0
	v_add_nc_u32_e32 v8, v8, v10
	s_delay_alu instid0(VALU_DEP_2) | instskip(NEXT) | instid1(VALU_DEP_2)
	v_mul_hi_u32 v10, v0, v9
	v_mul_lo_u32 v11, v0, v8
	v_mul_hi_u32 v12, v0, v8
	v_mul_hi_u32 v14, v7, v9
	v_mul_lo_u32 v9, v7, v9
	v_mul_hi_u32 v15, v7, v8
	v_mul_lo_u32 v8, v7, v8
	v_add_co_u32 v10, vcc_lo, v10, v11
	v_add_co_ci_u32_e32 v11, vcc_lo, 0, v12, vcc_lo
	s_delay_alu instid0(VALU_DEP_2) | instskip(NEXT) | instid1(VALU_DEP_2)
	v_add_co_u32 v9, vcc_lo, v10, v9
	v_add_co_ci_u32_e32 v9, vcc_lo, v11, v14, vcc_lo
	v_add_co_ci_u32_e32 v10, vcc_lo, 0, v15, vcc_lo
	v_add_co_u32 v3, vcc_lo, v3, v13
	v_add_co_ci_u32_e32 v4, vcc_lo, v4, v13, vcc_lo
	s_delay_alu instid0(VALU_DEP_4) | instskip(NEXT) | instid1(VALU_DEP_4)
	v_add_co_u32 v8, vcc_lo, v9, v8
	v_add_co_ci_u32_e32 v9, vcc_lo, 0, v10, vcc_lo
	s_delay_alu instid0(VALU_DEP_4) | instskip(NEXT) | instid1(VALU_DEP_3)
	v_xor_b32_e32 v11, v3, v13
	v_add_co_u32 v0, vcc_lo, v0, v8
	s_delay_alu instid0(VALU_DEP_3) | instskip(SKIP_1) | instid1(VALU_DEP_3)
	v_add_co_ci_u32_e32 v12, vcc_lo, v7, v9, vcc_lo
	v_xor_b32_e32 v14, v4, v13
	v_mul_hi_u32 v15, v11, v0
	s_delay_alu instid0(VALU_DEP_3) | instskip(NEXT) | instid1(VALU_DEP_3)
	v_mad_u64_u32 v[3:4], null, v11, v12, 0
	v_mad_u64_u32 v[7:8], null, v14, v0, 0
	;; [unrolled: 1-line block ×3, first 2 shown]
	s_delay_alu instid0(VALU_DEP_3) | instskip(NEXT) | instid1(VALU_DEP_4)
	v_add_co_u32 v0, vcc_lo, v15, v3
	v_add_co_ci_u32_e32 v3, vcc_lo, 0, v4, vcc_lo
	s_delay_alu instid0(VALU_DEP_2) | instskip(NEXT) | instid1(VALU_DEP_2)
	v_add_co_u32 v0, vcc_lo, v0, v7
	v_add_co_ci_u32_e32 v0, vcc_lo, v3, v8, vcc_lo
	v_add_co_ci_u32_e32 v3, vcc_lo, 0, v10, vcc_lo
	s_delay_alu instid0(VALU_DEP_2) | instskip(NEXT) | instid1(VALU_DEP_2)
	v_add_co_u32 v0, vcc_lo, v0, v9
	v_add_co_ci_u32_e32 v7, vcc_lo, 0, v3, vcc_lo
	s_delay_alu instid0(VALU_DEP_2) | instskip(SKIP_1) | instid1(VALU_DEP_3)
	v_mul_lo_u32 v8, s9, v0
	v_mad_u64_u32 v[3:4], null, s8, v0, 0
	v_mul_lo_u32 v9, s8, v7
	s_delay_alu instid0(VALU_DEP_2) | instskip(NEXT) | instid1(VALU_DEP_2)
	v_sub_co_u32 v3, vcc_lo, v11, v3
	v_add3_u32 v4, v4, v9, v8
	s_delay_alu instid0(VALU_DEP_1) | instskip(NEXT) | instid1(VALU_DEP_1)
	v_sub_nc_u32_e32 v8, v14, v4
	v_subrev_co_ci_u32_e64 v8, s2, s9, v8, vcc_lo
	v_add_co_u32 v9, s2, v0, 2
	s_delay_alu instid0(VALU_DEP_1) | instskip(SKIP_3) | instid1(VALU_DEP_3)
	v_add_co_ci_u32_e64 v10, s2, 0, v7, s2
	v_sub_co_u32 v11, s2, v3, s8
	v_sub_co_ci_u32_e32 v4, vcc_lo, v14, v4, vcc_lo
	v_subrev_co_ci_u32_e64 v8, s2, 0, v8, s2
	v_cmp_le_u32_e32 vcc_lo, s8, v11
	s_delay_alu instid0(VALU_DEP_3) | instskip(SKIP_1) | instid1(VALU_DEP_4)
	v_cmp_eq_u32_e64 s2, s9, v4
	v_cndmask_b32_e64 v11, 0, -1, vcc_lo
	v_cmp_le_u32_e32 vcc_lo, s9, v8
	v_cndmask_b32_e64 v12, 0, -1, vcc_lo
	v_cmp_le_u32_e32 vcc_lo, s8, v3
	;; [unrolled: 2-line block ×3, first 2 shown]
	v_cndmask_b32_e64 v14, 0, -1, vcc_lo
	v_cmp_eq_u32_e32 vcc_lo, s9, v8
	s_delay_alu instid0(VALU_DEP_2) | instskip(SKIP_3) | instid1(VALU_DEP_3)
	v_cndmask_b32_e64 v3, v14, v3, s2
	v_cndmask_b32_e32 v8, v12, v11, vcc_lo
	v_add_co_u32 v11, vcc_lo, v0, 1
	v_add_co_ci_u32_e32 v12, vcc_lo, 0, v7, vcc_lo
	v_cmp_ne_u32_e32 vcc_lo, 0, v8
	s_delay_alu instid0(VALU_DEP_2) | instskip(NEXT) | instid1(VALU_DEP_4)
	v_cndmask_b32_e32 v4, v12, v10, vcc_lo
	v_cndmask_b32_e32 v8, v11, v9, vcc_lo
	v_cmp_ne_u32_e32 vcc_lo, 0, v3
	v_xor_b32_e32 v3, s4, v13
	s_delay_alu instid0(VALU_DEP_3) | instskip(SKIP_2) | instid1(VALU_DEP_3)
	v_cndmask_b32_e32 v0, v0, v8, vcc_lo
	v_cndmask_b32_e32 v4, v7, v4, vcc_lo
	v_xor_b32_e32 v8, s5, v13
	v_xor_b32_e32 v0, v0, v3
	s_delay_alu instid0(VALU_DEP_2) | instskip(NEXT) | instid1(VALU_DEP_2)
	v_xor_b32_e32 v4, v4, v8
	v_sub_co_u32 v7, vcc_lo, v0, v3
	s_delay_alu instid0(VALU_DEP_2)
	v_sub_co_ci_u32_e32 v8, vcc_lo, v4, v8, vcc_lo
                                        ; implicit-def: $vgpr3_vgpr4
.LBB60_18:
	s_or_saveexec_b32 s2, s3
	v_cvt_f32_u32_e32 v9, s6
	s_xor_b32 exec_lo, exec_lo, s2
	s_cbranch_execz .LBB60_20
; %bb.19:
	s_delay_alu instid0(VALU_DEP_1) | instskip(SKIP_4) | instid1(VALU_DEP_1)
	v_rcp_iflag_f32_e32 v0, v9
	s_sub_i32 s3, 0, s6
	v_mov_b32_e32 v8, 0
	s_waitcnt_depctr 0xfff
	v_mul_f32_e32 v0, 0x4f7ffffe, v0
	v_cvt_u32_f32_e32 v0, v0
	s_delay_alu instid0(VALU_DEP_1) | instskip(NEXT) | instid1(VALU_DEP_1)
	v_mul_lo_u32 v4, s3, v0
	v_mul_hi_u32 v4, v0, v4
	s_delay_alu instid0(VALU_DEP_1) | instskip(NEXT) | instid1(VALU_DEP_1)
	v_add_nc_u32_e32 v0, v0, v4
	v_mul_hi_u32 v0, v3, v0
	s_delay_alu instid0(VALU_DEP_1) | instskip(NEXT) | instid1(VALU_DEP_1)
	v_mul_lo_u32 v4, v0, s6
	v_sub_nc_u32_e32 v3, v3, v4
	v_add_nc_u32_e32 v4, 1, v0
	s_delay_alu instid0(VALU_DEP_2) | instskip(SKIP_1) | instid1(VALU_DEP_2)
	v_subrev_nc_u32_e32 v7, s6, v3
	v_cmp_le_u32_e32 vcc_lo, s6, v3
	v_dual_cndmask_b32 v3, v3, v7 :: v_dual_cndmask_b32 v0, v0, v4
	s_delay_alu instid0(VALU_DEP_1) | instskip(NEXT) | instid1(VALU_DEP_2)
	v_cmp_le_u32_e32 vcc_lo, s6, v3
	v_add_nc_u32_e32 v4, 1, v0
	s_delay_alu instid0(VALU_DEP_1)
	v_cndmask_b32_e32 v7, v0, v4, vcc_lo
.LBB60_20:
	s_or_b32 exec_lo, exec_lo, s2
	v_mad_u64_u32 v[3:4], null, s16, s10, v[5:6]
	s_mul_i32 s2, s17, s10
	s_mul_i32 s3, s16, s11
	s_delay_alu instid0(VALU_DEP_1) | instid1(SALU_CYCLE_1)
	v_add3_u32 v0, s3, s2, v4
	s_delay_alu instid0(VALU_DEP_2) | instskip(SKIP_1) | instid1(VALU_DEP_2)
	v_add_co_u32 v3, vcc_lo, v3, v7
	s_load_b64 s[2:3], s[0:1], 0x10
	v_add_co_ci_u32_e32 v0, vcc_lo, v0, v8, vcc_lo
	s_delay_alu instid0(VALU_DEP_1) | instskip(NEXT) | instid1(VALU_DEP_1)
	v_ashrrev_i32_e32 v4, 31, v0
	v_lshrrev_b32_e32 v4, 30, v4
	s_delay_alu instid0(VALU_DEP_1) | instskip(SKIP_1) | instid1(VALU_DEP_2)
	v_add_co_u32 v3, vcc_lo, v3, v4
	v_add_co_ci_u32_e32 v0, vcc_lo, 0, v0, vcc_lo
	v_and_b32_e32 v3, -4, v3
	s_delay_alu instid0(VALU_DEP_1) | instskip(NEXT) | instid1(VALU_DEP_3)
	v_add_co_u32 v3, vcc_lo, s12, v3
	v_add_co_ci_u32_e32 v4, vcc_lo, s13, v0, vcc_lo
	global_load_b32 v0, v[3:4], off
	v_mov_b32_e32 v3, 0
	v_or_b32_e32 v4, s7, v2
	s_delay_alu instid0(VALU_DEP_1) | instskip(SKIP_1) | instid1(SALU_CYCLE_1)
	v_cmp_ne_u64_e32 vcc_lo, 0, v[3:4]
                                        ; implicit-def: $vgpr3_vgpr4
	s_and_saveexec_b32 s0, vcc_lo
	s_xor_b32 s1, exec_lo, s0
	s_cbranch_execz .LBB60_22
; %bb.21:
	s_add_u32 s8, s6, s7
	s_mov_b32 s4, s7
	s_mov_b32 s5, s7
	s_addc_u32 s9, s7, s7
	s_delay_alu instid0(SALU_CYCLE_1) | instskip(NEXT) | instid1(SALU_CYCLE_1)
	s_xor_b64 s[8:9], s[8:9], s[4:5]
	v_cvt_f32_u32_e32 v3, s8
	v_cvt_f32_u32_e32 v4, s9
	s_sub_u32 s0, 0, s8
	s_subb_u32 s7, 0, s9
	s_delay_alu instid0(VALU_DEP_1) | instskip(NEXT) | instid1(VALU_DEP_1)
	v_fmamk_f32 v3, v4, 0x4f800000, v3
	v_rcp_f32_e32 v3, v3
	s_waitcnt_depctr 0xfff
	v_mul_f32_e32 v3, 0x5f7ffffc, v3
	s_delay_alu instid0(VALU_DEP_1) | instskip(NEXT) | instid1(VALU_DEP_1)
	v_mul_f32_e32 v4, 0x2f800000, v3
	v_trunc_f32_e32 v4, v4
	s_delay_alu instid0(VALU_DEP_1) | instskip(SKIP_1) | instid1(VALU_DEP_2)
	v_fmamk_f32 v3, v4, 0xcf800000, v3
	v_cvt_u32_f32_e32 v4, v4
	v_cvt_u32_f32_e32 v3, v3
	s_delay_alu instid0(VALU_DEP_2) | instskip(NEXT) | instid1(VALU_DEP_2)
	v_mul_lo_u32 v5, s0, v4
	v_mul_hi_u32 v6, s0, v3
	v_mul_lo_u32 v7, s7, v3
	s_delay_alu instid0(VALU_DEP_2) | instskip(SKIP_1) | instid1(VALU_DEP_2)
	v_add_nc_u32_e32 v5, v6, v5
	v_mul_lo_u32 v6, s0, v3
	v_add_nc_u32_e32 v5, v5, v7
	s_delay_alu instid0(VALU_DEP_2) | instskip(NEXT) | instid1(VALU_DEP_2)
	v_mul_hi_u32 v7, v3, v6
	v_mul_lo_u32 v8, v3, v5
	v_mul_hi_u32 v9, v3, v5
	v_mul_hi_u32 v10, v4, v6
	v_mul_lo_u32 v6, v4, v6
	v_mul_hi_u32 v11, v4, v5
	v_mul_lo_u32 v5, v4, v5
	v_add_co_u32 v7, vcc_lo, v7, v8
	v_add_co_ci_u32_e32 v8, vcc_lo, 0, v9, vcc_lo
	s_delay_alu instid0(VALU_DEP_2) | instskip(NEXT) | instid1(VALU_DEP_2)
	v_add_co_u32 v6, vcc_lo, v7, v6
	v_add_co_ci_u32_e32 v6, vcc_lo, v8, v10, vcc_lo
	v_add_co_ci_u32_e32 v7, vcc_lo, 0, v11, vcc_lo
	v_ashrrev_i32_e32 v10, 31, v2
	s_delay_alu instid0(VALU_DEP_3) | instskip(NEXT) | instid1(VALU_DEP_3)
	v_add_co_u32 v5, vcc_lo, v6, v5
	v_add_co_ci_u32_e32 v6, vcc_lo, 0, v7, vcc_lo
	s_delay_alu instid0(VALU_DEP_2) | instskip(NEXT) | instid1(VALU_DEP_2)
	v_add_co_u32 v3, vcc_lo, v3, v5
	v_add_co_ci_u32_e32 v4, vcc_lo, v4, v6, vcc_lo
	s_delay_alu instid0(VALU_DEP_2) | instskip(SKIP_1) | instid1(VALU_DEP_3)
	v_mul_hi_u32 v5, s0, v3
	v_mul_lo_u32 v7, s7, v3
	v_mul_lo_u32 v6, s0, v4
	s_delay_alu instid0(VALU_DEP_1) | instskip(SKIP_1) | instid1(VALU_DEP_2)
	v_add_nc_u32_e32 v5, v5, v6
	v_mul_lo_u32 v6, s0, v3
	v_add_nc_u32_e32 v5, v5, v7
	s_delay_alu instid0(VALU_DEP_2) | instskip(NEXT) | instid1(VALU_DEP_2)
	v_mul_hi_u32 v7, v3, v6
	v_mul_lo_u32 v8, v3, v5
	v_mul_hi_u32 v9, v3, v5
	v_mul_hi_u32 v11, v4, v6
	v_mul_lo_u32 v6, v4, v6
	v_mul_hi_u32 v12, v4, v5
	v_mul_lo_u32 v5, v4, v5
	v_add_co_u32 v7, vcc_lo, v7, v8
	v_add_co_ci_u32_e32 v8, vcc_lo, 0, v9, vcc_lo
	s_delay_alu instid0(VALU_DEP_2) | instskip(NEXT) | instid1(VALU_DEP_2)
	v_add_co_u32 v6, vcc_lo, v7, v6
	v_add_co_ci_u32_e32 v6, vcc_lo, v8, v11, vcc_lo
	v_add_co_ci_u32_e32 v7, vcc_lo, 0, v12, vcc_lo
	v_add_co_u32 v1, vcc_lo, v1, v10
	v_add_co_ci_u32_e32 v2, vcc_lo, v2, v10, vcc_lo
	s_delay_alu instid0(VALU_DEP_4) | instskip(NEXT) | instid1(VALU_DEP_4)
	v_add_co_u32 v5, vcc_lo, v6, v5
	v_add_co_ci_u32_e32 v6, vcc_lo, 0, v7, vcc_lo
	s_delay_alu instid0(VALU_DEP_4) | instskip(NEXT) | instid1(VALU_DEP_3)
	v_xor_b32_e32 v7, v1, v10
	v_add_co_u32 v5, vcc_lo, v3, v5
	s_delay_alu instid0(VALU_DEP_3) | instskip(SKIP_1) | instid1(VALU_DEP_3)
	v_add_co_ci_u32_e32 v8, vcc_lo, v4, v6, vcc_lo
	v_xor_b32_e32 v9, v2, v10
	v_mul_hi_u32 v11, v7, v5
	s_delay_alu instid0(VALU_DEP_3) | instskip(NEXT) | instid1(VALU_DEP_3)
	v_mad_u64_u32 v[1:2], null, v7, v8, 0
	v_mad_u64_u32 v[3:4], null, v9, v5, 0
	;; [unrolled: 1-line block ×3, first 2 shown]
	s_delay_alu instid0(VALU_DEP_3) | instskip(NEXT) | instid1(VALU_DEP_4)
	v_add_co_u32 v1, vcc_lo, v11, v1
	v_add_co_ci_u32_e32 v2, vcc_lo, 0, v2, vcc_lo
	s_delay_alu instid0(VALU_DEP_2) | instskip(NEXT) | instid1(VALU_DEP_2)
	v_add_co_u32 v1, vcc_lo, v1, v3
	v_add_co_ci_u32_e32 v1, vcc_lo, v2, v4, vcc_lo
	v_add_co_ci_u32_e32 v2, vcc_lo, 0, v6, vcc_lo
	s_delay_alu instid0(VALU_DEP_2) | instskip(NEXT) | instid1(VALU_DEP_2)
	v_add_co_u32 v3, vcc_lo, v1, v5
	v_add_co_ci_u32_e32 v4, vcc_lo, 0, v2, vcc_lo
	s_delay_alu instid0(VALU_DEP_2) | instskip(SKIP_1) | instid1(VALU_DEP_3)
	v_mul_lo_u32 v5, s9, v3
	v_mad_u64_u32 v[1:2], null, s8, v3, 0
	v_mul_lo_u32 v6, s8, v4
	s_delay_alu instid0(VALU_DEP_2) | instskip(NEXT) | instid1(VALU_DEP_2)
	v_sub_co_u32 v1, vcc_lo, v7, v1
	v_add3_u32 v2, v2, v6, v5
	s_delay_alu instid0(VALU_DEP_1) | instskip(NEXT) | instid1(VALU_DEP_1)
	v_sub_nc_u32_e32 v5, v9, v2
	v_subrev_co_ci_u32_e64 v5, s0, s9, v5, vcc_lo
	v_add_co_u32 v6, s0, v3, 2
	s_delay_alu instid0(VALU_DEP_1) | instskip(SKIP_3) | instid1(VALU_DEP_3)
	v_add_co_ci_u32_e64 v7, s0, 0, v4, s0
	v_sub_co_u32 v8, s0, v1, s8
	v_sub_co_ci_u32_e32 v2, vcc_lo, v9, v2, vcc_lo
	v_subrev_co_ci_u32_e64 v5, s0, 0, v5, s0
	v_cmp_le_u32_e32 vcc_lo, s8, v8
	s_delay_alu instid0(VALU_DEP_3) | instskip(SKIP_1) | instid1(VALU_DEP_4)
	v_cmp_eq_u32_e64 s0, s9, v2
	v_cndmask_b32_e64 v8, 0, -1, vcc_lo
	v_cmp_le_u32_e32 vcc_lo, s9, v5
	v_cndmask_b32_e64 v9, 0, -1, vcc_lo
	v_cmp_le_u32_e32 vcc_lo, s8, v1
	;; [unrolled: 2-line block ×3, first 2 shown]
	v_cndmask_b32_e64 v11, 0, -1, vcc_lo
	v_cmp_eq_u32_e32 vcc_lo, s9, v5
	s_delay_alu instid0(VALU_DEP_2) | instskip(SKIP_3) | instid1(VALU_DEP_3)
	v_cndmask_b32_e64 v1, v11, v1, s0
	v_cndmask_b32_e32 v5, v9, v8, vcc_lo
	v_add_co_u32 v8, vcc_lo, v3, 1
	v_add_co_ci_u32_e32 v9, vcc_lo, 0, v4, vcc_lo
	v_cmp_ne_u32_e32 vcc_lo, 0, v5
	s_delay_alu instid0(VALU_DEP_2) | instskip(SKIP_2) | instid1(VALU_DEP_3)
	v_dual_cndmask_b32 v2, v9, v7 :: v_dual_cndmask_b32 v5, v8, v6
	v_cmp_ne_u32_e32 vcc_lo, 0, v1
	v_xor_b32_e32 v1, s4, v10
                                        ; implicit-def: $vgpr9
	v_dual_cndmask_b32 v3, v3, v5 :: v_dual_cndmask_b32 v2, v4, v2
	v_xor_b32_e32 v4, s5, v10
	s_delay_alu instid0(VALU_DEP_2) | instskip(NEXT) | instid1(VALU_DEP_2)
	v_xor_b32_e32 v3, v3, v1
	v_xor_b32_e32 v2, v2, v4
	s_delay_alu instid0(VALU_DEP_2) | instskip(NEXT) | instid1(VALU_DEP_2)
	v_sub_co_u32 v3, vcc_lo, v3, v1
	v_sub_co_ci_u32_e32 v4, vcc_lo, v2, v4, vcc_lo
                                        ; implicit-def: $vgpr1_vgpr2
.LBB60_22:
	s_and_not1_saveexec_b32 s0, s1
	s_cbranch_execz .LBB60_24
; %bb.23:
	v_rcp_iflag_f32_e32 v2, v9
	s_sub_i32 s1, 0, s6
	s_waitcnt_depctr 0xfff
	v_mul_f32_e32 v2, 0x4f7ffffe, v2
	s_delay_alu instid0(VALU_DEP_1) | instskip(NEXT) | instid1(VALU_DEP_1)
	v_cvt_u32_f32_e32 v2, v2
	v_mul_lo_u32 v3, s1, v2
	s_delay_alu instid0(VALU_DEP_1) | instskip(NEXT) | instid1(VALU_DEP_1)
	v_mul_hi_u32 v3, v2, v3
	v_add_nc_u32_e32 v2, v2, v3
	s_delay_alu instid0(VALU_DEP_1) | instskip(NEXT) | instid1(VALU_DEP_1)
	v_mul_hi_u32 v2, v1, v2
	v_mul_lo_u32 v3, v2, s6
	s_delay_alu instid0(VALU_DEP_1) | instskip(SKIP_1) | instid1(VALU_DEP_2)
	v_sub_nc_u32_e32 v1, v1, v3
	v_add_nc_u32_e32 v3, 1, v2
	v_subrev_nc_u32_e32 v4, s6, v1
	v_cmp_le_u32_e32 vcc_lo, s6, v1
	s_delay_alu instid0(VALU_DEP_2) | instskip(NEXT) | instid1(VALU_DEP_4)
	v_dual_cndmask_b32 v1, v1, v4 :: v_dual_mov_b32 v4, 0
	v_cndmask_b32_e32 v2, v2, v3, vcc_lo
	s_delay_alu instid0(VALU_DEP_2) | instskip(NEXT) | instid1(VALU_DEP_2)
	v_cmp_le_u32_e32 vcc_lo, s6, v1
	v_add_nc_u32_e32 v3, 1, v2
	s_delay_alu instid0(VALU_DEP_1)
	v_cndmask_b32_e32 v3, v2, v3, vcc_lo
.LBB60_24:
	s_or_b32 exec_lo, exec_lo, s0
	s_delay_alu instid0(VALU_DEP_1) | instskip(SKIP_1) | instid1(VALU_DEP_1)
	v_lshlrev_b64 v[1:2], 2, v[3:4]
	s_waitcnt lgkmcnt(0)
	v_add_co_u32 v1, vcc_lo, s2, v1
	s_delay_alu instid0(VALU_DEP_2)
	v_add_co_ci_u32_e32 v2, vcc_lo, s3, v2, vcc_lo
	s_waitcnt vmcnt(0)
	global_store_b32 v[1:2], v0, off
.LBB60_25:
	s_nop 0
	s_sendmsg sendmsg(MSG_DEALLOC_VGPRS)
	s_endpgm
	.section	.rodata,"a",@progbits
	.p2align	6, 0x0
	.amdhsa_kernel _ZN4vllm38cp_gather_indexer_k_quant_cache_kernelILi1EEEvPKcPcS3_PKiS5_illllliii
		.amdhsa_group_segment_fixed_size 4
		.amdhsa_private_segment_fixed_size 0
		.amdhsa_kernarg_size 360
		.amdhsa_user_sgpr_count 14
		.amdhsa_user_sgpr_dispatch_ptr 0
		.amdhsa_user_sgpr_queue_ptr 0
		.amdhsa_user_sgpr_kernarg_segment_ptr 1
		.amdhsa_user_sgpr_dispatch_id 0
		.amdhsa_user_sgpr_private_segment_size 0
		.amdhsa_wavefront_size32 1
		.amdhsa_uses_dynamic_stack 0
		.amdhsa_enable_private_segment 0
		.amdhsa_system_sgpr_workgroup_id_x 1
		.amdhsa_system_sgpr_workgroup_id_y 1
		.amdhsa_system_sgpr_workgroup_id_z 0
		.amdhsa_system_sgpr_workgroup_info 0
		.amdhsa_system_vgpr_workitem_id 1
		.amdhsa_next_free_vgpr 19
		.amdhsa_next_free_sgpr 26
		.amdhsa_reserve_vcc 1
		.amdhsa_float_round_mode_32 0
		.amdhsa_float_round_mode_16_64 0
		.amdhsa_float_denorm_mode_32 3
		.amdhsa_float_denorm_mode_16_64 3
		.amdhsa_dx10_clamp 1
		.amdhsa_ieee_mode 1
		.amdhsa_fp16_overflow 0
		.amdhsa_workgroup_processor_mode 1
		.amdhsa_memory_ordered 1
		.amdhsa_forward_progress 0
		.amdhsa_shared_vgpr_count 0
		.amdhsa_exception_fp_ieee_invalid_op 0
		.amdhsa_exception_fp_denorm_src 0
		.amdhsa_exception_fp_ieee_div_zero 0
		.amdhsa_exception_fp_ieee_overflow 0
		.amdhsa_exception_fp_ieee_underflow 0
		.amdhsa_exception_fp_ieee_inexact 0
		.amdhsa_exception_int_div_zero 0
	.end_amdhsa_kernel
	.section	.text._ZN4vllm38cp_gather_indexer_k_quant_cache_kernelILi1EEEvPKcPcS3_PKiS5_illllliii,"axG",@progbits,_ZN4vllm38cp_gather_indexer_k_quant_cache_kernelILi1EEEvPKcPcS3_PKiS5_illllliii,comdat
.Lfunc_end60:
	.size	_ZN4vllm38cp_gather_indexer_k_quant_cache_kernelILi1EEEvPKcPcS3_PKiS5_illllliii, .Lfunc_end60-_ZN4vllm38cp_gather_indexer_k_quant_cache_kernelILi1EEEvPKcPcS3_PKiS5_illllliii
                                        ; -- End function
	.section	.AMDGPU.csdata,"",@progbits
; Kernel info:
; codeLenInByte = 4192
; NumSgprs: 28
; NumVgprs: 19
; ScratchSize: 0
; MemoryBound: 0
; FloatMode: 240
; IeeeMode: 1
; LDSByteSize: 4 bytes/workgroup (compile time only)
; SGPRBlocks: 3
; VGPRBlocks: 2
; NumSGPRsForWavesPerEU: 28
; NumVGPRsForWavesPerEU: 19
; Occupancy: 16
; WaveLimiterHint : 1
; COMPUTE_PGM_RSRC2:SCRATCH_EN: 0
; COMPUTE_PGM_RSRC2:USER_SGPR: 14
; COMPUTE_PGM_RSRC2:TRAP_HANDLER: 0
; COMPUTE_PGM_RSRC2:TGID_X_EN: 1
; COMPUTE_PGM_RSRC2:TGID_Y_EN: 1
; COMPUTE_PGM_RSRC2:TGID_Z_EN: 0
; COMPUTE_PGM_RSRC2:TIDIG_COMP_CNT: 1
	.section	.text._ZN4vllm38cp_gather_indexer_k_quant_cache_kernelILi2EEEvPKcPcS3_PKiS5_illllliii,"axG",@progbits,_ZN4vllm38cp_gather_indexer_k_quant_cache_kernelILi2EEEvPKcPcS3_PKiS5_illllliii,comdat
	.protected	_ZN4vllm38cp_gather_indexer_k_quant_cache_kernelILi2EEEvPKcPcS3_PKiS5_illllliii ; -- Begin function _ZN4vllm38cp_gather_indexer_k_quant_cache_kernelILi2EEEvPKcPcS3_PKiS5_illllliii
	.globl	_ZN4vllm38cp_gather_indexer_k_quant_cache_kernelILi2EEEvPKcPcS3_PKiS5_illllliii
	.p2align	8
	.type	_ZN4vllm38cp_gather_indexer_k_quant_cache_kernelILi2EEEvPKcPcS3_PKiS5_illllliii,@function
_ZN4vllm38cp_gather_indexer_k_quant_cache_kernelILi2EEEvPKcPcS3_PKiS5_illllliii: ; @_ZN4vllm38cp_gather_indexer_k_quant_cache_kernelILi2EEEvPKcPcS3_PKiS5_illllliii
; %bb.0:
	s_clause 0x1
	s_load_b64 s[12:13], s[0:1], 0x20
	s_load_b32 s5, s[0:1], 0x74
	v_and_b32_e32 v4, 0x3ff, v0
	v_bfe_u32 v2, v0, 10, 10
	s_delay_alu instid0(VALU_DEP_2) | instskip(NEXT) | instid1(VALU_DEP_2)
	v_cmp_eq_u32_e64 s2, 0, v4
	v_lshlrev_b32_e32 v5, 2, v2
	s_delay_alu instid0(VALU_DEP_2)
	s_and_saveexec_b32 s3, s2
	s_cbranch_execz .LBB61_2
; %bb.1:
	v_mov_b32_e32 v0, -1
	ds_store_b32 v5, v0
.LBB61_2:
	s_or_b32 exec_lo, exec_lo, s3
	s_waitcnt lgkmcnt(0)
	s_and_b32 s3, s5, 0xffff
	s_load_b32 s4, s[0:1], 0x28
	v_cvt_f32_u32_e32 v0, s3
	s_sub_i32 s7, 0, s3
	s_lshr_b32 s5, s5, 16
	s_waitcnt lgkmcnt(0)
	s_barrier
	v_rcp_iflag_f32_e32 v0, v0
	buffer_gl0_inv
	v_mul_f32_e32 v0, 0x4f7ffffe, v0
	s_add_i32 s8, s4, s3
	s_delay_alu instid0(VALU_DEP_1) | instskip(SKIP_1) | instid1(SALU_CYCLE_1)
	v_cvt_u32_f32_e32 v0, v0
	s_add_i32 s8, s8, -1
	s_abs_i32 s9, s8
	s_ashr_i32 s8, s8, 31
	s_delay_alu instid0(VALU_DEP_1) | instskip(SKIP_1) | instid1(VALU_DEP_2)
	v_readfirstlane_b32 s6, v0
	v_mad_u64_u32 v[0:1], null, s14, s5, v[2:3]
	s_mul_i32 s7, s7, s6
	s_delay_alu instid0(SALU_CYCLE_1) | instskip(NEXT) | instid1(SALU_CYCLE_1)
	s_mul_hi_u32 s7, s6, s7
	s_add_i32 s6, s6, s7
	s_delay_alu instid0(SALU_CYCLE_1) | instskip(NEXT) | instid1(SALU_CYCLE_1)
	s_mul_hi_u32 s6, s9, s6
	s_mul_i32 s7, s6, s3
	s_delay_alu instid0(SALU_CYCLE_1)
	s_sub_i32 s7, s9, s7
	s_add_i32 s9, s6, 1
	s_sub_i32 s10, s7, s3
	s_cmp_ge_u32 s7, s3
	s_cselect_b32 s6, s9, s6
	s_cselect_b32 s7, s10, s7
	s_add_i32 s9, s6, 1
	s_cmp_ge_u32 s7, s3
	s_cselect_b32 s6, s9, s6
	s_delay_alu instid0(SALU_CYCLE_1) | instskip(NEXT) | instid1(SALU_CYCLE_1)
	s_xor_b32 s5, s6, s8
	s_sub_i32 s5, s5, s8
	s_delay_alu instid0(SALU_CYCLE_1)
	s_cmp_lt_i32 s5, 1
	s_cbranch_scc1 .LBB61_9
; %bb.3:
	v_mov_b32_e32 v1, v4
	s_set_inst_prefetch_distance 0x1
	s_branch .LBB61_5
	.p2align	6
.LBB61_4:                               ;   in Loop: Header=BB61_5 Depth=1
	s_or_b32 exec_lo, exec_lo, s6
	v_add_nc_u32_e32 v1, s3, v1
	s_add_i32 s5, s5, -1
	s_delay_alu instid0(SALU_CYCLE_1)
	s_cmp_eq_u32 s5, 0
	s_cbranch_scc1 .LBB61_9
.LBB61_5:                               ; =>This Inner Loop Header: Depth=1
	s_mov_b32 s6, exec_lo
	s_delay_alu instid0(VALU_DEP_1)
	v_cmpx_gt_i32_e64 s4, v1
	s_cbranch_execz .LBB61_4
; %bb.6:                                ;   in Loop: Header=BB61_5 Depth=1
	v_ashrrev_i32_e32 v2, 31, v1
	s_delay_alu instid0(VALU_DEP_1) | instskip(NEXT) | instid1(VALU_DEP_1)
	v_lshlrev_b64 v[2:3], 2, v[1:2]
	v_add_co_u32 v2, vcc_lo, s12, v2
	s_delay_alu instid0(VALU_DEP_2)
	v_add_co_ci_u32_e32 v3, vcc_lo, s13, v3, vcc_lo
	global_load_b32 v6, v[2:3], off
	s_waitcnt vmcnt(0)
	v_cmp_ge_i32_e32 vcc_lo, v0, v6
	s_and_b32 exec_lo, exec_lo, vcc_lo
	s_cbranch_execz .LBB61_4
; %bb.7:                                ;   in Loop: Header=BB61_5 Depth=1
	global_load_b32 v2, v[2:3], off offset:4
	s_waitcnt vmcnt(0)
	v_cmp_lt_i32_e32 vcc_lo, v0, v2
	s_and_b32 exec_lo, exec_lo, vcc_lo
	s_cbranch_execz .LBB61_4
; %bb.8:                                ;   in Loop: Header=BB61_5 Depth=1
	ds_store_b32 v5, v1
	s_branch .LBB61_4
.LBB61_9:
	s_set_inst_prefetch_distance 0x2
	s_load_b128 s[8:11], s[0:1], 0x30
	s_mul_i32 s15, s15, s3
	s_waitcnt lgkmcnt(0)
	v_add_lshl_u32 v3, s15, v4, 4
	s_barrier
	buffer_gl0_inv
	s_mov_b32 s3, exec_lo
	v_ashrrev_i32_e32 v4, 31, v3
	s_delay_alu instid0(VALU_DEP_1)
	v_cmpx_gt_i64_e64 s[10:11], v[3:4]
	s_cbranch_execz .LBB61_25
; %bb.10:
	s_load_b128 s[4:7], s[0:1], 0x58
	ds_load_b32 v1, v5
	s_waitcnt lgkmcnt(0)
	v_cmp_gt_i32_e32 vcc_lo, s5, v0
	v_cmp_lt_i32_e64 s3, -1, v1
	s_delay_alu instid0(VALU_DEP_1) | instskip(NEXT) | instid1(SALU_CYCLE_1)
	s_and_b32 s3, vcc_lo, s3
	s_and_b32 exec_lo, exec_lo, s3
	s_cbranch_execz .LBB61_25
; %bb.11:
	v_mov_b32_e32 v2, 0
	s_delay_alu instid0(VALU_DEP_1) | instskip(NEXT) | instid1(VALU_DEP_1)
	v_lshlrev_b64 v[5:6], 2, v[1:2]
	v_add_co_u32 v5, vcc_lo, s12, v5
	s_delay_alu instid0(VALU_DEP_2)
	v_add_co_ci_u32_e32 v6, vcc_lo, s13, v6, vcc_lo
	global_load_b32 v5, v[5:6], off
	s_clause 0x3
	s_load_b64 s[16:17], s[0:1], 0x50
	s_load_b64 s[18:19], s[0:1], 0x40
	s_load_b128 s[12:15], s[0:1], 0x0
	s_load_b64 s[20:21], s[0:1], 0x18
	s_waitcnt vmcnt(0)
	v_sub_nc_u32_e32 v7, v0, v5
	v_mov_b32_e32 v5, v2
	s_delay_alu instid0(VALU_DEP_2) | instskip(SKIP_1) | instid1(VALU_DEP_1)
	v_ashrrev_i32_e32 v8, 31, v7
	s_waitcnt lgkmcnt(0)
	v_or_b32_e32 v6, s17, v8
	s_delay_alu instid0(VALU_DEP_1) | instskip(SKIP_1) | instid1(SALU_CYCLE_1)
	v_cmp_ne_u64_e32 vcc_lo, 0, v[5:6]
                                        ; implicit-def: $vgpr5_vgpr6
	s_and_saveexec_b32 s3, vcc_lo
	s_xor_b32 s5, exec_lo, s3
	s_cbranch_execz .LBB61_13
; %bb.12:
	s_ashr_i32 s22, s17, 31
	s_delay_alu instid0(SALU_CYCLE_1) | instskip(SKIP_2) | instid1(SALU_CYCLE_1)
	s_add_u32 s24, s16, s22
	s_mov_b32 s23, s22
	s_addc_u32 s25, s17, s22
	s_xor_b64 s[24:25], s[24:25], s[22:23]
	s_delay_alu instid0(SALU_CYCLE_1) | instskip(SKIP_3) | instid1(VALU_DEP_1)
	v_cvt_f32_u32_e32 v2, s24
	v_cvt_f32_u32_e32 v5, s25
	s_sub_u32 s3, 0, s24
	s_subb_u32 s7, 0, s25
	v_fmamk_f32 v2, v5, 0x4f800000, v2
	s_delay_alu instid0(VALU_DEP_1) | instskip(SKIP_2) | instid1(VALU_DEP_1)
	v_rcp_f32_e32 v2, v2
	s_waitcnt_depctr 0xfff
	v_mul_f32_e32 v2, 0x5f7ffffc, v2
	v_mul_f32_e32 v5, 0x2f800000, v2
	s_delay_alu instid0(VALU_DEP_1) | instskip(NEXT) | instid1(VALU_DEP_1)
	v_trunc_f32_e32 v5, v5
	v_fmamk_f32 v2, v5, 0xcf800000, v2
	v_cvt_u32_f32_e32 v5, v5
	s_delay_alu instid0(VALU_DEP_2) | instskip(NEXT) | instid1(VALU_DEP_2)
	v_cvt_u32_f32_e32 v2, v2
	v_mul_lo_u32 v6, s3, v5
	s_delay_alu instid0(VALU_DEP_2) | instskip(SKIP_1) | instid1(VALU_DEP_2)
	v_mul_hi_u32 v9, s3, v2
	v_mul_lo_u32 v10, s7, v2
	v_add_nc_u32_e32 v6, v9, v6
	v_mul_lo_u32 v9, s3, v2
	s_delay_alu instid0(VALU_DEP_2) | instskip(NEXT) | instid1(VALU_DEP_2)
	v_add_nc_u32_e32 v6, v6, v10
	v_mul_hi_u32 v10, v2, v9
	s_delay_alu instid0(VALU_DEP_2)
	v_mul_lo_u32 v11, v2, v6
	v_mul_hi_u32 v12, v2, v6
	v_mul_hi_u32 v13, v5, v9
	v_mul_lo_u32 v9, v5, v9
	v_mul_hi_u32 v14, v5, v6
	v_mul_lo_u32 v6, v5, v6
	v_add_co_u32 v10, vcc_lo, v10, v11
	v_add_co_ci_u32_e32 v11, vcc_lo, 0, v12, vcc_lo
	s_delay_alu instid0(VALU_DEP_2) | instskip(NEXT) | instid1(VALU_DEP_2)
	v_add_co_u32 v9, vcc_lo, v10, v9
	v_add_co_ci_u32_e32 v9, vcc_lo, v11, v13, vcc_lo
	v_add_co_ci_u32_e32 v10, vcc_lo, 0, v14, vcc_lo
	v_mov_b32_e32 v13, v8
	s_delay_alu instid0(VALU_DEP_3) | instskip(NEXT) | instid1(VALU_DEP_3)
	v_add_co_u32 v6, vcc_lo, v9, v6
	v_add_co_ci_u32_e32 v9, vcc_lo, 0, v10, vcc_lo
	v_mov_b32_e32 v14, v8
	s_delay_alu instid0(VALU_DEP_3) | instskip(NEXT) | instid1(VALU_DEP_3)
	v_add_co_u32 v2, vcc_lo, v2, v6
	v_add_co_ci_u32_e32 v5, vcc_lo, v5, v9, vcc_lo
	s_delay_alu instid0(VALU_DEP_2) | instskip(SKIP_1) | instid1(VALU_DEP_3)
	v_mul_hi_u32 v6, s3, v2
	v_mul_lo_u32 v10, s7, v2
	v_mul_lo_u32 v9, s3, v5
	s_delay_alu instid0(VALU_DEP_1) | instskip(SKIP_1) | instid1(VALU_DEP_2)
	v_add_nc_u32_e32 v6, v6, v9
	v_mul_lo_u32 v9, s3, v2
	v_add_nc_u32_e32 v6, v6, v10
	s_delay_alu instid0(VALU_DEP_2) | instskip(NEXT) | instid1(VALU_DEP_2)
	v_mul_hi_u32 v10, v2, v9
	v_mul_lo_u32 v11, v2, v6
	v_mul_hi_u32 v12, v2, v6
	v_mul_hi_u32 v15, v5, v9
	v_mul_lo_u32 v9, v5, v9
	v_mul_hi_u32 v16, v5, v6
	v_mul_lo_u32 v6, v5, v6
	v_add_co_u32 v10, vcc_lo, v10, v11
	v_add_co_ci_u32_e32 v11, vcc_lo, 0, v12, vcc_lo
	s_delay_alu instid0(VALU_DEP_2) | instskip(NEXT) | instid1(VALU_DEP_2)
	v_add_co_u32 v9, vcc_lo, v10, v9
	v_add_co_ci_u32_e32 v9, vcc_lo, v11, v15, vcc_lo
	v_add_co_ci_u32_e32 v10, vcc_lo, 0, v16, vcc_lo
	v_add_co_u32 v11, vcc_lo, v7, v13
	v_add_co_ci_u32_e32 v12, vcc_lo, v8, v14, vcc_lo
	s_delay_alu instid0(VALU_DEP_4) | instskip(NEXT) | instid1(VALU_DEP_4)
	v_add_co_u32 v6, vcc_lo, v9, v6
	v_add_co_ci_u32_e32 v9, vcc_lo, 0, v10, vcc_lo
	s_delay_alu instid0(VALU_DEP_4) | instskip(NEXT) | instid1(VALU_DEP_3)
	v_xor_b32_e32 v15, v11, v13
	v_add_co_u32 v2, vcc_lo, v2, v6
	s_delay_alu instid0(VALU_DEP_3) | instskip(SKIP_1) | instid1(VALU_DEP_3)
	v_add_co_ci_u32_e32 v16, vcc_lo, v5, v9, vcc_lo
	v_xor_b32_e32 v17, v12, v14
	v_mul_hi_u32 v18, v15, v2
	s_delay_alu instid0(VALU_DEP_3) | instskip(NEXT) | instid1(VALU_DEP_3)
	v_mad_u64_u32 v[5:6], null, v15, v16, 0
	v_mad_u64_u32 v[9:10], null, v17, v2, 0
	;; [unrolled: 1-line block ×3, first 2 shown]
	s_delay_alu instid0(VALU_DEP_3) | instskip(NEXT) | instid1(VALU_DEP_4)
	v_add_co_u32 v2, vcc_lo, v18, v5
	v_add_co_ci_u32_e32 v5, vcc_lo, 0, v6, vcc_lo
	s_delay_alu instid0(VALU_DEP_2) | instskip(NEXT) | instid1(VALU_DEP_2)
	v_add_co_u32 v2, vcc_lo, v2, v9
	v_add_co_ci_u32_e32 v2, vcc_lo, v5, v10, vcc_lo
	v_add_co_ci_u32_e32 v5, vcc_lo, 0, v12, vcc_lo
	s_delay_alu instid0(VALU_DEP_2) | instskip(NEXT) | instid1(VALU_DEP_2)
	v_add_co_u32 v2, vcc_lo, v2, v11
	v_add_co_ci_u32_e32 v9, vcc_lo, 0, v5, vcc_lo
	s_delay_alu instid0(VALU_DEP_2) | instskip(SKIP_1) | instid1(VALU_DEP_3)
	v_mul_lo_u32 v10, s25, v2
	v_mad_u64_u32 v[5:6], null, s24, v2, 0
	v_mul_lo_u32 v11, s24, v9
	s_delay_alu instid0(VALU_DEP_2) | instskip(NEXT) | instid1(VALU_DEP_2)
	v_sub_co_u32 v5, vcc_lo, v15, v5
	v_add3_u32 v6, v6, v11, v10
	s_delay_alu instid0(VALU_DEP_1) | instskip(NEXT) | instid1(VALU_DEP_1)
	v_sub_nc_u32_e32 v10, v17, v6
	v_subrev_co_ci_u32_e64 v10, s3, s25, v10, vcc_lo
	v_add_co_u32 v11, s3, v2, 2
	s_delay_alu instid0(VALU_DEP_1) | instskip(SKIP_3) | instid1(VALU_DEP_3)
	v_add_co_ci_u32_e64 v12, s3, 0, v9, s3
	v_sub_co_u32 v15, s3, v5, s24
	v_sub_co_ci_u32_e32 v6, vcc_lo, v17, v6, vcc_lo
	v_subrev_co_ci_u32_e64 v10, s3, 0, v10, s3
	v_cmp_le_u32_e32 vcc_lo, s24, v15
	s_delay_alu instid0(VALU_DEP_3) | instskip(SKIP_1) | instid1(VALU_DEP_4)
	v_cmp_eq_u32_e64 s3, s25, v6
	v_cndmask_b32_e64 v15, 0, -1, vcc_lo
	v_cmp_le_u32_e32 vcc_lo, s25, v10
	v_cndmask_b32_e64 v16, 0, -1, vcc_lo
	v_cmp_le_u32_e32 vcc_lo, s24, v5
	;; [unrolled: 2-line block ×3, first 2 shown]
	v_cndmask_b32_e64 v17, 0, -1, vcc_lo
	v_cmp_eq_u32_e32 vcc_lo, s25, v10
	s_delay_alu instid0(VALU_DEP_2) | instskip(SKIP_3) | instid1(VALU_DEP_3)
	v_cndmask_b32_e64 v5, v17, v5, s3
	v_cndmask_b32_e32 v10, v16, v15, vcc_lo
	v_add_co_u32 v15, vcc_lo, v2, 1
	v_add_co_ci_u32_e32 v16, vcc_lo, 0, v9, vcc_lo
	v_cmp_ne_u32_e32 vcc_lo, 0, v10
	s_delay_alu instid0(VALU_DEP_2) | instskip(NEXT) | instid1(VALU_DEP_4)
	v_cndmask_b32_e32 v6, v16, v12, vcc_lo
	v_cndmask_b32_e32 v10, v15, v11, vcc_lo
	v_cmp_ne_u32_e32 vcc_lo, 0, v5
	v_xor_b32_e32 v5, s22, v13
	s_delay_alu instid0(VALU_DEP_3) | instskip(SKIP_2) | instid1(VALU_DEP_3)
	v_cndmask_b32_e32 v2, v2, v10, vcc_lo
	v_cndmask_b32_e32 v6, v9, v6, vcc_lo
	v_xor_b32_e32 v9, s22, v14
	v_xor_b32_e32 v2, v2, v5
	s_delay_alu instid0(VALU_DEP_2) | instskip(NEXT) | instid1(VALU_DEP_2)
	v_xor_b32_e32 v6, v6, v9
	v_sub_co_u32 v5, vcc_lo, v2, v5
	s_delay_alu instid0(VALU_DEP_2)
	v_sub_co_ci_u32_e32 v6, vcc_lo, v6, v9, vcc_lo
.LBB61_13:
	s_and_not1_saveexec_b32 s3, s5
	s_cbranch_execz .LBB61_15
; %bb.14:
	v_cvt_f32_u32_e32 v2, s16
	s_sub_i32 s5, 0, s16
	s_delay_alu instid0(VALU_DEP_1) | instskip(SKIP_2) | instid1(VALU_DEP_1)
	v_rcp_iflag_f32_e32 v2, v2
	s_waitcnt_depctr 0xfff
	v_mul_f32_e32 v2, 0x4f7ffffe, v2
	v_cvt_u32_f32_e32 v2, v2
	s_delay_alu instid0(VALU_DEP_1) | instskip(NEXT) | instid1(VALU_DEP_1)
	v_mul_lo_u32 v5, s5, v2
	v_mul_hi_u32 v5, v2, v5
	s_delay_alu instid0(VALU_DEP_1) | instskip(NEXT) | instid1(VALU_DEP_1)
	v_add_nc_u32_e32 v2, v2, v5
	v_mul_hi_u32 v2, v7, v2
	s_delay_alu instid0(VALU_DEP_1) | instskip(SKIP_1) | instid1(VALU_DEP_2)
	v_mul_lo_u32 v5, v2, s16
	v_add_nc_u32_e32 v6, 1, v2
	v_sub_nc_u32_e32 v5, v7, v5
	s_delay_alu instid0(VALU_DEP_1) | instskip(SKIP_1) | instid1(VALU_DEP_2)
	v_subrev_nc_u32_e32 v9, s16, v5
	v_cmp_le_u32_e32 vcc_lo, s16, v5
	v_dual_cndmask_b32 v5, v5, v9 :: v_dual_cndmask_b32 v2, v2, v6
	s_delay_alu instid0(VALU_DEP_1) | instskip(NEXT) | instid1(VALU_DEP_2)
	v_cmp_le_u32_e32 vcc_lo, s16, v5
	v_add_nc_u32_e32 v6, 1, v2
	s_delay_alu instid0(VALU_DEP_1)
	v_dual_cndmask_b32 v5, v2, v6 :: v_dual_mov_b32 v6, 0
.LBB61_15:
	s_or_b32 exec_lo, exec_lo, s3
	v_mul_lo_u32 v1, v1, s4
	s_delay_alu instid0(VALU_DEP_2) | instskip(SKIP_2) | instid1(VALU_DEP_3)
	v_lshlrev_b64 v[9:10], 2, v[5:6]
	v_mul_lo_u32 v6, v6, s16
	v_ashrrev_i32_e32 v13, 31, v0
	v_add_co_u32 v9, vcc_lo, s20, v9
	v_ashrrev_i32_e32 v2, 31, v1
	v_add_co_ci_u32_e32 v10, vcc_lo, s21, v10, vcc_lo
	s_delay_alu instid0(VALU_DEP_2) | instskip(NEXT) | instid1(VALU_DEP_1)
	v_lshlrev_b64 v[1:2], 2, v[1:2]
	v_add_co_u32 v1, vcc_lo, v9, v1
	s_delay_alu instid0(VALU_DEP_2) | instskip(SKIP_3) | instid1(VALU_DEP_1)
	v_add_co_ci_u32_e32 v2, vcc_lo, v10, v2, vcc_lo
	v_mul_lo_u32 v10, v5, s17
	global_load_b32 v9, v[1:2], off
	v_mad_u64_u32 v[1:2], null, v5, s16, 0
	v_add3_u32 v2, v2, v10, v6
	s_delay_alu instid0(VALU_DEP_2) | instskip(NEXT) | instid1(VALU_DEP_2)
	v_sub_co_u32 v1, vcc_lo, v7, v1
	v_sub_co_ci_u32_e32 v2, vcc_lo, v8, v2, vcc_lo
	s_delay_alu instid0(VALU_DEP_2) | instskip(SKIP_1) | instid1(VALU_DEP_3)
	v_mul_lo_u32 v10, v1, s11
	v_mad_u64_u32 v[7:8], null, v1, s10, v[3:4]
	v_mul_lo_u32 v2, v2, s10
	s_delay_alu instid0(VALU_DEP_1) | instskip(SKIP_4) | instid1(VALU_DEP_3)
	v_add3_u32 v8, v2, v8, v10
	s_waitcnt vmcnt(0)
	v_ashrrev_i32_e32 v1, 31, v9
	v_mul_lo_u32 v11, v9, s19
	v_mad_u64_u32 v[5:6], null, v9, s18, 0
	v_mul_lo_u32 v1, v1, s18
	s_delay_alu instid0(VALU_DEP_1) | instskip(NEXT) | instid1(VALU_DEP_3)
	v_add3_u32 v6, v6, v11, v1
	v_add_co_u32 v1, vcc_lo, v7, v5
	s_delay_alu instid0(VALU_DEP_2) | instskip(NEXT) | instid1(VALU_DEP_1)
	v_add_co_ci_u32_e32 v2, vcc_lo, v8, v6, vcc_lo
	v_ashrrev_i32_e32 v9, 31, v2
	s_delay_alu instid0(VALU_DEP_1) | instskip(NEXT) | instid1(VALU_DEP_1)
	v_lshrrev_b32_e32 v9, 28, v9
	v_add_co_u32 v1, vcc_lo, v1, v9
	v_add_co_ci_u32_e32 v2, vcc_lo, 0, v2, vcc_lo
	s_delay_alu instid0(VALU_DEP_2) | instskip(NEXT) | instid1(VALU_DEP_1)
	v_and_b32_e32 v1, -16, v1
	v_add_co_u32 v1, vcc_lo, s12, v1
	s_delay_alu instid0(VALU_DEP_3) | instskip(SKIP_4) | instid1(VALU_DEP_1)
	v_add_co_ci_u32_e32 v2, vcc_lo, s13, v2, vcc_lo
	global_load_b128 v[9:12], v[1:2], off
	v_mad_u64_u32 v[1:2], null, v0, s8, v[3:4]
	v_mul_lo_u32 v0, v0, s9
	v_mul_lo_u32 v3, v13, s8
	v_add3_u32 v2, v3, v2, v0
	s_delay_alu instid0(VALU_DEP_1) | instskip(NEXT) | instid1(VALU_DEP_1)
	v_ashrrev_i32_e32 v0, 31, v2
	v_lshrrev_b32_e32 v0, 28, v0
	s_delay_alu instid0(VALU_DEP_1) | instskip(SKIP_1) | instid1(VALU_DEP_2)
	v_add_co_u32 v0, vcc_lo, v1, v0
	v_add_co_ci_u32_e32 v4, vcc_lo, 0, v2, vcc_lo
	v_and_b32_e32 v0, -16, v0
	s_delay_alu instid0(VALU_DEP_1) | instskip(NEXT) | instid1(VALU_DEP_3)
	v_add_co_u32 v3, vcc_lo, s14, v0
	v_add_co_ci_u32_e32 v4, vcc_lo, s15, v4, vcc_lo
	s_waitcnt vmcnt(0)
	global_store_b128 v[3:4], v[9:12], off
	s_and_b32 exec_lo, exec_lo, s2
	s_cbranch_execz .LBB61_25
; %bb.16:
	v_lshlrev_b64 v[3:4], 2, v[7:8]
	s_ashr_i32 s7, s6, 31
	v_mov_b32_e32 v7, 0
	s_delay_alu instid0(VALU_DEP_2) | instskip(NEXT) | instid1(VALU_DEP_1)
	v_or_b32_e32 v8, s7, v4
	v_cmp_ne_u64_e32 vcc_lo, 0, v[7:8]
                                        ; implicit-def: $vgpr7_vgpr8
	s_and_saveexec_b32 s2, vcc_lo
	s_delay_alu instid0(SALU_CYCLE_1)
	s_xor_b32 s3, exec_lo, s2
	s_cbranch_execz .LBB61_18
; %bb.17:
	s_add_u32 s8, s6, s7
	s_mov_b32 s4, s7
	s_mov_b32 s5, s7
	s_addc_u32 s9, s7, s7
	s_delay_alu instid0(SALU_CYCLE_1) | instskip(NEXT) | instid1(SALU_CYCLE_1)
	s_xor_b64 s[8:9], s[8:9], s[4:5]
	v_cvt_f32_u32_e32 v0, s8
	v_cvt_f32_u32_e32 v7, s9
	s_sub_u32 s2, 0, s8
	s_subb_u32 s14, 0, s9
	s_delay_alu instid0(VALU_DEP_1) | instskip(NEXT) | instid1(VALU_DEP_1)
	v_fmamk_f32 v0, v7, 0x4f800000, v0
	v_rcp_f32_e32 v0, v0
	s_waitcnt_depctr 0xfff
	v_mul_f32_e32 v0, 0x5f7ffffc, v0
	s_delay_alu instid0(VALU_DEP_1) | instskip(NEXT) | instid1(VALU_DEP_1)
	v_mul_f32_e32 v7, 0x2f800000, v0
	v_trunc_f32_e32 v7, v7
	s_delay_alu instid0(VALU_DEP_1) | instskip(SKIP_1) | instid1(VALU_DEP_2)
	v_fmamk_f32 v0, v7, 0xcf800000, v0
	v_cvt_u32_f32_e32 v7, v7
	v_cvt_u32_f32_e32 v0, v0
	s_delay_alu instid0(VALU_DEP_2) | instskip(NEXT) | instid1(VALU_DEP_2)
	v_mul_lo_u32 v8, s2, v7
	v_mul_hi_u32 v9, s2, v0
	v_mul_lo_u32 v10, s14, v0
	s_delay_alu instid0(VALU_DEP_2) | instskip(SKIP_1) | instid1(VALU_DEP_2)
	v_add_nc_u32_e32 v8, v9, v8
	v_mul_lo_u32 v9, s2, v0
	v_add_nc_u32_e32 v8, v8, v10
	s_delay_alu instid0(VALU_DEP_2) | instskip(NEXT) | instid1(VALU_DEP_2)
	v_mul_hi_u32 v10, v0, v9
	v_mul_lo_u32 v11, v0, v8
	v_mul_hi_u32 v12, v0, v8
	v_mul_hi_u32 v13, v7, v9
	v_mul_lo_u32 v9, v7, v9
	v_mul_hi_u32 v14, v7, v8
	v_mul_lo_u32 v8, v7, v8
	v_add_co_u32 v10, vcc_lo, v10, v11
	v_add_co_ci_u32_e32 v11, vcc_lo, 0, v12, vcc_lo
	s_delay_alu instid0(VALU_DEP_2) | instskip(NEXT) | instid1(VALU_DEP_2)
	v_add_co_u32 v9, vcc_lo, v10, v9
	v_add_co_ci_u32_e32 v9, vcc_lo, v11, v13, vcc_lo
	v_add_co_ci_u32_e32 v10, vcc_lo, 0, v14, vcc_lo
	v_ashrrev_i32_e32 v13, 31, v4
	s_delay_alu instid0(VALU_DEP_3) | instskip(NEXT) | instid1(VALU_DEP_3)
	v_add_co_u32 v8, vcc_lo, v9, v8
	v_add_co_ci_u32_e32 v9, vcc_lo, 0, v10, vcc_lo
	s_delay_alu instid0(VALU_DEP_2) | instskip(NEXT) | instid1(VALU_DEP_2)
	v_add_co_u32 v0, vcc_lo, v0, v8
	v_add_co_ci_u32_e32 v7, vcc_lo, v7, v9, vcc_lo
	s_delay_alu instid0(VALU_DEP_2) | instskip(SKIP_1) | instid1(VALU_DEP_3)
	v_mul_hi_u32 v8, s2, v0
	v_mul_lo_u32 v10, s14, v0
	v_mul_lo_u32 v9, s2, v7
	s_delay_alu instid0(VALU_DEP_1) | instskip(SKIP_1) | instid1(VALU_DEP_2)
	v_add_nc_u32_e32 v8, v8, v9
	v_mul_lo_u32 v9, s2, v0
	v_add_nc_u32_e32 v8, v8, v10
	s_delay_alu instid0(VALU_DEP_2) | instskip(NEXT) | instid1(VALU_DEP_2)
	v_mul_hi_u32 v10, v0, v9
	v_mul_lo_u32 v11, v0, v8
	v_mul_hi_u32 v12, v0, v8
	v_mul_hi_u32 v14, v7, v9
	v_mul_lo_u32 v9, v7, v9
	v_mul_hi_u32 v15, v7, v8
	v_mul_lo_u32 v8, v7, v8
	v_add_co_u32 v10, vcc_lo, v10, v11
	v_add_co_ci_u32_e32 v11, vcc_lo, 0, v12, vcc_lo
	s_delay_alu instid0(VALU_DEP_2) | instskip(NEXT) | instid1(VALU_DEP_2)
	v_add_co_u32 v9, vcc_lo, v10, v9
	v_add_co_ci_u32_e32 v9, vcc_lo, v11, v14, vcc_lo
	v_add_co_ci_u32_e32 v10, vcc_lo, 0, v15, vcc_lo
	v_add_co_u32 v3, vcc_lo, v3, v13
	v_add_co_ci_u32_e32 v4, vcc_lo, v4, v13, vcc_lo
	s_delay_alu instid0(VALU_DEP_4) | instskip(NEXT) | instid1(VALU_DEP_4)
	v_add_co_u32 v8, vcc_lo, v9, v8
	v_add_co_ci_u32_e32 v9, vcc_lo, 0, v10, vcc_lo
	s_delay_alu instid0(VALU_DEP_4) | instskip(NEXT) | instid1(VALU_DEP_3)
	v_xor_b32_e32 v11, v3, v13
	v_add_co_u32 v0, vcc_lo, v0, v8
	s_delay_alu instid0(VALU_DEP_3) | instskip(SKIP_1) | instid1(VALU_DEP_3)
	v_add_co_ci_u32_e32 v12, vcc_lo, v7, v9, vcc_lo
	v_xor_b32_e32 v14, v4, v13
	v_mul_hi_u32 v15, v11, v0
	s_delay_alu instid0(VALU_DEP_3) | instskip(NEXT) | instid1(VALU_DEP_3)
	v_mad_u64_u32 v[3:4], null, v11, v12, 0
	v_mad_u64_u32 v[7:8], null, v14, v0, 0
	;; [unrolled: 1-line block ×3, first 2 shown]
	s_delay_alu instid0(VALU_DEP_3) | instskip(NEXT) | instid1(VALU_DEP_4)
	v_add_co_u32 v0, vcc_lo, v15, v3
	v_add_co_ci_u32_e32 v3, vcc_lo, 0, v4, vcc_lo
	s_delay_alu instid0(VALU_DEP_2) | instskip(NEXT) | instid1(VALU_DEP_2)
	v_add_co_u32 v0, vcc_lo, v0, v7
	v_add_co_ci_u32_e32 v0, vcc_lo, v3, v8, vcc_lo
	v_add_co_ci_u32_e32 v3, vcc_lo, 0, v10, vcc_lo
	s_delay_alu instid0(VALU_DEP_2) | instskip(NEXT) | instid1(VALU_DEP_2)
	v_add_co_u32 v0, vcc_lo, v0, v9
	v_add_co_ci_u32_e32 v7, vcc_lo, 0, v3, vcc_lo
	s_delay_alu instid0(VALU_DEP_2) | instskip(SKIP_1) | instid1(VALU_DEP_3)
	v_mul_lo_u32 v8, s9, v0
	v_mad_u64_u32 v[3:4], null, s8, v0, 0
	v_mul_lo_u32 v9, s8, v7
	s_delay_alu instid0(VALU_DEP_2) | instskip(NEXT) | instid1(VALU_DEP_2)
	v_sub_co_u32 v3, vcc_lo, v11, v3
	v_add3_u32 v4, v4, v9, v8
	s_delay_alu instid0(VALU_DEP_1) | instskip(NEXT) | instid1(VALU_DEP_1)
	v_sub_nc_u32_e32 v8, v14, v4
	v_subrev_co_ci_u32_e64 v8, s2, s9, v8, vcc_lo
	v_add_co_u32 v9, s2, v0, 2
	s_delay_alu instid0(VALU_DEP_1) | instskip(SKIP_3) | instid1(VALU_DEP_3)
	v_add_co_ci_u32_e64 v10, s2, 0, v7, s2
	v_sub_co_u32 v11, s2, v3, s8
	v_sub_co_ci_u32_e32 v4, vcc_lo, v14, v4, vcc_lo
	v_subrev_co_ci_u32_e64 v8, s2, 0, v8, s2
	v_cmp_le_u32_e32 vcc_lo, s8, v11
	s_delay_alu instid0(VALU_DEP_3) | instskip(SKIP_1) | instid1(VALU_DEP_4)
	v_cmp_eq_u32_e64 s2, s9, v4
	v_cndmask_b32_e64 v11, 0, -1, vcc_lo
	v_cmp_le_u32_e32 vcc_lo, s9, v8
	v_cndmask_b32_e64 v12, 0, -1, vcc_lo
	v_cmp_le_u32_e32 vcc_lo, s8, v3
	;; [unrolled: 2-line block ×3, first 2 shown]
	v_cndmask_b32_e64 v14, 0, -1, vcc_lo
	v_cmp_eq_u32_e32 vcc_lo, s9, v8
	s_delay_alu instid0(VALU_DEP_2) | instskip(SKIP_3) | instid1(VALU_DEP_3)
	v_cndmask_b32_e64 v3, v14, v3, s2
	v_cndmask_b32_e32 v8, v12, v11, vcc_lo
	v_add_co_u32 v11, vcc_lo, v0, 1
	v_add_co_ci_u32_e32 v12, vcc_lo, 0, v7, vcc_lo
	v_cmp_ne_u32_e32 vcc_lo, 0, v8
	s_delay_alu instid0(VALU_DEP_2) | instskip(NEXT) | instid1(VALU_DEP_4)
	v_cndmask_b32_e32 v4, v12, v10, vcc_lo
	v_cndmask_b32_e32 v8, v11, v9, vcc_lo
	v_cmp_ne_u32_e32 vcc_lo, 0, v3
	v_xor_b32_e32 v3, s4, v13
	s_delay_alu instid0(VALU_DEP_3) | instskip(SKIP_2) | instid1(VALU_DEP_3)
	v_cndmask_b32_e32 v0, v0, v8, vcc_lo
	v_cndmask_b32_e32 v4, v7, v4, vcc_lo
	v_xor_b32_e32 v8, s5, v13
	v_xor_b32_e32 v0, v0, v3
	s_delay_alu instid0(VALU_DEP_2) | instskip(NEXT) | instid1(VALU_DEP_2)
	v_xor_b32_e32 v4, v4, v8
	v_sub_co_u32 v7, vcc_lo, v0, v3
	s_delay_alu instid0(VALU_DEP_2)
	v_sub_co_ci_u32_e32 v8, vcc_lo, v4, v8, vcc_lo
                                        ; implicit-def: $vgpr3_vgpr4
.LBB61_18:
	s_or_saveexec_b32 s2, s3
	v_cvt_f32_u32_e32 v9, s6
	s_xor_b32 exec_lo, exec_lo, s2
	s_cbranch_execz .LBB61_20
; %bb.19:
	s_delay_alu instid0(VALU_DEP_1) | instskip(SKIP_4) | instid1(VALU_DEP_1)
	v_rcp_iflag_f32_e32 v0, v9
	s_sub_i32 s3, 0, s6
	v_mov_b32_e32 v8, 0
	s_waitcnt_depctr 0xfff
	v_mul_f32_e32 v0, 0x4f7ffffe, v0
	v_cvt_u32_f32_e32 v0, v0
	s_delay_alu instid0(VALU_DEP_1) | instskip(NEXT) | instid1(VALU_DEP_1)
	v_mul_lo_u32 v4, s3, v0
	v_mul_hi_u32 v4, v0, v4
	s_delay_alu instid0(VALU_DEP_1) | instskip(NEXT) | instid1(VALU_DEP_1)
	v_add_nc_u32_e32 v0, v0, v4
	v_mul_hi_u32 v0, v3, v0
	s_delay_alu instid0(VALU_DEP_1) | instskip(NEXT) | instid1(VALU_DEP_1)
	v_mul_lo_u32 v4, v0, s6
	v_sub_nc_u32_e32 v3, v3, v4
	v_add_nc_u32_e32 v4, 1, v0
	s_delay_alu instid0(VALU_DEP_2) | instskip(SKIP_1) | instid1(VALU_DEP_2)
	v_subrev_nc_u32_e32 v7, s6, v3
	v_cmp_le_u32_e32 vcc_lo, s6, v3
	v_dual_cndmask_b32 v3, v3, v7 :: v_dual_cndmask_b32 v0, v0, v4
	s_delay_alu instid0(VALU_DEP_1) | instskip(NEXT) | instid1(VALU_DEP_2)
	v_cmp_le_u32_e32 vcc_lo, s6, v3
	v_add_nc_u32_e32 v4, 1, v0
	s_delay_alu instid0(VALU_DEP_1)
	v_cndmask_b32_e32 v7, v0, v4, vcc_lo
.LBB61_20:
	s_or_b32 exec_lo, exec_lo, s2
	v_mad_u64_u32 v[3:4], null, s16, s10, v[5:6]
	s_mul_i32 s2, s17, s10
	s_mul_i32 s3, s16, s11
	s_delay_alu instid0(VALU_DEP_1) | instid1(SALU_CYCLE_1)
	v_add3_u32 v0, s3, s2, v4
	s_delay_alu instid0(VALU_DEP_2) | instskip(SKIP_1) | instid1(VALU_DEP_2)
	v_add_co_u32 v3, vcc_lo, v3, v7
	s_load_b64 s[2:3], s[0:1], 0x10
	v_add_co_ci_u32_e32 v0, vcc_lo, v0, v8, vcc_lo
	s_delay_alu instid0(VALU_DEP_1) | instskip(NEXT) | instid1(VALU_DEP_1)
	v_ashrrev_i32_e32 v4, 31, v0
	v_lshrrev_b32_e32 v4, 30, v4
	s_delay_alu instid0(VALU_DEP_1) | instskip(SKIP_1) | instid1(VALU_DEP_2)
	v_add_co_u32 v3, vcc_lo, v3, v4
	v_add_co_ci_u32_e32 v0, vcc_lo, 0, v0, vcc_lo
	v_and_b32_e32 v3, -4, v3
	s_delay_alu instid0(VALU_DEP_1) | instskip(NEXT) | instid1(VALU_DEP_3)
	v_add_co_u32 v3, vcc_lo, s12, v3
	v_add_co_ci_u32_e32 v4, vcc_lo, s13, v0, vcc_lo
	global_load_b32 v0, v[3:4], off
	v_mov_b32_e32 v3, 0
	v_or_b32_e32 v4, s7, v2
	s_delay_alu instid0(VALU_DEP_1) | instskip(SKIP_1) | instid1(SALU_CYCLE_1)
	v_cmp_ne_u64_e32 vcc_lo, 0, v[3:4]
                                        ; implicit-def: $vgpr3_vgpr4
	s_and_saveexec_b32 s0, vcc_lo
	s_xor_b32 s1, exec_lo, s0
	s_cbranch_execz .LBB61_22
; %bb.21:
	s_add_u32 s8, s6, s7
	s_mov_b32 s4, s7
	s_mov_b32 s5, s7
	s_addc_u32 s9, s7, s7
	s_delay_alu instid0(SALU_CYCLE_1) | instskip(NEXT) | instid1(SALU_CYCLE_1)
	s_xor_b64 s[8:9], s[8:9], s[4:5]
	v_cvt_f32_u32_e32 v3, s8
	v_cvt_f32_u32_e32 v4, s9
	s_sub_u32 s0, 0, s8
	s_subb_u32 s7, 0, s9
	s_delay_alu instid0(VALU_DEP_1) | instskip(NEXT) | instid1(VALU_DEP_1)
	v_fmamk_f32 v3, v4, 0x4f800000, v3
	v_rcp_f32_e32 v3, v3
	s_waitcnt_depctr 0xfff
	v_mul_f32_e32 v3, 0x5f7ffffc, v3
	s_delay_alu instid0(VALU_DEP_1) | instskip(NEXT) | instid1(VALU_DEP_1)
	v_mul_f32_e32 v4, 0x2f800000, v3
	v_trunc_f32_e32 v4, v4
	s_delay_alu instid0(VALU_DEP_1) | instskip(SKIP_1) | instid1(VALU_DEP_2)
	v_fmamk_f32 v3, v4, 0xcf800000, v3
	v_cvt_u32_f32_e32 v4, v4
	v_cvt_u32_f32_e32 v3, v3
	s_delay_alu instid0(VALU_DEP_2) | instskip(NEXT) | instid1(VALU_DEP_2)
	v_mul_lo_u32 v5, s0, v4
	v_mul_hi_u32 v6, s0, v3
	v_mul_lo_u32 v7, s7, v3
	s_delay_alu instid0(VALU_DEP_2) | instskip(SKIP_1) | instid1(VALU_DEP_2)
	v_add_nc_u32_e32 v5, v6, v5
	v_mul_lo_u32 v6, s0, v3
	v_add_nc_u32_e32 v5, v5, v7
	s_delay_alu instid0(VALU_DEP_2) | instskip(NEXT) | instid1(VALU_DEP_2)
	v_mul_hi_u32 v7, v3, v6
	v_mul_lo_u32 v8, v3, v5
	v_mul_hi_u32 v9, v3, v5
	v_mul_hi_u32 v10, v4, v6
	v_mul_lo_u32 v6, v4, v6
	v_mul_hi_u32 v11, v4, v5
	v_mul_lo_u32 v5, v4, v5
	v_add_co_u32 v7, vcc_lo, v7, v8
	v_add_co_ci_u32_e32 v8, vcc_lo, 0, v9, vcc_lo
	s_delay_alu instid0(VALU_DEP_2) | instskip(NEXT) | instid1(VALU_DEP_2)
	v_add_co_u32 v6, vcc_lo, v7, v6
	v_add_co_ci_u32_e32 v6, vcc_lo, v8, v10, vcc_lo
	v_add_co_ci_u32_e32 v7, vcc_lo, 0, v11, vcc_lo
	v_ashrrev_i32_e32 v10, 31, v2
	s_delay_alu instid0(VALU_DEP_3) | instskip(NEXT) | instid1(VALU_DEP_3)
	v_add_co_u32 v5, vcc_lo, v6, v5
	v_add_co_ci_u32_e32 v6, vcc_lo, 0, v7, vcc_lo
	s_delay_alu instid0(VALU_DEP_2) | instskip(NEXT) | instid1(VALU_DEP_2)
	v_add_co_u32 v3, vcc_lo, v3, v5
	v_add_co_ci_u32_e32 v4, vcc_lo, v4, v6, vcc_lo
	s_delay_alu instid0(VALU_DEP_2) | instskip(SKIP_1) | instid1(VALU_DEP_3)
	v_mul_hi_u32 v5, s0, v3
	v_mul_lo_u32 v7, s7, v3
	v_mul_lo_u32 v6, s0, v4
	s_delay_alu instid0(VALU_DEP_1) | instskip(SKIP_1) | instid1(VALU_DEP_2)
	v_add_nc_u32_e32 v5, v5, v6
	v_mul_lo_u32 v6, s0, v3
	v_add_nc_u32_e32 v5, v5, v7
	s_delay_alu instid0(VALU_DEP_2) | instskip(NEXT) | instid1(VALU_DEP_2)
	v_mul_hi_u32 v7, v3, v6
	v_mul_lo_u32 v8, v3, v5
	v_mul_hi_u32 v9, v3, v5
	v_mul_hi_u32 v11, v4, v6
	v_mul_lo_u32 v6, v4, v6
	v_mul_hi_u32 v12, v4, v5
	v_mul_lo_u32 v5, v4, v5
	v_add_co_u32 v7, vcc_lo, v7, v8
	v_add_co_ci_u32_e32 v8, vcc_lo, 0, v9, vcc_lo
	s_delay_alu instid0(VALU_DEP_2) | instskip(NEXT) | instid1(VALU_DEP_2)
	v_add_co_u32 v6, vcc_lo, v7, v6
	v_add_co_ci_u32_e32 v6, vcc_lo, v8, v11, vcc_lo
	v_add_co_ci_u32_e32 v7, vcc_lo, 0, v12, vcc_lo
	v_add_co_u32 v1, vcc_lo, v1, v10
	v_add_co_ci_u32_e32 v2, vcc_lo, v2, v10, vcc_lo
	s_delay_alu instid0(VALU_DEP_4) | instskip(NEXT) | instid1(VALU_DEP_4)
	v_add_co_u32 v5, vcc_lo, v6, v5
	v_add_co_ci_u32_e32 v6, vcc_lo, 0, v7, vcc_lo
	s_delay_alu instid0(VALU_DEP_4) | instskip(NEXT) | instid1(VALU_DEP_3)
	v_xor_b32_e32 v7, v1, v10
	v_add_co_u32 v5, vcc_lo, v3, v5
	s_delay_alu instid0(VALU_DEP_3) | instskip(SKIP_1) | instid1(VALU_DEP_3)
	v_add_co_ci_u32_e32 v8, vcc_lo, v4, v6, vcc_lo
	v_xor_b32_e32 v9, v2, v10
	v_mul_hi_u32 v11, v7, v5
	s_delay_alu instid0(VALU_DEP_3) | instskip(NEXT) | instid1(VALU_DEP_3)
	v_mad_u64_u32 v[1:2], null, v7, v8, 0
	v_mad_u64_u32 v[3:4], null, v9, v5, 0
	;; [unrolled: 1-line block ×3, first 2 shown]
	s_delay_alu instid0(VALU_DEP_3) | instskip(NEXT) | instid1(VALU_DEP_4)
	v_add_co_u32 v1, vcc_lo, v11, v1
	v_add_co_ci_u32_e32 v2, vcc_lo, 0, v2, vcc_lo
	s_delay_alu instid0(VALU_DEP_2) | instskip(NEXT) | instid1(VALU_DEP_2)
	v_add_co_u32 v1, vcc_lo, v1, v3
	v_add_co_ci_u32_e32 v1, vcc_lo, v2, v4, vcc_lo
	v_add_co_ci_u32_e32 v2, vcc_lo, 0, v6, vcc_lo
	s_delay_alu instid0(VALU_DEP_2) | instskip(NEXT) | instid1(VALU_DEP_2)
	v_add_co_u32 v3, vcc_lo, v1, v5
	v_add_co_ci_u32_e32 v4, vcc_lo, 0, v2, vcc_lo
	s_delay_alu instid0(VALU_DEP_2) | instskip(SKIP_1) | instid1(VALU_DEP_3)
	v_mul_lo_u32 v5, s9, v3
	v_mad_u64_u32 v[1:2], null, s8, v3, 0
	v_mul_lo_u32 v6, s8, v4
	s_delay_alu instid0(VALU_DEP_2) | instskip(NEXT) | instid1(VALU_DEP_2)
	v_sub_co_u32 v1, vcc_lo, v7, v1
	v_add3_u32 v2, v2, v6, v5
	s_delay_alu instid0(VALU_DEP_1) | instskip(NEXT) | instid1(VALU_DEP_1)
	v_sub_nc_u32_e32 v5, v9, v2
	v_subrev_co_ci_u32_e64 v5, s0, s9, v5, vcc_lo
	v_add_co_u32 v6, s0, v3, 2
	s_delay_alu instid0(VALU_DEP_1) | instskip(SKIP_3) | instid1(VALU_DEP_3)
	v_add_co_ci_u32_e64 v7, s0, 0, v4, s0
	v_sub_co_u32 v8, s0, v1, s8
	v_sub_co_ci_u32_e32 v2, vcc_lo, v9, v2, vcc_lo
	v_subrev_co_ci_u32_e64 v5, s0, 0, v5, s0
	v_cmp_le_u32_e32 vcc_lo, s8, v8
	s_delay_alu instid0(VALU_DEP_3) | instskip(SKIP_1) | instid1(VALU_DEP_4)
	v_cmp_eq_u32_e64 s0, s9, v2
	v_cndmask_b32_e64 v8, 0, -1, vcc_lo
	v_cmp_le_u32_e32 vcc_lo, s9, v5
	v_cndmask_b32_e64 v9, 0, -1, vcc_lo
	v_cmp_le_u32_e32 vcc_lo, s8, v1
	;; [unrolled: 2-line block ×3, first 2 shown]
	v_cndmask_b32_e64 v11, 0, -1, vcc_lo
	v_cmp_eq_u32_e32 vcc_lo, s9, v5
	s_delay_alu instid0(VALU_DEP_2) | instskip(SKIP_3) | instid1(VALU_DEP_3)
	v_cndmask_b32_e64 v1, v11, v1, s0
	v_cndmask_b32_e32 v5, v9, v8, vcc_lo
	v_add_co_u32 v8, vcc_lo, v3, 1
	v_add_co_ci_u32_e32 v9, vcc_lo, 0, v4, vcc_lo
	v_cmp_ne_u32_e32 vcc_lo, 0, v5
	s_delay_alu instid0(VALU_DEP_2) | instskip(SKIP_2) | instid1(VALU_DEP_3)
	v_dual_cndmask_b32 v2, v9, v7 :: v_dual_cndmask_b32 v5, v8, v6
	v_cmp_ne_u32_e32 vcc_lo, 0, v1
	v_xor_b32_e32 v1, s4, v10
                                        ; implicit-def: $vgpr9
	v_dual_cndmask_b32 v3, v3, v5 :: v_dual_cndmask_b32 v2, v4, v2
	v_xor_b32_e32 v4, s5, v10
	s_delay_alu instid0(VALU_DEP_2) | instskip(NEXT) | instid1(VALU_DEP_2)
	v_xor_b32_e32 v3, v3, v1
	v_xor_b32_e32 v2, v2, v4
	s_delay_alu instid0(VALU_DEP_2) | instskip(NEXT) | instid1(VALU_DEP_2)
	v_sub_co_u32 v3, vcc_lo, v3, v1
	v_sub_co_ci_u32_e32 v4, vcc_lo, v2, v4, vcc_lo
                                        ; implicit-def: $vgpr1_vgpr2
.LBB61_22:
	s_and_not1_saveexec_b32 s0, s1
	s_cbranch_execz .LBB61_24
; %bb.23:
	v_rcp_iflag_f32_e32 v2, v9
	s_sub_i32 s1, 0, s6
	s_waitcnt_depctr 0xfff
	v_mul_f32_e32 v2, 0x4f7ffffe, v2
	s_delay_alu instid0(VALU_DEP_1) | instskip(NEXT) | instid1(VALU_DEP_1)
	v_cvt_u32_f32_e32 v2, v2
	v_mul_lo_u32 v3, s1, v2
	s_delay_alu instid0(VALU_DEP_1) | instskip(NEXT) | instid1(VALU_DEP_1)
	v_mul_hi_u32 v3, v2, v3
	v_add_nc_u32_e32 v2, v2, v3
	s_delay_alu instid0(VALU_DEP_1) | instskip(NEXT) | instid1(VALU_DEP_1)
	v_mul_hi_u32 v2, v1, v2
	v_mul_lo_u32 v3, v2, s6
	s_delay_alu instid0(VALU_DEP_1) | instskip(SKIP_1) | instid1(VALU_DEP_2)
	v_sub_nc_u32_e32 v1, v1, v3
	v_add_nc_u32_e32 v3, 1, v2
	v_subrev_nc_u32_e32 v4, s6, v1
	v_cmp_le_u32_e32 vcc_lo, s6, v1
	s_delay_alu instid0(VALU_DEP_2) | instskip(NEXT) | instid1(VALU_DEP_4)
	v_dual_cndmask_b32 v1, v1, v4 :: v_dual_mov_b32 v4, 0
	v_cndmask_b32_e32 v2, v2, v3, vcc_lo
	s_delay_alu instid0(VALU_DEP_2) | instskip(NEXT) | instid1(VALU_DEP_2)
	v_cmp_le_u32_e32 vcc_lo, s6, v1
	v_add_nc_u32_e32 v3, 1, v2
	s_delay_alu instid0(VALU_DEP_1)
	v_cndmask_b32_e32 v3, v2, v3, vcc_lo
.LBB61_24:
	s_or_b32 exec_lo, exec_lo, s0
	s_delay_alu instid0(VALU_DEP_1) | instskip(SKIP_1) | instid1(VALU_DEP_1)
	v_lshlrev_b64 v[1:2], 2, v[3:4]
	s_waitcnt lgkmcnt(0)
	v_add_co_u32 v1, vcc_lo, s2, v1
	s_delay_alu instid0(VALU_DEP_2)
	v_add_co_ci_u32_e32 v2, vcc_lo, s3, v2, vcc_lo
	s_waitcnt vmcnt(0)
	global_store_b32 v[1:2], v0, off
.LBB61_25:
	s_nop 0
	s_sendmsg sendmsg(MSG_DEALLOC_VGPRS)
	s_endpgm
	.section	.rodata,"a",@progbits
	.p2align	6, 0x0
	.amdhsa_kernel _ZN4vllm38cp_gather_indexer_k_quant_cache_kernelILi2EEEvPKcPcS3_PKiS5_illllliii
		.amdhsa_group_segment_fixed_size 8
		.amdhsa_private_segment_fixed_size 0
		.amdhsa_kernarg_size 360
		.amdhsa_user_sgpr_count 14
		.amdhsa_user_sgpr_dispatch_ptr 0
		.amdhsa_user_sgpr_queue_ptr 0
		.amdhsa_user_sgpr_kernarg_segment_ptr 1
		.amdhsa_user_sgpr_dispatch_id 0
		.amdhsa_user_sgpr_private_segment_size 0
		.amdhsa_wavefront_size32 1
		.amdhsa_uses_dynamic_stack 0
		.amdhsa_enable_private_segment 0
		.amdhsa_system_sgpr_workgroup_id_x 1
		.amdhsa_system_sgpr_workgroup_id_y 1
		.amdhsa_system_sgpr_workgroup_id_z 0
		.amdhsa_system_sgpr_workgroup_info 0
		.amdhsa_system_vgpr_workitem_id 1
		.amdhsa_next_free_vgpr 19
		.amdhsa_next_free_sgpr 26
		.amdhsa_reserve_vcc 1
		.amdhsa_float_round_mode_32 0
		.amdhsa_float_round_mode_16_64 0
		.amdhsa_float_denorm_mode_32 3
		.amdhsa_float_denorm_mode_16_64 3
		.amdhsa_dx10_clamp 1
		.amdhsa_ieee_mode 1
		.amdhsa_fp16_overflow 0
		.amdhsa_workgroup_processor_mode 1
		.amdhsa_memory_ordered 1
		.amdhsa_forward_progress 0
		.amdhsa_shared_vgpr_count 0
		.amdhsa_exception_fp_ieee_invalid_op 0
		.amdhsa_exception_fp_denorm_src 0
		.amdhsa_exception_fp_ieee_div_zero 0
		.amdhsa_exception_fp_ieee_overflow 0
		.amdhsa_exception_fp_ieee_underflow 0
		.amdhsa_exception_fp_ieee_inexact 0
		.amdhsa_exception_int_div_zero 0
	.end_amdhsa_kernel
	.section	.text._ZN4vllm38cp_gather_indexer_k_quant_cache_kernelILi2EEEvPKcPcS3_PKiS5_illllliii,"axG",@progbits,_ZN4vllm38cp_gather_indexer_k_quant_cache_kernelILi2EEEvPKcPcS3_PKiS5_illllliii,comdat
.Lfunc_end61:
	.size	_ZN4vllm38cp_gather_indexer_k_quant_cache_kernelILi2EEEvPKcPcS3_PKiS5_illllliii, .Lfunc_end61-_ZN4vllm38cp_gather_indexer_k_quant_cache_kernelILi2EEEvPKcPcS3_PKiS5_illllliii
                                        ; -- End function
	.section	.AMDGPU.csdata,"",@progbits
; Kernel info:
; codeLenInByte = 4192
; NumSgprs: 28
; NumVgprs: 19
; ScratchSize: 0
; MemoryBound: 0
; FloatMode: 240
; IeeeMode: 1
; LDSByteSize: 8 bytes/workgroup (compile time only)
; SGPRBlocks: 3
; VGPRBlocks: 2
; NumSGPRsForWavesPerEU: 28
; NumVGPRsForWavesPerEU: 19
; Occupancy: 16
; WaveLimiterHint : 1
; COMPUTE_PGM_RSRC2:SCRATCH_EN: 0
; COMPUTE_PGM_RSRC2:USER_SGPR: 14
; COMPUTE_PGM_RSRC2:TRAP_HANDLER: 0
; COMPUTE_PGM_RSRC2:TGID_X_EN: 1
; COMPUTE_PGM_RSRC2:TGID_Y_EN: 1
; COMPUTE_PGM_RSRC2:TGID_Z_EN: 0
; COMPUTE_PGM_RSRC2:TIDIG_COMP_CNT: 1
	.section	.text._ZN4vllm38cp_gather_indexer_k_quant_cache_kernelILi4EEEvPKcPcS3_PKiS5_illllliii,"axG",@progbits,_ZN4vllm38cp_gather_indexer_k_quant_cache_kernelILi4EEEvPKcPcS3_PKiS5_illllliii,comdat
	.protected	_ZN4vllm38cp_gather_indexer_k_quant_cache_kernelILi4EEEvPKcPcS3_PKiS5_illllliii ; -- Begin function _ZN4vllm38cp_gather_indexer_k_quant_cache_kernelILi4EEEvPKcPcS3_PKiS5_illllliii
	.globl	_ZN4vllm38cp_gather_indexer_k_quant_cache_kernelILi4EEEvPKcPcS3_PKiS5_illllliii
	.p2align	8
	.type	_ZN4vllm38cp_gather_indexer_k_quant_cache_kernelILi4EEEvPKcPcS3_PKiS5_illllliii,@function
_ZN4vllm38cp_gather_indexer_k_quant_cache_kernelILi4EEEvPKcPcS3_PKiS5_illllliii: ; @_ZN4vllm38cp_gather_indexer_k_quant_cache_kernelILi4EEEvPKcPcS3_PKiS5_illllliii
; %bb.0:
	s_clause 0x1
	s_load_b64 s[12:13], s[0:1], 0x20
	s_load_b32 s5, s[0:1], 0x74
	v_and_b32_e32 v4, 0x3ff, v0
	v_bfe_u32 v2, v0, 10, 10
	s_delay_alu instid0(VALU_DEP_2) | instskip(NEXT) | instid1(VALU_DEP_2)
	v_cmp_eq_u32_e64 s2, 0, v4
	v_lshlrev_b32_e32 v5, 2, v2
	s_delay_alu instid0(VALU_DEP_2)
	s_and_saveexec_b32 s3, s2
	s_cbranch_execz .LBB62_2
; %bb.1:
	v_mov_b32_e32 v0, -1
	ds_store_b32 v5, v0
.LBB62_2:
	s_or_b32 exec_lo, exec_lo, s3
	s_waitcnt lgkmcnt(0)
	s_and_b32 s3, s5, 0xffff
	s_load_b32 s4, s[0:1], 0x28
	v_cvt_f32_u32_e32 v0, s3
	s_sub_i32 s7, 0, s3
	s_lshr_b32 s5, s5, 16
	s_waitcnt lgkmcnt(0)
	s_barrier
	v_rcp_iflag_f32_e32 v0, v0
	buffer_gl0_inv
	v_mul_f32_e32 v0, 0x4f7ffffe, v0
	s_add_i32 s8, s4, s3
	s_delay_alu instid0(VALU_DEP_1) | instskip(SKIP_1) | instid1(SALU_CYCLE_1)
	v_cvt_u32_f32_e32 v0, v0
	s_add_i32 s8, s8, -1
	s_abs_i32 s9, s8
	s_ashr_i32 s8, s8, 31
	s_delay_alu instid0(VALU_DEP_1) | instskip(SKIP_1) | instid1(VALU_DEP_2)
	v_readfirstlane_b32 s6, v0
	v_mad_u64_u32 v[0:1], null, s14, s5, v[2:3]
	s_mul_i32 s7, s7, s6
	s_delay_alu instid0(SALU_CYCLE_1) | instskip(NEXT) | instid1(SALU_CYCLE_1)
	s_mul_hi_u32 s7, s6, s7
	s_add_i32 s6, s6, s7
	s_delay_alu instid0(SALU_CYCLE_1) | instskip(NEXT) | instid1(SALU_CYCLE_1)
	s_mul_hi_u32 s6, s9, s6
	s_mul_i32 s7, s6, s3
	s_delay_alu instid0(SALU_CYCLE_1)
	s_sub_i32 s7, s9, s7
	s_add_i32 s9, s6, 1
	s_sub_i32 s10, s7, s3
	s_cmp_ge_u32 s7, s3
	s_cselect_b32 s6, s9, s6
	s_cselect_b32 s7, s10, s7
	s_add_i32 s9, s6, 1
	s_cmp_ge_u32 s7, s3
	s_cselect_b32 s6, s9, s6
	s_delay_alu instid0(SALU_CYCLE_1) | instskip(NEXT) | instid1(SALU_CYCLE_1)
	s_xor_b32 s5, s6, s8
	s_sub_i32 s5, s5, s8
	s_delay_alu instid0(SALU_CYCLE_1)
	s_cmp_lt_i32 s5, 1
	s_cbranch_scc1 .LBB62_9
; %bb.3:
	v_mov_b32_e32 v1, v4
	s_set_inst_prefetch_distance 0x1
	s_branch .LBB62_5
	.p2align	6
.LBB62_4:                               ;   in Loop: Header=BB62_5 Depth=1
	s_or_b32 exec_lo, exec_lo, s6
	v_add_nc_u32_e32 v1, s3, v1
	s_add_i32 s5, s5, -1
	s_delay_alu instid0(SALU_CYCLE_1)
	s_cmp_eq_u32 s5, 0
	s_cbranch_scc1 .LBB62_9
.LBB62_5:                               ; =>This Inner Loop Header: Depth=1
	s_mov_b32 s6, exec_lo
	s_delay_alu instid0(VALU_DEP_1)
	v_cmpx_gt_i32_e64 s4, v1
	s_cbranch_execz .LBB62_4
; %bb.6:                                ;   in Loop: Header=BB62_5 Depth=1
	v_ashrrev_i32_e32 v2, 31, v1
	s_delay_alu instid0(VALU_DEP_1) | instskip(NEXT) | instid1(VALU_DEP_1)
	v_lshlrev_b64 v[2:3], 2, v[1:2]
	v_add_co_u32 v2, vcc_lo, s12, v2
	s_delay_alu instid0(VALU_DEP_2)
	v_add_co_ci_u32_e32 v3, vcc_lo, s13, v3, vcc_lo
	global_load_b32 v6, v[2:3], off
	s_waitcnt vmcnt(0)
	v_cmp_ge_i32_e32 vcc_lo, v0, v6
	s_and_b32 exec_lo, exec_lo, vcc_lo
	s_cbranch_execz .LBB62_4
; %bb.7:                                ;   in Loop: Header=BB62_5 Depth=1
	global_load_b32 v2, v[2:3], off offset:4
	s_waitcnt vmcnt(0)
	v_cmp_lt_i32_e32 vcc_lo, v0, v2
	s_and_b32 exec_lo, exec_lo, vcc_lo
	s_cbranch_execz .LBB62_4
; %bb.8:                                ;   in Loop: Header=BB62_5 Depth=1
	ds_store_b32 v5, v1
	s_branch .LBB62_4
.LBB62_9:
	s_set_inst_prefetch_distance 0x2
	s_load_b128 s[8:11], s[0:1], 0x30
	s_mul_i32 s15, s15, s3
	s_waitcnt lgkmcnt(0)
	v_add_lshl_u32 v3, s15, v4, 4
	s_barrier
	buffer_gl0_inv
	s_mov_b32 s3, exec_lo
	v_ashrrev_i32_e32 v4, 31, v3
	s_delay_alu instid0(VALU_DEP_1)
	v_cmpx_gt_i64_e64 s[10:11], v[3:4]
	s_cbranch_execz .LBB62_25
; %bb.10:
	s_load_b128 s[4:7], s[0:1], 0x58
	ds_load_b32 v1, v5
	s_waitcnt lgkmcnt(0)
	v_cmp_gt_i32_e32 vcc_lo, s5, v0
	v_cmp_lt_i32_e64 s3, -1, v1
	s_delay_alu instid0(VALU_DEP_1) | instskip(NEXT) | instid1(SALU_CYCLE_1)
	s_and_b32 s3, vcc_lo, s3
	s_and_b32 exec_lo, exec_lo, s3
	s_cbranch_execz .LBB62_25
; %bb.11:
	v_mov_b32_e32 v2, 0
	s_delay_alu instid0(VALU_DEP_1) | instskip(NEXT) | instid1(VALU_DEP_1)
	v_lshlrev_b64 v[5:6], 2, v[1:2]
	v_add_co_u32 v5, vcc_lo, s12, v5
	s_delay_alu instid0(VALU_DEP_2)
	v_add_co_ci_u32_e32 v6, vcc_lo, s13, v6, vcc_lo
	global_load_b32 v5, v[5:6], off
	s_clause 0x3
	s_load_b64 s[16:17], s[0:1], 0x50
	s_load_b64 s[18:19], s[0:1], 0x40
	s_load_b128 s[12:15], s[0:1], 0x0
	s_load_b64 s[20:21], s[0:1], 0x18
	s_waitcnt vmcnt(0)
	v_sub_nc_u32_e32 v7, v0, v5
	v_mov_b32_e32 v5, v2
	s_delay_alu instid0(VALU_DEP_2) | instskip(SKIP_1) | instid1(VALU_DEP_1)
	v_ashrrev_i32_e32 v8, 31, v7
	s_waitcnt lgkmcnt(0)
	v_or_b32_e32 v6, s17, v8
	s_delay_alu instid0(VALU_DEP_1) | instskip(SKIP_1) | instid1(SALU_CYCLE_1)
	v_cmp_ne_u64_e32 vcc_lo, 0, v[5:6]
                                        ; implicit-def: $vgpr5_vgpr6
	s_and_saveexec_b32 s3, vcc_lo
	s_xor_b32 s5, exec_lo, s3
	s_cbranch_execz .LBB62_13
; %bb.12:
	s_ashr_i32 s22, s17, 31
	s_delay_alu instid0(SALU_CYCLE_1) | instskip(SKIP_2) | instid1(SALU_CYCLE_1)
	s_add_u32 s24, s16, s22
	s_mov_b32 s23, s22
	s_addc_u32 s25, s17, s22
	s_xor_b64 s[24:25], s[24:25], s[22:23]
	s_delay_alu instid0(SALU_CYCLE_1) | instskip(SKIP_3) | instid1(VALU_DEP_1)
	v_cvt_f32_u32_e32 v2, s24
	v_cvt_f32_u32_e32 v5, s25
	s_sub_u32 s3, 0, s24
	s_subb_u32 s7, 0, s25
	v_fmamk_f32 v2, v5, 0x4f800000, v2
	s_delay_alu instid0(VALU_DEP_1) | instskip(SKIP_2) | instid1(VALU_DEP_1)
	v_rcp_f32_e32 v2, v2
	s_waitcnt_depctr 0xfff
	v_mul_f32_e32 v2, 0x5f7ffffc, v2
	v_mul_f32_e32 v5, 0x2f800000, v2
	s_delay_alu instid0(VALU_DEP_1) | instskip(NEXT) | instid1(VALU_DEP_1)
	v_trunc_f32_e32 v5, v5
	v_fmamk_f32 v2, v5, 0xcf800000, v2
	v_cvt_u32_f32_e32 v5, v5
	s_delay_alu instid0(VALU_DEP_2) | instskip(NEXT) | instid1(VALU_DEP_2)
	v_cvt_u32_f32_e32 v2, v2
	v_mul_lo_u32 v6, s3, v5
	s_delay_alu instid0(VALU_DEP_2) | instskip(SKIP_1) | instid1(VALU_DEP_2)
	v_mul_hi_u32 v9, s3, v2
	v_mul_lo_u32 v10, s7, v2
	v_add_nc_u32_e32 v6, v9, v6
	v_mul_lo_u32 v9, s3, v2
	s_delay_alu instid0(VALU_DEP_2) | instskip(NEXT) | instid1(VALU_DEP_2)
	v_add_nc_u32_e32 v6, v6, v10
	v_mul_hi_u32 v10, v2, v9
	s_delay_alu instid0(VALU_DEP_2)
	v_mul_lo_u32 v11, v2, v6
	v_mul_hi_u32 v12, v2, v6
	v_mul_hi_u32 v13, v5, v9
	v_mul_lo_u32 v9, v5, v9
	v_mul_hi_u32 v14, v5, v6
	v_mul_lo_u32 v6, v5, v6
	v_add_co_u32 v10, vcc_lo, v10, v11
	v_add_co_ci_u32_e32 v11, vcc_lo, 0, v12, vcc_lo
	s_delay_alu instid0(VALU_DEP_2) | instskip(NEXT) | instid1(VALU_DEP_2)
	v_add_co_u32 v9, vcc_lo, v10, v9
	v_add_co_ci_u32_e32 v9, vcc_lo, v11, v13, vcc_lo
	v_add_co_ci_u32_e32 v10, vcc_lo, 0, v14, vcc_lo
	v_mov_b32_e32 v13, v8
	s_delay_alu instid0(VALU_DEP_3) | instskip(NEXT) | instid1(VALU_DEP_3)
	v_add_co_u32 v6, vcc_lo, v9, v6
	v_add_co_ci_u32_e32 v9, vcc_lo, 0, v10, vcc_lo
	v_mov_b32_e32 v14, v8
	s_delay_alu instid0(VALU_DEP_3) | instskip(NEXT) | instid1(VALU_DEP_3)
	v_add_co_u32 v2, vcc_lo, v2, v6
	v_add_co_ci_u32_e32 v5, vcc_lo, v5, v9, vcc_lo
	s_delay_alu instid0(VALU_DEP_2) | instskip(SKIP_1) | instid1(VALU_DEP_3)
	v_mul_hi_u32 v6, s3, v2
	v_mul_lo_u32 v10, s7, v2
	v_mul_lo_u32 v9, s3, v5
	s_delay_alu instid0(VALU_DEP_1) | instskip(SKIP_1) | instid1(VALU_DEP_2)
	v_add_nc_u32_e32 v6, v6, v9
	v_mul_lo_u32 v9, s3, v2
	v_add_nc_u32_e32 v6, v6, v10
	s_delay_alu instid0(VALU_DEP_2) | instskip(NEXT) | instid1(VALU_DEP_2)
	v_mul_hi_u32 v10, v2, v9
	v_mul_lo_u32 v11, v2, v6
	v_mul_hi_u32 v12, v2, v6
	v_mul_hi_u32 v15, v5, v9
	v_mul_lo_u32 v9, v5, v9
	v_mul_hi_u32 v16, v5, v6
	v_mul_lo_u32 v6, v5, v6
	v_add_co_u32 v10, vcc_lo, v10, v11
	v_add_co_ci_u32_e32 v11, vcc_lo, 0, v12, vcc_lo
	s_delay_alu instid0(VALU_DEP_2) | instskip(NEXT) | instid1(VALU_DEP_2)
	v_add_co_u32 v9, vcc_lo, v10, v9
	v_add_co_ci_u32_e32 v9, vcc_lo, v11, v15, vcc_lo
	v_add_co_ci_u32_e32 v10, vcc_lo, 0, v16, vcc_lo
	v_add_co_u32 v11, vcc_lo, v7, v13
	v_add_co_ci_u32_e32 v12, vcc_lo, v8, v14, vcc_lo
	s_delay_alu instid0(VALU_DEP_4) | instskip(NEXT) | instid1(VALU_DEP_4)
	v_add_co_u32 v6, vcc_lo, v9, v6
	v_add_co_ci_u32_e32 v9, vcc_lo, 0, v10, vcc_lo
	s_delay_alu instid0(VALU_DEP_4) | instskip(NEXT) | instid1(VALU_DEP_3)
	v_xor_b32_e32 v15, v11, v13
	v_add_co_u32 v2, vcc_lo, v2, v6
	s_delay_alu instid0(VALU_DEP_3) | instskip(SKIP_1) | instid1(VALU_DEP_3)
	v_add_co_ci_u32_e32 v16, vcc_lo, v5, v9, vcc_lo
	v_xor_b32_e32 v17, v12, v14
	v_mul_hi_u32 v18, v15, v2
	s_delay_alu instid0(VALU_DEP_3) | instskip(NEXT) | instid1(VALU_DEP_3)
	v_mad_u64_u32 v[5:6], null, v15, v16, 0
	v_mad_u64_u32 v[9:10], null, v17, v2, 0
	;; [unrolled: 1-line block ×3, first 2 shown]
	s_delay_alu instid0(VALU_DEP_3) | instskip(NEXT) | instid1(VALU_DEP_4)
	v_add_co_u32 v2, vcc_lo, v18, v5
	v_add_co_ci_u32_e32 v5, vcc_lo, 0, v6, vcc_lo
	s_delay_alu instid0(VALU_DEP_2) | instskip(NEXT) | instid1(VALU_DEP_2)
	v_add_co_u32 v2, vcc_lo, v2, v9
	v_add_co_ci_u32_e32 v2, vcc_lo, v5, v10, vcc_lo
	v_add_co_ci_u32_e32 v5, vcc_lo, 0, v12, vcc_lo
	s_delay_alu instid0(VALU_DEP_2) | instskip(NEXT) | instid1(VALU_DEP_2)
	v_add_co_u32 v2, vcc_lo, v2, v11
	v_add_co_ci_u32_e32 v9, vcc_lo, 0, v5, vcc_lo
	s_delay_alu instid0(VALU_DEP_2) | instskip(SKIP_1) | instid1(VALU_DEP_3)
	v_mul_lo_u32 v10, s25, v2
	v_mad_u64_u32 v[5:6], null, s24, v2, 0
	v_mul_lo_u32 v11, s24, v9
	s_delay_alu instid0(VALU_DEP_2) | instskip(NEXT) | instid1(VALU_DEP_2)
	v_sub_co_u32 v5, vcc_lo, v15, v5
	v_add3_u32 v6, v6, v11, v10
	s_delay_alu instid0(VALU_DEP_1) | instskip(NEXT) | instid1(VALU_DEP_1)
	v_sub_nc_u32_e32 v10, v17, v6
	v_subrev_co_ci_u32_e64 v10, s3, s25, v10, vcc_lo
	v_add_co_u32 v11, s3, v2, 2
	s_delay_alu instid0(VALU_DEP_1) | instskip(SKIP_3) | instid1(VALU_DEP_3)
	v_add_co_ci_u32_e64 v12, s3, 0, v9, s3
	v_sub_co_u32 v15, s3, v5, s24
	v_sub_co_ci_u32_e32 v6, vcc_lo, v17, v6, vcc_lo
	v_subrev_co_ci_u32_e64 v10, s3, 0, v10, s3
	v_cmp_le_u32_e32 vcc_lo, s24, v15
	s_delay_alu instid0(VALU_DEP_3) | instskip(SKIP_1) | instid1(VALU_DEP_4)
	v_cmp_eq_u32_e64 s3, s25, v6
	v_cndmask_b32_e64 v15, 0, -1, vcc_lo
	v_cmp_le_u32_e32 vcc_lo, s25, v10
	v_cndmask_b32_e64 v16, 0, -1, vcc_lo
	v_cmp_le_u32_e32 vcc_lo, s24, v5
	;; [unrolled: 2-line block ×3, first 2 shown]
	v_cndmask_b32_e64 v17, 0, -1, vcc_lo
	v_cmp_eq_u32_e32 vcc_lo, s25, v10
	s_delay_alu instid0(VALU_DEP_2) | instskip(SKIP_3) | instid1(VALU_DEP_3)
	v_cndmask_b32_e64 v5, v17, v5, s3
	v_cndmask_b32_e32 v10, v16, v15, vcc_lo
	v_add_co_u32 v15, vcc_lo, v2, 1
	v_add_co_ci_u32_e32 v16, vcc_lo, 0, v9, vcc_lo
	v_cmp_ne_u32_e32 vcc_lo, 0, v10
	s_delay_alu instid0(VALU_DEP_2) | instskip(NEXT) | instid1(VALU_DEP_4)
	v_cndmask_b32_e32 v6, v16, v12, vcc_lo
	v_cndmask_b32_e32 v10, v15, v11, vcc_lo
	v_cmp_ne_u32_e32 vcc_lo, 0, v5
	v_xor_b32_e32 v5, s22, v13
	s_delay_alu instid0(VALU_DEP_3) | instskip(SKIP_2) | instid1(VALU_DEP_3)
	v_cndmask_b32_e32 v2, v2, v10, vcc_lo
	v_cndmask_b32_e32 v6, v9, v6, vcc_lo
	v_xor_b32_e32 v9, s22, v14
	v_xor_b32_e32 v2, v2, v5
	s_delay_alu instid0(VALU_DEP_2) | instskip(NEXT) | instid1(VALU_DEP_2)
	v_xor_b32_e32 v6, v6, v9
	v_sub_co_u32 v5, vcc_lo, v2, v5
	s_delay_alu instid0(VALU_DEP_2)
	v_sub_co_ci_u32_e32 v6, vcc_lo, v6, v9, vcc_lo
.LBB62_13:
	s_and_not1_saveexec_b32 s3, s5
	s_cbranch_execz .LBB62_15
; %bb.14:
	v_cvt_f32_u32_e32 v2, s16
	s_sub_i32 s5, 0, s16
	s_delay_alu instid0(VALU_DEP_1) | instskip(SKIP_2) | instid1(VALU_DEP_1)
	v_rcp_iflag_f32_e32 v2, v2
	s_waitcnt_depctr 0xfff
	v_mul_f32_e32 v2, 0x4f7ffffe, v2
	v_cvt_u32_f32_e32 v2, v2
	s_delay_alu instid0(VALU_DEP_1) | instskip(NEXT) | instid1(VALU_DEP_1)
	v_mul_lo_u32 v5, s5, v2
	v_mul_hi_u32 v5, v2, v5
	s_delay_alu instid0(VALU_DEP_1) | instskip(NEXT) | instid1(VALU_DEP_1)
	v_add_nc_u32_e32 v2, v2, v5
	v_mul_hi_u32 v2, v7, v2
	s_delay_alu instid0(VALU_DEP_1) | instskip(SKIP_1) | instid1(VALU_DEP_2)
	v_mul_lo_u32 v5, v2, s16
	v_add_nc_u32_e32 v6, 1, v2
	v_sub_nc_u32_e32 v5, v7, v5
	s_delay_alu instid0(VALU_DEP_1) | instskip(SKIP_1) | instid1(VALU_DEP_2)
	v_subrev_nc_u32_e32 v9, s16, v5
	v_cmp_le_u32_e32 vcc_lo, s16, v5
	v_dual_cndmask_b32 v5, v5, v9 :: v_dual_cndmask_b32 v2, v2, v6
	s_delay_alu instid0(VALU_DEP_1) | instskip(NEXT) | instid1(VALU_DEP_2)
	v_cmp_le_u32_e32 vcc_lo, s16, v5
	v_add_nc_u32_e32 v6, 1, v2
	s_delay_alu instid0(VALU_DEP_1)
	v_dual_cndmask_b32 v5, v2, v6 :: v_dual_mov_b32 v6, 0
.LBB62_15:
	s_or_b32 exec_lo, exec_lo, s3
	v_mul_lo_u32 v1, v1, s4
	s_delay_alu instid0(VALU_DEP_2) | instskip(SKIP_2) | instid1(VALU_DEP_3)
	v_lshlrev_b64 v[9:10], 2, v[5:6]
	v_mul_lo_u32 v6, v6, s16
	v_ashrrev_i32_e32 v13, 31, v0
	v_add_co_u32 v9, vcc_lo, s20, v9
	v_ashrrev_i32_e32 v2, 31, v1
	v_add_co_ci_u32_e32 v10, vcc_lo, s21, v10, vcc_lo
	s_delay_alu instid0(VALU_DEP_2) | instskip(NEXT) | instid1(VALU_DEP_1)
	v_lshlrev_b64 v[1:2], 2, v[1:2]
	v_add_co_u32 v1, vcc_lo, v9, v1
	s_delay_alu instid0(VALU_DEP_2) | instskip(SKIP_3) | instid1(VALU_DEP_1)
	v_add_co_ci_u32_e32 v2, vcc_lo, v10, v2, vcc_lo
	v_mul_lo_u32 v10, v5, s17
	global_load_b32 v9, v[1:2], off
	v_mad_u64_u32 v[1:2], null, v5, s16, 0
	v_add3_u32 v2, v2, v10, v6
	s_delay_alu instid0(VALU_DEP_2) | instskip(NEXT) | instid1(VALU_DEP_2)
	v_sub_co_u32 v1, vcc_lo, v7, v1
	v_sub_co_ci_u32_e32 v2, vcc_lo, v8, v2, vcc_lo
	s_delay_alu instid0(VALU_DEP_2) | instskip(SKIP_1) | instid1(VALU_DEP_3)
	v_mul_lo_u32 v10, v1, s11
	v_mad_u64_u32 v[7:8], null, v1, s10, v[3:4]
	v_mul_lo_u32 v2, v2, s10
	s_delay_alu instid0(VALU_DEP_1) | instskip(SKIP_4) | instid1(VALU_DEP_3)
	v_add3_u32 v8, v2, v8, v10
	s_waitcnt vmcnt(0)
	v_ashrrev_i32_e32 v1, 31, v9
	v_mul_lo_u32 v11, v9, s19
	v_mad_u64_u32 v[5:6], null, v9, s18, 0
	v_mul_lo_u32 v1, v1, s18
	s_delay_alu instid0(VALU_DEP_1) | instskip(NEXT) | instid1(VALU_DEP_3)
	v_add3_u32 v6, v6, v11, v1
	v_add_co_u32 v1, vcc_lo, v7, v5
	s_delay_alu instid0(VALU_DEP_2) | instskip(NEXT) | instid1(VALU_DEP_1)
	v_add_co_ci_u32_e32 v2, vcc_lo, v8, v6, vcc_lo
	v_ashrrev_i32_e32 v9, 31, v2
	s_delay_alu instid0(VALU_DEP_1) | instskip(NEXT) | instid1(VALU_DEP_1)
	v_lshrrev_b32_e32 v9, 28, v9
	v_add_co_u32 v1, vcc_lo, v1, v9
	v_add_co_ci_u32_e32 v2, vcc_lo, 0, v2, vcc_lo
	s_delay_alu instid0(VALU_DEP_2) | instskip(NEXT) | instid1(VALU_DEP_1)
	v_and_b32_e32 v1, -16, v1
	v_add_co_u32 v1, vcc_lo, s12, v1
	s_delay_alu instid0(VALU_DEP_3) | instskip(SKIP_4) | instid1(VALU_DEP_1)
	v_add_co_ci_u32_e32 v2, vcc_lo, s13, v2, vcc_lo
	global_load_b128 v[9:12], v[1:2], off
	v_mad_u64_u32 v[1:2], null, v0, s8, v[3:4]
	v_mul_lo_u32 v0, v0, s9
	v_mul_lo_u32 v3, v13, s8
	v_add3_u32 v2, v3, v2, v0
	s_delay_alu instid0(VALU_DEP_1) | instskip(NEXT) | instid1(VALU_DEP_1)
	v_ashrrev_i32_e32 v0, 31, v2
	v_lshrrev_b32_e32 v0, 28, v0
	s_delay_alu instid0(VALU_DEP_1) | instskip(SKIP_1) | instid1(VALU_DEP_2)
	v_add_co_u32 v0, vcc_lo, v1, v0
	v_add_co_ci_u32_e32 v4, vcc_lo, 0, v2, vcc_lo
	v_and_b32_e32 v0, -16, v0
	s_delay_alu instid0(VALU_DEP_1) | instskip(NEXT) | instid1(VALU_DEP_3)
	v_add_co_u32 v3, vcc_lo, s14, v0
	v_add_co_ci_u32_e32 v4, vcc_lo, s15, v4, vcc_lo
	s_waitcnt vmcnt(0)
	global_store_b128 v[3:4], v[9:12], off
	s_and_b32 exec_lo, exec_lo, s2
	s_cbranch_execz .LBB62_25
; %bb.16:
	v_lshlrev_b64 v[3:4], 2, v[7:8]
	s_ashr_i32 s7, s6, 31
	v_mov_b32_e32 v7, 0
	s_delay_alu instid0(VALU_DEP_2) | instskip(NEXT) | instid1(VALU_DEP_1)
	v_or_b32_e32 v8, s7, v4
	v_cmp_ne_u64_e32 vcc_lo, 0, v[7:8]
                                        ; implicit-def: $vgpr7_vgpr8
	s_and_saveexec_b32 s2, vcc_lo
	s_delay_alu instid0(SALU_CYCLE_1)
	s_xor_b32 s3, exec_lo, s2
	s_cbranch_execz .LBB62_18
; %bb.17:
	s_add_u32 s8, s6, s7
	s_mov_b32 s4, s7
	s_mov_b32 s5, s7
	s_addc_u32 s9, s7, s7
	s_delay_alu instid0(SALU_CYCLE_1) | instskip(NEXT) | instid1(SALU_CYCLE_1)
	s_xor_b64 s[8:9], s[8:9], s[4:5]
	v_cvt_f32_u32_e32 v0, s8
	v_cvt_f32_u32_e32 v7, s9
	s_sub_u32 s2, 0, s8
	s_subb_u32 s14, 0, s9
	s_delay_alu instid0(VALU_DEP_1) | instskip(NEXT) | instid1(VALU_DEP_1)
	v_fmamk_f32 v0, v7, 0x4f800000, v0
	v_rcp_f32_e32 v0, v0
	s_waitcnt_depctr 0xfff
	v_mul_f32_e32 v0, 0x5f7ffffc, v0
	s_delay_alu instid0(VALU_DEP_1) | instskip(NEXT) | instid1(VALU_DEP_1)
	v_mul_f32_e32 v7, 0x2f800000, v0
	v_trunc_f32_e32 v7, v7
	s_delay_alu instid0(VALU_DEP_1) | instskip(SKIP_1) | instid1(VALU_DEP_2)
	v_fmamk_f32 v0, v7, 0xcf800000, v0
	v_cvt_u32_f32_e32 v7, v7
	v_cvt_u32_f32_e32 v0, v0
	s_delay_alu instid0(VALU_DEP_2) | instskip(NEXT) | instid1(VALU_DEP_2)
	v_mul_lo_u32 v8, s2, v7
	v_mul_hi_u32 v9, s2, v0
	v_mul_lo_u32 v10, s14, v0
	s_delay_alu instid0(VALU_DEP_2) | instskip(SKIP_1) | instid1(VALU_DEP_2)
	v_add_nc_u32_e32 v8, v9, v8
	v_mul_lo_u32 v9, s2, v0
	v_add_nc_u32_e32 v8, v8, v10
	s_delay_alu instid0(VALU_DEP_2) | instskip(NEXT) | instid1(VALU_DEP_2)
	v_mul_hi_u32 v10, v0, v9
	v_mul_lo_u32 v11, v0, v8
	v_mul_hi_u32 v12, v0, v8
	v_mul_hi_u32 v13, v7, v9
	v_mul_lo_u32 v9, v7, v9
	v_mul_hi_u32 v14, v7, v8
	v_mul_lo_u32 v8, v7, v8
	v_add_co_u32 v10, vcc_lo, v10, v11
	v_add_co_ci_u32_e32 v11, vcc_lo, 0, v12, vcc_lo
	s_delay_alu instid0(VALU_DEP_2) | instskip(NEXT) | instid1(VALU_DEP_2)
	v_add_co_u32 v9, vcc_lo, v10, v9
	v_add_co_ci_u32_e32 v9, vcc_lo, v11, v13, vcc_lo
	v_add_co_ci_u32_e32 v10, vcc_lo, 0, v14, vcc_lo
	v_ashrrev_i32_e32 v13, 31, v4
	s_delay_alu instid0(VALU_DEP_3) | instskip(NEXT) | instid1(VALU_DEP_3)
	v_add_co_u32 v8, vcc_lo, v9, v8
	v_add_co_ci_u32_e32 v9, vcc_lo, 0, v10, vcc_lo
	s_delay_alu instid0(VALU_DEP_2) | instskip(NEXT) | instid1(VALU_DEP_2)
	v_add_co_u32 v0, vcc_lo, v0, v8
	v_add_co_ci_u32_e32 v7, vcc_lo, v7, v9, vcc_lo
	s_delay_alu instid0(VALU_DEP_2) | instskip(SKIP_1) | instid1(VALU_DEP_3)
	v_mul_hi_u32 v8, s2, v0
	v_mul_lo_u32 v10, s14, v0
	v_mul_lo_u32 v9, s2, v7
	s_delay_alu instid0(VALU_DEP_1) | instskip(SKIP_1) | instid1(VALU_DEP_2)
	v_add_nc_u32_e32 v8, v8, v9
	v_mul_lo_u32 v9, s2, v0
	v_add_nc_u32_e32 v8, v8, v10
	s_delay_alu instid0(VALU_DEP_2) | instskip(NEXT) | instid1(VALU_DEP_2)
	v_mul_hi_u32 v10, v0, v9
	v_mul_lo_u32 v11, v0, v8
	v_mul_hi_u32 v12, v0, v8
	v_mul_hi_u32 v14, v7, v9
	v_mul_lo_u32 v9, v7, v9
	v_mul_hi_u32 v15, v7, v8
	v_mul_lo_u32 v8, v7, v8
	v_add_co_u32 v10, vcc_lo, v10, v11
	v_add_co_ci_u32_e32 v11, vcc_lo, 0, v12, vcc_lo
	s_delay_alu instid0(VALU_DEP_2) | instskip(NEXT) | instid1(VALU_DEP_2)
	v_add_co_u32 v9, vcc_lo, v10, v9
	v_add_co_ci_u32_e32 v9, vcc_lo, v11, v14, vcc_lo
	v_add_co_ci_u32_e32 v10, vcc_lo, 0, v15, vcc_lo
	v_add_co_u32 v3, vcc_lo, v3, v13
	v_add_co_ci_u32_e32 v4, vcc_lo, v4, v13, vcc_lo
	s_delay_alu instid0(VALU_DEP_4) | instskip(NEXT) | instid1(VALU_DEP_4)
	v_add_co_u32 v8, vcc_lo, v9, v8
	v_add_co_ci_u32_e32 v9, vcc_lo, 0, v10, vcc_lo
	s_delay_alu instid0(VALU_DEP_4) | instskip(NEXT) | instid1(VALU_DEP_3)
	v_xor_b32_e32 v11, v3, v13
	v_add_co_u32 v0, vcc_lo, v0, v8
	s_delay_alu instid0(VALU_DEP_3) | instskip(SKIP_1) | instid1(VALU_DEP_3)
	v_add_co_ci_u32_e32 v12, vcc_lo, v7, v9, vcc_lo
	v_xor_b32_e32 v14, v4, v13
	v_mul_hi_u32 v15, v11, v0
	s_delay_alu instid0(VALU_DEP_3) | instskip(NEXT) | instid1(VALU_DEP_3)
	v_mad_u64_u32 v[3:4], null, v11, v12, 0
	v_mad_u64_u32 v[7:8], null, v14, v0, 0
	v_mad_u64_u32 v[9:10], null, v14, v12, 0
	s_delay_alu instid0(VALU_DEP_3) | instskip(NEXT) | instid1(VALU_DEP_4)
	v_add_co_u32 v0, vcc_lo, v15, v3
	v_add_co_ci_u32_e32 v3, vcc_lo, 0, v4, vcc_lo
	s_delay_alu instid0(VALU_DEP_2) | instskip(NEXT) | instid1(VALU_DEP_2)
	v_add_co_u32 v0, vcc_lo, v0, v7
	v_add_co_ci_u32_e32 v0, vcc_lo, v3, v8, vcc_lo
	v_add_co_ci_u32_e32 v3, vcc_lo, 0, v10, vcc_lo
	s_delay_alu instid0(VALU_DEP_2) | instskip(NEXT) | instid1(VALU_DEP_2)
	v_add_co_u32 v0, vcc_lo, v0, v9
	v_add_co_ci_u32_e32 v7, vcc_lo, 0, v3, vcc_lo
	s_delay_alu instid0(VALU_DEP_2) | instskip(SKIP_1) | instid1(VALU_DEP_3)
	v_mul_lo_u32 v8, s9, v0
	v_mad_u64_u32 v[3:4], null, s8, v0, 0
	v_mul_lo_u32 v9, s8, v7
	s_delay_alu instid0(VALU_DEP_2) | instskip(NEXT) | instid1(VALU_DEP_2)
	v_sub_co_u32 v3, vcc_lo, v11, v3
	v_add3_u32 v4, v4, v9, v8
	s_delay_alu instid0(VALU_DEP_1) | instskip(NEXT) | instid1(VALU_DEP_1)
	v_sub_nc_u32_e32 v8, v14, v4
	v_subrev_co_ci_u32_e64 v8, s2, s9, v8, vcc_lo
	v_add_co_u32 v9, s2, v0, 2
	s_delay_alu instid0(VALU_DEP_1) | instskip(SKIP_3) | instid1(VALU_DEP_3)
	v_add_co_ci_u32_e64 v10, s2, 0, v7, s2
	v_sub_co_u32 v11, s2, v3, s8
	v_sub_co_ci_u32_e32 v4, vcc_lo, v14, v4, vcc_lo
	v_subrev_co_ci_u32_e64 v8, s2, 0, v8, s2
	v_cmp_le_u32_e32 vcc_lo, s8, v11
	s_delay_alu instid0(VALU_DEP_3) | instskip(SKIP_1) | instid1(VALU_DEP_4)
	v_cmp_eq_u32_e64 s2, s9, v4
	v_cndmask_b32_e64 v11, 0, -1, vcc_lo
	v_cmp_le_u32_e32 vcc_lo, s9, v8
	v_cndmask_b32_e64 v12, 0, -1, vcc_lo
	v_cmp_le_u32_e32 vcc_lo, s8, v3
	;; [unrolled: 2-line block ×3, first 2 shown]
	v_cndmask_b32_e64 v14, 0, -1, vcc_lo
	v_cmp_eq_u32_e32 vcc_lo, s9, v8
	s_delay_alu instid0(VALU_DEP_2) | instskip(SKIP_3) | instid1(VALU_DEP_3)
	v_cndmask_b32_e64 v3, v14, v3, s2
	v_cndmask_b32_e32 v8, v12, v11, vcc_lo
	v_add_co_u32 v11, vcc_lo, v0, 1
	v_add_co_ci_u32_e32 v12, vcc_lo, 0, v7, vcc_lo
	v_cmp_ne_u32_e32 vcc_lo, 0, v8
	s_delay_alu instid0(VALU_DEP_2) | instskip(NEXT) | instid1(VALU_DEP_4)
	v_cndmask_b32_e32 v4, v12, v10, vcc_lo
	v_cndmask_b32_e32 v8, v11, v9, vcc_lo
	v_cmp_ne_u32_e32 vcc_lo, 0, v3
	v_xor_b32_e32 v3, s4, v13
	s_delay_alu instid0(VALU_DEP_3) | instskip(SKIP_2) | instid1(VALU_DEP_3)
	v_cndmask_b32_e32 v0, v0, v8, vcc_lo
	v_cndmask_b32_e32 v4, v7, v4, vcc_lo
	v_xor_b32_e32 v8, s5, v13
	v_xor_b32_e32 v0, v0, v3
	s_delay_alu instid0(VALU_DEP_2) | instskip(NEXT) | instid1(VALU_DEP_2)
	v_xor_b32_e32 v4, v4, v8
	v_sub_co_u32 v7, vcc_lo, v0, v3
	s_delay_alu instid0(VALU_DEP_2)
	v_sub_co_ci_u32_e32 v8, vcc_lo, v4, v8, vcc_lo
                                        ; implicit-def: $vgpr3_vgpr4
.LBB62_18:
	s_or_saveexec_b32 s2, s3
	v_cvt_f32_u32_e32 v9, s6
	s_xor_b32 exec_lo, exec_lo, s2
	s_cbranch_execz .LBB62_20
; %bb.19:
	s_delay_alu instid0(VALU_DEP_1) | instskip(SKIP_4) | instid1(VALU_DEP_1)
	v_rcp_iflag_f32_e32 v0, v9
	s_sub_i32 s3, 0, s6
	v_mov_b32_e32 v8, 0
	s_waitcnt_depctr 0xfff
	v_mul_f32_e32 v0, 0x4f7ffffe, v0
	v_cvt_u32_f32_e32 v0, v0
	s_delay_alu instid0(VALU_DEP_1) | instskip(NEXT) | instid1(VALU_DEP_1)
	v_mul_lo_u32 v4, s3, v0
	v_mul_hi_u32 v4, v0, v4
	s_delay_alu instid0(VALU_DEP_1) | instskip(NEXT) | instid1(VALU_DEP_1)
	v_add_nc_u32_e32 v0, v0, v4
	v_mul_hi_u32 v0, v3, v0
	s_delay_alu instid0(VALU_DEP_1) | instskip(NEXT) | instid1(VALU_DEP_1)
	v_mul_lo_u32 v4, v0, s6
	v_sub_nc_u32_e32 v3, v3, v4
	v_add_nc_u32_e32 v4, 1, v0
	s_delay_alu instid0(VALU_DEP_2) | instskip(SKIP_1) | instid1(VALU_DEP_2)
	v_subrev_nc_u32_e32 v7, s6, v3
	v_cmp_le_u32_e32 vcc_lo, s6, v3
	v_dual_cndmask_b32 v3, v3, v7 :: v_dual_cndmask_b32 v0, v0, v4
	s_delay_alu instid0(VALU_DEP_1) | instskip(NEXT) | instid1(VALU_DEP_2)
	v_cmp_le_u32_e32 vcc_lo, s6, v3
	v_add_nc_u32_e32 v4, 1, v0
	s_delay_alu instid0(VALU_DEP_1)
	v_cndmask_b32_e32 v7, v0, v4, vcc_lo
.LBB62_20:
	s_or_b32 exec_lo, exec_lo, s2
	v_mad_u64_u32 v[3:4], null, s16, s10, v[5:6]
	s_mul_i32 s2, s17, s10
	s_mul_i32 s3, s16, s11
	s_delay_alu instid0(VALU_DEP_1) | instid1(SALU_CYCLE_1)
	v_add3_u32 v0, s3, s2, v4
	s_delay_alu instid0(VALU_DEP_2) | instskip(SKIP_1) | instid1(VALU_DEP_2)
	v_add_co_u32 v3, vcc_lo, v3, v7
	s_load_b64 s[2:3], s[0:1], 0x10
	v_add_co_ci_u32_e32 v0, vcc_lo, v0, v8, vcc_lo
	s_delay_alu instid0(VALU_DEP_1) | instskip(NEXT) | instid1(VALU_DEP_1)
	v_ashrrev_i32_e32 v4, 31, v0
	v_lshrrev_b32_e32 v4, 30, v4
	s_delay_alu instid0(VALU_DEP_1) | instskip(SKIP_1) | instid1(VALU_DEP_2)
	v_add_co_u32 v3, vcc_lo, v3, v4
	v_add_co_ci_u32_e32 v0, vcc_lo, 0, v0, vcc_lo
	v_and_b32_e32 v3, -4, v3
	s_delay_alu instid0(VALU_DEP_1) | instskip(NEXT) | instid1(VALU_DEP_3)
	v_add_co_u32 v3, vcc_lo, s12, v3
	v_add_co_ci_u32_e32 v4, vcc_lo, s13, v0, vcc_lo
	global_load_b32 v0, v[3:4], off
	v_mov_b32_e32 v3, 0
	v_or_b32_e32 v4, s7, v2
	s_delay_alu instid0(VALU_DEP_1) | instskip(SKIP_1) | instid1(SALU_CYCLE_1)
	v_cmp_ne_u64_e32 vcc_lo, 0, v[3:4]
                                        ; implicit-def: $vgpr3_vgpr4
	s_and_saveexec_b32 s0, vcc_lo
	s_xor_b32 s1, exec_lo, s0
	s_cbranch_execz .LBB62_22
; %bb.21:
	s_add_u32 s8, s6, s7
	s_mov_b32 s4, s7
	s_mov_b32 s5, s7
	s_addc_u32 s9, s7, s7
	s_delay_alu instid0(SALU_CYCLE_1) | instskip(NEXT) | instid1(SALU_CYCLE_1)
	s_xor_b64 s[8:9], s[8:9], s[4:5]
	v_cvt_f32_u32_e32 v3, s8
	v_cvt_f32_u32_e32 v4, s9
	s_sub_u32 s0, 0, s8
	s_subb_u32 s7, 0, s9
	s_delay_alu instid0(VALU_DEP_1) | instskip(NEXT) | instid1(VALU_DEP_1)
	v_fmamk_f32 v3, v4, 0x4f800000, v3
	v_rcp_f32_e32 v3, v3
	s_waitcnt_depctr 0xfff
	v_mul_f32_e32 v3, 0x5f7ffffc, v3
	s_delay_alu instid0(VALU_DEP_1) | instskip(NEXT) | instid1(VALU_DEP_1)
	v_mul_f32_e32 v4, 0x2f800000, v3
	v_trunc_f32_e32 v4, v4
	s_delay_alu instid0(VALU_DEP_1) | instskip(SKIP_1) | instid1(VALU_DEP_2)
	v_fmamk_f32 v3, v4, 0xcf800000, v3
	v_cvt_u32_f32_e32 v4, v4
	v_cvt_u32_f32_e32 v3, v3
	s_delay_alu instid0(VALU_DEP_2) | instskip(NEXT) | instid1(VALU_DEP_2)
	v_mul_lo_u32 v5, s0, v4
	v_mul_hi_u32 v6, s0, v3
	v_mul_lo_u32 v7, s7, v3
	s_delay_alu instid0(VALU_DEP_2) | instskip(SKIP_1) | instid1(VALU_DEP_2)
	v_add_nc_u32_e32 v5, v6, v5
	v_mul_lo_u32 v6, s0, v3
	v_add_nc_u32_e32 v5, v5, v7
	s_delay_alu instid0(VALU_DEP_2) | instskip(NEXT) | instid1(VALU_DEP_2)
	v_mul_hi_u32 v7, v3, v6
	v_mul_lo_u32 v8, v3, v5
	v_mul_hi_u32 v9, v3, v5
	v_mul_hi_u32 v10, v4, v6
	v_mul_lo_u32 v6, v4, v6
	v_mul_hi_u32 v11, v4, v5
	v_mul_lo_u32 v5, v4, v5
	v_add_co_u32 v7, vcc_lo, v7, v8
	v_add_co_ci_u32_e32 v8, vcc_lo, 0, v9, vcc_lo
	s_delay_alu instid0(VALU_DEP_2) | instskip(NEXT) | instid1(VALU_DEP_2)
	v_add_co_u32 v6, vcc_lo, v7, v6
	v_add_co_ci_u32_e32 v6, vcc_lo, v8, v10, vcc_lo
	v_add_co_ci_u32_e32 v7, vcc_lo, 0, v11, vcc_lo
	v_ashrrev_i32_e32 v10, 31, v2
	s_delay_alu instid0(VALU_DEP_3) | instskip(NEXT) | instid1(VALU_DEP_3)
	v_add_co_u32 v5, vcc_lo, v6, v5
	v_add_co_ci_u32_e32 v6, vcc_lo, 0, v7, vcc_lo
	s_delay_alu instid0(VALU_DEP_2) | instskip(NEXT) | instid1(VALU_DEP_2)
	v_add_co_u32 v3, vcc_lo, v3, v5
	v_add_co_ci_u32_e32 v4, vcc_lo, v4, v6, vcc_lo
	s_delay_alu instid0(VALU_DEP_2) | instskip(SKIP_1) | instid1(VALU_DEP_3)
	v_mul_hi_u32 v5, s0, v3
	v_mul_lo_u32 v7, s7, v3
	v_mul_lo_u32 v6, s0, v4
	s_delay_alu instid0(VALU_DEP_1) | instskip(SKIP_1) | instid1(VALU_DEP_2)
	v_add_nc_u32_e32 v5, v5, v6
	v_mul_lo_u32 v6, s0, v3
	v_add_nc_u32_e32 v5, v5, v7
	s_delay_alu instid0(VALU_DEP_2) | instskip(NEXT) | instid1(VALU_DEP_2)
	v_mul_hi_u32 v7, v3, v6
	v_mul_lo_u32 v8, v3, v5
	v_mul_hi_u32 v9, v3, v5
	v_mul_hi_u32 v11, v4, v6
	v_mul_lo_u32 v6, v4, v6
	v_mul_hi_u32 v12, v4, v5
	v_mul_lo_u32 v5, v4, v5
	v_add_co_u32 v7, vcc_lo, v7, v8
	v_add_co_ci_u32_e32 v8, vcc_lo, 0, v9, vcc_lo
	s_delay_alu instid0(VALU_DEP_2) | instskip(NEXT) | instid1(VALU_DEP_2)
	v_add_co_u32 v6, vcc_lo, v7, v6
	v_add_co_ci_u32_e32 v6, vcc_lo, v8, v11, vcc_lo
	v_add_co_ci_u32_e32 v7, vcc_lo, 0, v12, vcc_lo
	v_add_co_u32 v1, vcc_lo, v1, v10
	v_add_co_ci_u32_e32 v2, vcc_lo, v2, v10, vcc_lo
	s_delay_alu instid0(VALU_DEP_4) | instskip(NEXT) | instid1(VALU_DEP_4)
	v_add_co_u32 v5, vcc_lo, v6, v5
	v_add_co_ci_u32_e32 v6, vcc_lo, 0, v7, vcc_lo
	s_delay_alu instid0(VALU_DEP_4) | instskip(NEXT) | instid1(VALU_DEP_3)
	v_xor_b32_e32 v7, v1, v10
	v_add_co_u32 v5, vcc_lo, v3, v5
	s_delay_alu instid0(VALU_DEP_3) | instskip(SKIP_1) | instid1(VALU_DEP_3)
	v_add_co_ci_u32_e32 v8, vcc_lo, v4, v6, vcc_lo
	v_xor_b32_e32 v9, v2, v10
	v_mul_hi_u32 v11, v7, v5
	s_delay_alu instid0(VALU_DEP_3) | instskip(NEXT) | instid1(VALU_DEP_3)
	v_mad_u64_u32 v[1:2], null, v7, v8, 0
	v_mad_u64_u32 v[3:4], null, v9, v5, 0
	;; [unrolled: 1-line block ×3, first 2 shown]
	s_delay_alu instid0(VALU_DEP_3) | instskip(NEXT) | instid1(VALU_DEP_4)
	v_add_co_u32 v1, vcc_lo, v11, v1
	v_add_co_ci_u32_e32 v2, vcc_lo, 0, v2, vcc_lo
	s_delay_alu instid0(VALU_DEP_2) | instskip(NEXT) | instid1(VALU_DEP_2)
	v_add_co_u32 v1, vcc_lo, v1, v3
	v_add_co_ci_u32_e32 v1, vcc_lo, v2, v4, vcc_lo
	v_add_co_ci_u32_e32 v2, vcc_lo, 0, v6, vcc_lo
	s_delay_alu instid0(VALU_DEP_2) | instskip(NEXT) | instid1(VALU_DEP_2)
	v_add_co_u32 v3, vcc_lo, v1, v5
	v_add_co_ci_u32_e32 v4, vcc_lo, 0, v2, vcc_lo
	s_delay_alu instid0(VALU_DEP_2) | instskip(SKIP_1) | instid1(VALU_DEP_3)
	v_mul_lo_u32 v5, s9, v3
	v_mad_u64_u32 v[1:2], null, s8, v3, 0
	v_mul_lo_u32 v6, s8, v4
	s_delay_alu instid0(VALU_DEP_2) | instskip(NEXT) | instid1(VALU_DEP_2)
	v_sub_co_u32 v1, vcc_lo, v7, v1
	v_add3_u32 v2, v2, v6, v5
	s_delay_alu instid0(VALU_DEP_1) | instskip(NEXT) | instid1(VALU_DEP_1)
	v_sub_nc_u32_e32 v5, v9, v2
	v_subrev_co_ci_u32_e64 v5, s0, s9, v5, vcc_lo
	v_add_co_u32 v6, s0, v3, 2
	s_delay_alu instid0(VALU_DEP_1) | instskip(SKIP_3) | instid1(VALU_DEP_3)
	v_add_co_ci_u32_e64 v7, s0, 0, v4, s0
	v_sub_co_u32 v8, s0, v1, s8
	v_sub_co_ci_u32_e32 v2, vcc_lo, v9, v2, vcc_lo
	v_subrev_co_ci_u32_e64 v5, s0, 0, v5, s0
	v_cmp_le_u32_e32 vcc_lo, s8, v8
	s_delay_alu instid0(VALU_DEP_3) | instskip(SKIP_1) | instid1(VALU_DEP_4)
	v_cmp_eq_u32_e64 s0, s9, v2
	v_cndmask_b32_e64 v8, 0, -1, vcc_lo
	v_cmp_le_u32_e32 vcc_lo, s9, v5
	v_cndmask_b32_e64 v9, 0, -1, vcc_lo
	v_cmp_le_u32_e32 vcc_lo, s8, v1
	;; [unrolled: 2-line block ×3, first 2 shown]
	v_cndmask_b32_e64 v11, 0, -1, vcc_lo
	v_cmp_eq_u32_e32 vcc_lo, s9, v5
	s_delay_alu instid0(VALU_DEP_2) | instskip(SKIP_3) | instid1(VALU_DEP_3)
	v_cndmask_b32_e64 v1, v11, v1, s0
	v_cndmask_b32_e32 v5, v9, v8, vcc_lo
	v_add_co_u32 v8, vcc_lo, v3, 1
	v_add_co_ci_u32_e32 v9, vcc_lo, 0, v4, vcc_lo
	v_cmp_ne_u32_e32 vcc_lo, 0, v5
	s_delay_alu instid0(VALU_DEP_2) | instskip(SKIP_2) | instid1(VALU_DEP_3)
	v_dual_cndmask_b32 v2, v9, v7 :: v_dual_cndmask_b32 v5, v8, v6
	v_cmp_ne_u32_e32 vcc_lo, 0, v1
	v_xor_b32_e32 v1, s4, v10
                                        ; implicit-def: $vgpr9
	v_dual_cndmask_b32 v3, v3, v5 :: v_dual_cndmask_b32 v2, v4, v2
	v_xor_b32_e32 v4, s5, v10
	s_delay_alu instid0(VALU_DEP_2) | instskip(NEXT) | instid1(VALU_DEP_2)
	v_xor_b32_e32 v3, v3, v1
	v_xor_b32_e32 v2, v2, v4
	s_delay_alu instid0(VALU_DEP_2) | instskip(NEXT) | instid1(VALU_DEP_2)
	v_sub_co_u32 v3, vcc_lo, v3, v1
	v_sub_co_ci_u32_e32 v4, vcc_lo, v2, v4, vcc_lo
                                        ; implicit-def: $vgpr1_vgpr2
.LBB62_22:
	s_and_not1_saveexec_b32 s0, s1
	s_cbranch_execz .LBB62_24
; %bb.23:
	v_rcp_iflag_f32_e32 v2, v9
	s_sub_i32 s1, 0, s6
	s_waitcnt_depctr 0xfff
	v_mul_f32_e32 v2, 0x4f7ffffe, v2
	s_delay_alu instid0(VALU_DEP_1) | instskip(NEXT) | instid1(VALU_DEP_1)
	v_cvt_u32_f32_e32 v2, v2
	v_mul_lo_u32 v3, s1, v2
	s_delay_alu instid0(VALU_DEP_1) | instskip(NEXT) | instid1(VALU_DEP_1)
	v_mul_hi_u32 v3, v2, v3
	v_add_nc_u32_e32 v2, v2, v3
	s_delay_alu instid0(VALU_DEP_1) | instskip(NEXT) | instid1(VALU_DEP_1)
	v_mul_hi_u32 v2, v1, v2
	v_mul_lo_u32 v3, v2, s6
	s_delay_alu instid0(VALU_DEP_1) | instskip(SKIP_1) | instid1(VALU_DEP_2)
	v_sub_nc_u32_e32 v1, v1, v3
	v_add_nc_u32_e32 v3, 1, v2
	v_subrev_nc_u32_e32 v4, s6, v1
	v_cmp_le_u32_e32 vcc_lo, s6, v1
	s_delay_alu instid0(VALU_DEP_2) | instskip(NEXT) | instid1(VALU_DEP_4)
	v_dual_cndmask_b32 v1, v1, v4 :: v_dual_mov_b32 v4, 0
	v_cndmask_b32_e32 v2, v2, v3, vcc_lo
	s_delay_alu instid0(VALU_DEP_2) | instskip(NEXT) | instid1(VALU_DEP_2)
	v_cmp_le_u32_e32 vcc_lo, s6, v1
	v_add_nc_u32_e32 v3, 1, v2
	s_delay_alu instid0(VALU_DEP_1)
	v_cndmask_b32_e32 v3, v2, v3, vcc_lo
.LBB62_24:
	s_or_b32 exec_lo, exec_lo, s0
	s_delay_alu instid0(VALU_DEP_1) | instskip(SKIP_1) | instid1(VALU_DEP_1)
	v_lshlrev_b64 v[1:2], 2, v[3:4]
	s_waitcnt lgkmcnt(0)
	v_add_co_u32 v1, vcc_lo, s2, v1
	s_delay_alu instid0(VALU_DEP_2)
	v_add_co_ci_u32_e32 v2, vcc_lo, s3, v2, vcc_lo
	s_waitcnt vmcnt(0)
	global_store_b32 v[1:2], v0, off
.LBB62_25:
	s_nop 0
	s_sendmsg sendmsg(MSG_DEALLOC_VGPRS)
	s_endpgm
	.section	.rodata,"a",@progbits
	.p2align	6, 0x0
	.amdhsa_kernel _ZN4vllm38cp_gather_indexer_k_quant_cache_kernelILi4EEEvPKcPcS3_PKiS5_illllliii
		.amdhsa_group_segment_fixed_size 16
		.amdhsa_private_segment_fixed_size 0
		.amdhsa_kernarg_size 360
		.amdhsa_user_sgpr_count 14
		.amdhsa_user_sgpr_dispatch_ptr 0
		.amdhsa_user_sgpr_queue_ptr 0
		.amdhsa_user_sgpr_kernarg_segment_ptr 1
		.amdhsa_user_sgpr_dispatch_id 0
		.amdhsa_user_sgpr_private_segment_size 0
		.amdhsa_wavefront_size32 1
		.amdhsa_uses_dynamic_stack 0
		.amdhsa_enable_private_segment 0
		.amdhsa_system_sgpr_workgroup_id_x 1
		.amdhsa_system_sgpr_workgroup_id_y 1
		.amdhsa_system_sgpr_workgroup_id_z 0
		.amdhsa_system_sgpr_workgroup_info 0
		.amdhsa_system_vgpr_workitem_id 1
		.amdhsa_next_free_vgpr 19
		.amdhsa_next_free_sgpr 26
		.amdhsa_reserve_vcc 1
		.amdhsa_float_round_mode_32 0
		.amdhsa_float_round_mode_16_64 0
		.amdhsa_float_denorm_mode_32 3
		.amdhsa_float_denorm_mode_16_64 3
		.amdhsa_dx10_clamp 1
		.amdhsa_ieee_mode 1
		.amdhsa_fp16_overflow 0
		.amdhsa_workgroup_processor_mode 1
		.amdhsa_memory_ordered 1
		.amdhsa_forward_progress 0
		.amdhsa_shared_vgpr_count 0
		.amdhsa_exception_fp_ieee_invalid_op 0
		.amdhsa_exception_fp_denorm_src 0
		.amdhsa_exception_fp_ieee_div_zero 0
		.amdhsa_exception_fp_ieee_overflow 0
		.amdhsa_exception_fp_ieee_underflow 0
		.amdhsa_exception_fp_ieee_inexact 0
		.amdhsa_exception_int_div_zero 0
	.end_amdhsa_kernel
	.section	.text._ZN4vllm38cp_gather_indexer_k_quant_cache_kernelILi4EEEvPKcPcS3_PKiS5_illllliii,"axG",@progbits,_ZN4vllm38cp_gather_indexer_k_quant_cache_kernelILi4EEEvPKcPcS3_PKiS5_illllliii,comdat
.Lfunc_end62:
	.size	_ZN4vllm38cp_gather_indexer_k_quant_cache_kernelILi4EEEvPKcPcS3_PKiS5_illllliii, .Lfunc_end62-_ZN4vllm38cp_gather_indexer_k_quant_cache_kernelILi4EEEvPKcPcS3_PKiS5_illllliii
                                        ; -- End function
	.section	.AMDGPU.csdata,"",@progbits
; Kernel info:
; codeLenInByte = 4192
; NumSgprs: 28
; NumVgprs: 19
; ScratchSize: 0
; MemoryBound: 0
; FloatMode: 240
; IeeeMode: 1
; LDSByteSize: 16 bytes/workgroup (compile time only)
; SGPRBlocks: 3
; VGPRBlocks: 2
; NumSGPRsForWavesPerEU: 28
; NumVGPRsForWavesPerEU: 19
; Occupancy: 16
; WaveLimiterHint : 1
; COMPUTE_PGM_RSRC2:SCRATCH_EN: 0
; COMPUTE_PGM_RSRC2:USER_SGPR: 14
; COMPUTE_PGM_RSRC2:TRAP_HANDLER: 0
; COMPUTE_PGM_RSRC2:TGID_X_EN: 1
; COMPUTE_PGM_RSRC2:TGID_Y_EN: 1
; COMPUTE_PGM_RSRC2:TGID_Z_EN: 0
; COMPUTE_PGM_RSRC2:TIDIG_COMP_CNT: 1
	.section	.text._ZN4vllm38cp_gather_indexer_k_quant_cache_kernelILi8EEEvPKcPcS3_PKiS5_illllliii,"axG",@progbits,_ZN4vllm38cp_gather_indexer_k_quant_cache_kernelILi8EEEvPKcPcS3_PKiS5_illllliii,comdat
	.protected	_ZN4vllm38cp_gather_indexer_k_quant_cache_kernelILi8EEEvPKcPcS3_PKiS5_illllliii ; -- Begin function _ZN4vllm38cp_gather_indexer_k_quant_cache_kernelILi8EEEvPKcPcS3_PKiS5_illllliii
	.globl	_ZN4vllm38cp_gather_indexer_k_quant_cache_kernelILi8EEEvPKcPcS3_PKiS5_illllliii
	.p2align	8
	.type	_ZN4vllm38cp_gather_indexer_k_quant_cache_kernelILi8EEEvPKcPcS3_PKiS5_illllliii,@function
_ZN4vllm38cp_gather_indexer_k_quant_cache_kernelILi8EEEvPKcPcS3_PKiS5_illllliii: ; @_ZN4vllm38cp_gather_indexer_k_quant_cache_kernelILi8EEEvPKcPcS3_PKiS5_illllliii
; %bb.0:
	s_clause 0x1
	s_load_b64 s[12:13], s[0:1], 0x20
	s_load_b32 s5, s[0:1], 0x74
	v_and_b32_e32 v4, 0x3ff, v0
	v_bfe_u32 v2, v0, 10, 10
	s_delay_alu instid0(VALU_DEP_2) | instskip(NEXT) | instid1(VALU_DEP_2)
	v_cmp_eq_u32_e64 s2, 0, v4
	v_lshlrev_b32_e32 v5, 2, v2
	s_delay_alu instid0(VALU_DEP_2)
	s_and_saveexec_b32 s3, s2
	s_cbranch_execz .LBB63_2
; %bb.1:
	v_mov_b32_e32 v0, -1
	ds_store_b32 v5, v0
.LBB63_2:
	s_or_b32 exec_lo, exec_lo, s3
	s_waitcnt lgkmcnt(0)
	s_and_b32 s3, s5, 0xffff
	s_load_b32 s4, s[0:1], 0x28
	v_cvt_f32_u32_e32 v0, s3
	s_sub_i32 s7, 0, s3
	s_lshr_b32 s5, s5, 16
	s_waitcnt lgkmcnt(0)
	s_barrier
	v_rcp_iflag_f32_e32 v0, v0
	buffer_gl0_inv
	v_mul_f32_e32 v0, 0x4f7ffffe, v0
	s_add_i32 s8, s4, s3
	s_delay_alu instid0(VALU_DEP_1) | instskip(SKIP_1) | instid1(SALU_CYCLE_1)
	v_cvt_u32_f32_e32 v0, v0
	s_add_i32 s8, s8, -1
	s_abs_i32 s9, s8
	s_ashr_i32 s8, s8, 31
	s_delay_alu instid0(VALU_DEP_1) | instskip(SKIP_1) | instid1(VALU_DEP_2)
	v_readfirstlane_b32 s6, v0
	v_mad_u64_u32 v[0:1], null, s14, s5, v[2:3]
	s_mul_i32 s7, s7, s6
	s_delay_alu instid0(SALU_CYCLE_1) | instskip(NEXT) | instid1(SALU_CYCLE_1)
	s_mul_hi_u32 s7, s6, s7
	s_add_i32 s6, s6, s7
	s_delay_alu instid0(SALU_CYCLE_1) | instskip(NEXT) | instid1(SALU_CYCLE_1)
	s_mul_hi_u32 s6, s9, s6
	s_mul_i32 s7, s6, s3
	s_delay_alu instid0(SALU_CYCLE_1)
	s_sub_i32 s7, s9, s7
	s_add_i32 s9, s6, 1
	s_sub_i32 s10, s7, s3
	s_cmp_ge_u32 s7, s3
	s_cselect_b32 s6, s9, s6
	s_cselect_b32 s7, s10, s7
	s_add_i32 s9, s6, 1
	s_cmp_ge_u32 s7, s3
	s_cselect_b32 s6, s9, s6
	s_delay_alu instid0(SALU_CYCLE_1) | instskip(NEXT) | instid1(SALU_CYCLE_1)
	s_xor_b32 s5, s6, s8
	s_sub_i32 s5, s5, s8
	s_delay_alu instid0(SALU_CYCLE_1)
	s_cmp_lt_i32 s5, 1
	s_cbranch_scc1 .LBB63_9
; %bb.3:
	v_mov_b32_e32 v1, v4
	s_set_inst_prefetch_distance 0x1
	s_branch .LBB63_5
	.p2align	6
.LBB63_4:                               ;   in Loop: Header=BB63_5 Depth=1
	s_or_b32 exec_lo, exec_lo, s6
	v_add_nc_u32_e32 v1, s3, v1
	s_add_i32 s5, s5, -1
	s_delay_alu instid0(SALU_CYCLE_1)
	s_cmp_eq_u32 s5, 0
	s_cbranch_scc1 .LBB63_9
.LBB63_5:                               ; =>This Inner Loop Header: Depth=1
	s_mov_b32 s6, exec_lo
	s_delay_alu instid0(VALU_DEP_1)
	v_cmpx_gt_i32_e64 s4, v1
	s_cbranch_execz .LBB63_4
; %bb.6:                                ;   in Loop: Header=BB63_5 Depth=1
	v_ashrrev_i32_e32 v2, 31, v1
	s_delay_alu instid0(VALU_DEP_1) | instskip(NEXT) | instid1(VALU_DEP_1)
	v_lshlrev_b64 v[2:3], 2, v[1:2]
	v_add_co_u32 v2, vcc_lo, s12, v2
	s_delay_alu instid0(VALU_DEP_2)
	v_add_co_ci_u32_e32 v3, vcc_lo, s13, v3, vcc_lo
	global_load_b32 v6, v[2:3], off
	s_waitcnt vmcnt(0)
	v_cmp_ge_i32_e32 vcc_lo, v0, v6
	s_and_b32 exec_lo, exec_lo, vcc_lo
	s_cbranch_execz .LBB63_4
; %bb.7:                                ;   in Loop: Header=BB63_5 Depth=1
	global_load_b32 v2, v[2:3], off offset:4
	s_waitcnt vmcnt(0)
	v_cmp_lt_i32_e32 vcc_lo, v0, v2
	s_and_b32 exec_lo, exec_lo, vcc_lo
	s_cbranch_execz .LBB63_4
; %bb.8:                                ;   in Loop: Header=BB63_5 Depth=1
	ds_store_b32 v5, v1
	s_branch .LBB63_4
.LBB63_9:
	s_set_inst_prefetch_distance 0x2
	s_load_b128 s[8:11], s[0:1], 0x30
	s_mul_i32 s15, s15, s3
	s_waitcnt lgkmcnt(0)
	v_add_lshl_u32 v3, s15, v4, 4
	s_barrier
	buffer_gl0_inv
	s_mov_b32 s3, exec_lo
	v_ashrrev_i32_e32 v4, 31, v3
	s_delay_alu instid0(VALU_DEP_1)
	v_cmpx_gt_i64_e64 s[10:11], v[3:4]
	s_cbranch_execz .LBB63_25
; %bb.10:
	s_load_b128 s[4:7], s[0:1], 0x58
	ds_load_b32 v1, v5
	s_waitcnt lgkmcnt(0)
	v_cmp_gt_i32_e32 vcc_lo, s5, v0
	v_cmp_lt_i32_e64 s3, -1, v1
	s_delay_alu instid0(VALU_DEP_1) | instskip(NEXT) | instid1(SALU_CYCLE_1)
	s_and_b32 s3, vcc_lo, s3
	s_and_b32 exec_lo, exec_lo, s3
	s_cbranch_execz .LBB63_25
; %bb.11:
	v_mov_b32_e32 v2, 0
	s_delay_alu instid0(VALU_DEP_1) | instskip(NEXT) | instid1(VALU_DEP_1)
	v_lshlrev_b64 v[5:6], 2, v[1:2]
	v_add_co_u32 v5, vcc_lo, s12, v5
	s_delay_alu instid0(VALU_DEP_2)
	v_add_co_ci_u32_e32 v6, vcc_lo, s13, v6, vcc_lo
	global_load_b32 v5, v[5:6], off
	s_clause 0x3
	s_load_b64 s[16:17], s[0:1], 0x50
	s_load_b64 s[18:19], s[0:1], 0x40
	s_load_b128 s[12:15], s[0:1], 0x0
	s_load_b64 s[20:21], s[0:1], 0x18
	s_waitcnt vmcnt(0)
	v_sub_nc_u32_e32 v7, v0, v5
	v_mov_b32_e32 v5, v2
	s_delay_alu instid0(VALU_DEP_2) | instskip(SKIP_1) | instid1(VALU_DEP_1)
	v_ashrrev_i32_e32 v8, 31, v7
	s_waitcnt lgkmcnt(0)
	v_or_b32_e32 v6, s17, v8
	s_delay_alu instid0(VALU_DEP_1) | instskip(SKIP_1) | instid1(SALU_CYCLE_1)
	v_cmp_ne_u64_e32 vcc_lo, 0, v[5:6]
                                        ; implicit-def: $vgpr5_vgpr6
	s_and_saveexec_b32 s3, vcc_lo
	s_xor_b32 s5, exec_lo, s3
	s_cbranch_execz .LBB63_13
; %bb.12:
	s_ashr_i32 s22, s17, 31
	s_delay_alu instid0(SALU_CYCLE_1) | instskip(SKIP_2) | instid1(SALU_CYCLE_1)
	s_add_u32 s24, s16, s22
	s_mov_b32 s23, s22
	s_addc_u32 s25, s17, s22
	s_xor_b64 s[24:25], s[24:25], s[22:23]
	s_delay_alu instid0(SALU_CYCLE_1) | instskip(SKIP_3) | instid1(VALU_DEP_1)
	v_cvt_f32_u32_e32 v2, s24
	v_cvt_f32_u32_e32 v5, s25
	s_sub_u32 s3, 0, s24
	s_subb_u32 s7, 0, s25
	v_fmamk_f32 v2, v5, 0x4f800000, v2
	s_delay_alu instid0(VALU_DEP_1) | instskip(SKIP_2) | instid1(VALU_DEP_1)
	v_rcp_f32_e32 v2, v2
	s_waitcnt_depctr 0xfff
	v_mul_f32_e32 v2, 0x5f7ffffc, v2
	v_mul_f32_e32 v5, 0x2f800000, v2
	s_delay_alu instid0(VALU_DEP_1) | instskip(NEXT) | instid1(VALU_DEP_1)
	v_trunc_f32_e32 v5, v5
	v_fmamk_f32 v2, v5, 0xcf800000, v2
	v_cvt_u32_f32_e32 v5, v5
	s_delay_alu instid0(VALU_DEP_2) | instskip(NEXT) | instid1(VALU_DEP_2)
	v_cvt_u32_f32_e32 v2, v2
	v_mul_lo_u32 v6, s3, v5
	s_delay_alu instid0(VALU_DEP_2) | instskip(SKIP_1) | instid1(VALU_DEP_2)
	v_mul_hi_u32 v9, s3, v2
	v_mul_lo_u32 v10, s7, v2
	v_add_nc_u32_e32 v6, v9, v6
	v_mul_lo_u32 v9, s3, v2
	s_delay_alu instid0(VALU_DEP_2) | instskip(NEXT) | instid1(VALU_DEP_2)
	v_add_nc_u32_e32 v6, v6, v10
	v_mul_hi_u32 v10, v2, v9
	s_delay_alu instid0(VALU_DEP_2)
	v_mul_lo_u32 v11, v2, v6
	v_mul_hi_u32 v12, v2, v6
	v_mul_hi_u32 v13, v5, v9
	v_mul_lo_u32 v9, v5, v9
	v_mul_hi_u32 v14, v5, v6
	v_mul_lo_u32 v6, v5, v6
	v_add_co_u32 v10, vcc_lo, v10, v11
	v_add_co_ci_u32_e32 v11, vcc_lo, 0, v12, vcc_lo
	s_delay_alu instid0(VALU_DEP_2) | instskip(NEXT) | instid1(VALU_DEP_2)
	v_add_co_u32 v9, vcc_lo, v10, v9
	v_add_co_ci_u32_e32 v9, vcc_lo, v11, v13, vcc_lo
	v_add_co_ci_u32_e32 v10, vcc_lo, 0, v14, vcc_lo
	v_mov_b32_e32 v13, v8
	s_delay_alu instid0(VALU_DEP_3) | instskip(NEXT) | instid1(VALU_DEP_3)
	v_add_co_u32 v6, vcc_lo, v9, v6
	v_add_co_ci_u32_e32 v9, vcc_lo, 0, v10, vcc_lo
	v_mov_b32_e32 v14, v8
	s_delay_alu instid0(VALU_DEP_3) | instskip(NEXT) | instid1(VALU_DEP_3)
	v_add_co_u32 v2, vcc_lo, v2, v6
	v_add_co_ci_u32_e32 v5, vcc_lo, v5, v9, vcc_lo
	s_delay_alu instid0(VALU_DEP_2) | instskip(SKIP_1) | instid1(VALU_DEP_3)
	v_mul_hi_u32 v6, s3, v2
	v_mul_lo_u32 v10, s7, v2
	v_mul_lo_u32 v9, s3, v5
	s_delay_alu instid0(VALU_DEP_1) | instskip(SKIP_1) | instid1(VALU_DEP_2)
	v_add_nc_u32_e32 v6, v6, v9
	v_mul_lo_u32 v9, s3, v2
	v_add_nc_u32_e32 v6, v6, v10
	s_delay_alu instid0(VALU_DEP_2) | instskip(NEXT) | instid1(VALU_DEP_2)
	v_mul_hi_u32 v10, v2, v9
	v_mul_lo_u32 v11, v2, v6
	v_mul_hi_u32 v12, v2, v6
	v_mul_hi_u32 v15, v5, v9
	v_mul_lo_u32 v9, v5, v9
	v_mul_hi_u32 v16, v5, v6
	v_mul_lo_u32 v6, v5, v6
	v_add_co_u32 v10, vcc_lo, v10, v11
	v_add_co_ci_u32_e32 v11, vcc_lo, 0, v12, vcc_lo
	s_delay_alu instid0(VALU_DEP_2) | instskip(NEXT) | instid1(VALU_DEP_2)
	v_add_co_u32 v9, vcc_lo, v10, v9
	v_add_co_ci_u32_e32 v9, vcc_lo, v11, v15, vcc_lo
	v_add_co_ci_u32_e32 v10, vcc_lo, 0, v16, vcc_lo
	v_add_co_u32 v11, vcc_lo, v7, v13
	v_add_co_ci_u32_e32 v12, vcc_lo, v8, v14, vcc_lo
	s_delay_alu instid0(VALU_DEP_4) | instskip(NEXT) | instid1(VALU_DEP_4)
	v_add_co_u32 v6, vcc_lo, v9, v6
	v_add_co_ci_u32_e32 v9, vcc_lo, 0, v10, vcc_lo
	s_delay_alu instid0(VALU_DEP_4) | instskip(NEXT) | instid1(VALU_DEP_3)
	v_xor_b32_e32 v15, v11, v13
	v_add_co_u32 v2, vcc_lo, v2, v6
	s_delay_alu instid0(VALU_DEP_3) | instskip(SKIP_1) | instid1(VALU_DEP_3)
	v_add_co_ci_u32_e32 v16, vcc_lo, v5, v9, vcc_lo
	v_xor_b32_e32 v17, v12, v14
	v_mul_hi_u32 v18, v15, v2
	s_delay_alu instid0(VALU_DEP_3) | instskip(NEXT) | instid1(VALU_DEP_3)
	v_mad_u64_u32 v[5:6], null, v15, v16, 0
	v_mad_u64_u32 v[9:10], null, v17, v2, 0
	;; [unrolled: 1-line block ×3, first 2 shown]
	s_delay_alu instid0(VALU_DEP_3) | instskip(NEXT) | instid1(VALU_DEP_4)
	v_add_co_u32 v2, vcc_lo, v18, v5
	v_add_co_ci_u32_e32 v5, vcc_lo, 0, v6, vcc_lo
	s_delay_alu instid0(VALU_DEP_2) | instskip(NEXT) | instid1(VALU_DEP_2)
	v_add_co_u32 v2, vcc_lo, v2, v9
	v_add_co_ci_u32_e32 v2, vcc_lo, v5, v10, vcc_lo
	v_add_co_ci_u32_e32 v5, vcc_lo, 0, v12, vcc_lo
	s_delay_alu instid0(VALU_DEP_2) | instskip(NEXT) | instid1(VALU_DEP_2)
	v_add_co_u32 v2, vcc_lo, v2, v11
	v_add_co_ci_u32_e32 v9, vcc_lo, 0, v5, vcc_lo
	s_delay_alu instid0(VALU_DEP_2) | instskip(SKIP_1) | instid1(VALU_DEP_3)
	v_mul_lo_u32 v10, s25, v2
	v_mad_u64_u32 v[5:6], null, s24, v2, 0
	v_mul_lo_u32 v11, s24, v9
	s_delay_alu instid0(VALU_DEP_2) | instskip(NEXT) | instid1(VALU_DEP_2)
	v_sub_co_u32 v5, vcc_lo, v15, v5
	v_add3_u32 v6, v6, v11, v10
	s_delay_alu instid0(VALU_DEP_1) | instskip(NEXT) | instid1(VALU_DEP_1)
	v_sub_nc_u32_e32 v10, v17, v6
	v_subrev_co_ci_u32_e64 v10, s3, s25, v10, vcc_lo
	v_add_co_u32 v11, s3, v2, 2
	s_delay_alu instid0(VALU_DEP_1) | instskip(SKIP_3) | instid1(VALU_DEP_3)
	v_add_co_ci_u32_e64 v12, s3, 0, v9, s3
	v_sub_co_u32 v15, s3, v5, s24
	v_sub_co_ci_u32_e32 v6, vcc_lo, v17, v6, vcc_lo
	v_subrev_co_ci_u32_e64 v10, s3, 0, v10, s3
	v_cmp_le_u32_e32 vcc_lo, s24, v15
	s_delay_alu instid0(VALU_DEP_3) | instskip(SKIP_1) | instid1(VALU_DEP_4)
	v_cmp_eq_u32_e64 s3, s25, v6
	v_cndmask_b32_e64 v15, 0, -1, vcc_lo
	v_cmp_le_u32_e32 vcc_lo, s25, v10
	v_cndmask_b32_e64 v16, 0, -1, vcc_lo
	v_cmp_le_u32_e32 vcc_lo, s24, v5
	;; [unrolled: 2-line block ×3, first 2 shown]
	v_cndmask_b32_e64 v17, 0, -1, vcc_lo
	v_cmp_eq_u32_e32 vcc_lo, s25, v10
	s_delay_alu instid0(VALU_DEP_2) | instskip(SKIP_3) | instid1(VALU_DEP_3)
	v_cndmask_b32_e64 v5, v17, v5, s3
	v_cndmask_b32_e32 v10, v16, v15, vcc_lo
	v_add_co_u32 v15, vcc_lo, v2, 1
	v_add_co_ci_u32_e32 v16, vcc_lo, 0, v9, vcc_lo
	v_cmp_ne_u32_e32 vcc_lo, 0, v10
	s_delay_alu instid0(VALU_DEP_2) | instskip(NEXT) | instid1(VALU_DEP_4)
	v_cndmask_b32_e32 v6, v16, v12, vcc_lo
	v_cndmask_b32_e32 v10, v15, v11, vcc_lo
	v_cmp_ne_u32_e32 vcc_lo, 0, v5
	v_xor_b32_e32 v5, s22, v13
	s_delay_alu instid0(VALU_DEP_3) | instskip(SKIP_2) | instid1(VALU_DEP_3)
	v_cndmask_b32_e32 v2, v2, v10, vcc_lo
	v_cndmask_b32_e32 v6, v9, v6, vcc_lo
	v_xor_b32_e32 v9, s22, v14
	v_xor_b32_e32 v2, v2, v5
	s_delay_alu instid0(VALU_DEP_2) | instskip(NEXT) | instid1(VALU_DEP_2)
	v_xor_b32_e32 v6, v6, v9
	v_sub_co_u32 v5, vcc_lo, v2, v5
	s_delay_alu instid0(VALU_DEP_2)
	v_sub_co_ci_u32_e32 v6, vcc_lo, v6, v9, vcc_lo
.LBB63_13:
	s_and_not1_saveexec_b32 s3, s5
	s_cbranch_execz .LBB63_15
; %bb.14:
	v_cvt_f32_u32_e32 v2, s16
	s_sub_i32 s5, 0, s16
	s_delay_alu instid0(VALU_DEP_1) | instskip(SKIP_2) | instid1(VALU_DEP_1)
	v_rcp_iflag_f32_e32 v2, v2
	s_waitcnt_depctr 0xfff
	v_mul_f32_e32 v2, 0x4f7ffffe, v2
	v_cvt_u32_f32_e32 v2, v2
	s_delay_alu instid0(VALU_DEP_1) | instskip(NEXT) | instid1(VALU_DEP_1)
	v_mul_lo_u32 v5, s5, v2
	v_mul_hi_u32 v5, v2, v5
	s_delay_alu instid0(VALU_DEP_1) | instskip(NEXT) | instid1(VALU_DEP_1)
	v_add_nc_u32_e32 v2, v2, v5
	v_mul_hi_u32 v2, v7, v2
	s_delay_alu instid0(VALU_DEP_1) | instskip(SKIP_1) | instid1(VALU_DEP_2)
	v_mul_lo_u32 v5, v2, s16
	v_add_nc_u32_e32 v6, 1, v2
	v_sub_nc_u32_e32 v5, v7, v5
	s_delay_alu instid0(VALU_DEP_1) | instskip(SKIP_1) | instid1(VALU_DEP_2)
	v_subrev_nc_u32_e32 v9, s16, v5
	v_cmp_le_u32_e32 vcc_lo, s16, v5
	v_dual_cndmask_b32 v5, v5, v9 :: v_dual_cndmask_b32 v2, v2, v6
	s_delay_alu instid0(VALU_DEP_1) | instskip(NEXT) | instid1(VALU_DEP_2)
	v_cmp_le_u32_e32 vcc_lo, s16, v5
	v_add_nc_u32_e32 v6, 1, v2
	s_delay_alu instid0(VALU_DEP_1)
	v_dual_cndmask_b32 v5, v2, v6 :: v_dual_mov_b32 v6, 0
.LBB63_15:
	s_or_b32 exec_lo, exec_lo, s3
	v_mul_lo_u32 v1, v1, s4
	s_delay_alu instid0(VALU_DEP_2) | instskip(SKIP_2) | instid1(VALU_DEP_3)
	v_lshlrev_b64 v[9:10], 2, v[5:6]
	v_mul_lo_u32 v6, v6, s16
	v_ashrrev_i32_e32 v13, 31, v0
	v_add_co_u32 v9, vcc_lo, s20, v9
	v_ashrrev_i32_e32 v2, 31, v1
	v_add_co_ci_u32_e32 v10, vcc_lo, s21, v10, vcc_lo
	s_delay_alu instid0(VALU_DEP_2) | instskip(NEXT) | instid1(VALU_DEP_1)
	v_lshlrev_b64 v[1:2], 2, v[1:2]
	v_add_co_u32 v1, vcc_lo, v9, v1
	s_delay_alu instid0(VALU_DEP_2) | instskip(SKIP_3) | instid1(VALU_DEP_1)
	v_add_co_ci_u32_e32 v2, vcc_lo, v10, v2, vcc_lo
	v_mul_lo_u32 v10, v5, s17
	global_load_b32 v9, v[1:2], off
	v_mad_u64_u32 v[1:2], null, v5, s16, 0
	v_add3_u32 v2, v2, v10, v6
	s_delay_alu instid0(VALU_DEP_2) | instskip(NEXT) | instid1(VALU_DEP_2)
	v_sub_co_u32 v1, vcc_lo, v7, v1
	v_sub_co_ci_u32_e32 v2, vcc_lo, v8, v2, vcc_lo
	s_delay_alu instid0(VALU_DEP_2) | instskip(SKIP_1) | instid1(VALU_DEP_3)
	v_mul_lo_u32 v10, v1, s11
	v_mad_u64_u32 v[7:8], null, v1, s10, v[3:4]
	v_mul_lo_u32 v2, v2, s10
	s_delay_alu instid0(VALU_DEP_1) | instskip(SKIP_4) | instid1(VALU_DEP_3)
	v_add3_u32 v8, v2, v8, v10
	s_waitcnt vmcnt(0)
	v_ashrrev_i32_e32 v1, 31, v9
	v_mul_lo_u32 v11, v9, s19
	v_mad_u64_u32 v[5:6], null, v9, s18, 0
	v_mul_lo_u32 v1, v1, s18
	s_delay_alu instid0(VALU_DEP_1) | instskip(NEXT) | instid1(VALU_DEP_3)
	v_add3_u32 v6, v6, v11, v1
	v_add_co_u32 v1, vcc_lo, v7, v5
	s_delay_alu instid0(VALU_DEP_2) | instskip(NEXT) | instid1(VALU_DEP_1)
	v_add_co_ci_u32_e32 v2, vcc_lo, v8, v6, vcc_lo
	v_ashrrev_i32_e32 v9, 31, v2
	s_delay_alu instid0(VALU_DEP_1) | instskip(NEXT) | instid1(VALU_DEP_1)
	v_lshrrev_b32_e32 v9, 28, v9
	v_add_co_u32 v1, vcc_lo, v1, v9
	v_add_co_ci_u32_e32 v2, vcc_lo, 0, v2, vcc_lo
	s_delay_alu instid0(VALU_DEP_2) | instskip(NEXT) | instid1(VALU_DEP_1)
	v_and_b32_e32 v1, -16, v1
	v_add_co_u32 v1, vcc_lo, s12, v1
	s_delay_alu instid0(VALU_DEP_3) | instskip(SKIP_4) | instid1(VALU_DEP_1)
	v_add_co_ci_u32_e32 v2, vcc_lo, s13, v2, vcc_lo
	global_load_b128 v[9:12], v[1:2], off
	v_mad_u64_u32 v[1:2], null, v0, s8, v[3:4]
	v_mul_lo_u32 v0, v0, s9
	v_mul_lo_u32 v3, v13, s8
	v_add3_u32 v2, v3, v2, v0
	s_delay_alu instid0(VALU_DEP_1) | instskip(NEXT) | instid1(VALU_DEP_1)
	v_ashrrev_i32_e32 v0, 31, v2
	v_lshrrev_b32_e32 v0, 28, v0
	s_delay_alu instid0(VALU_DEP_1) | instskip(SKIP_1) | instid1(VALU_DEP_2)
	v_add_co_u32 v0, vcc_lo, v1, v0
	v_add_co_ci_u32_e32 v4, vcc_lo, 0, v2, vcc_lo
	v_and_b32_e32 v0, -16, v0
	s_delay_alu instid0(VALU_DEP_1) | instskip(NEXT) | instid1(VALU_DEP_3)
	v_add_co_u32 v3, vcc_lo, s14, v0
	v_add_co_ci_u32_e32 v4, vcc_lo, s15, v4, vcc_lo
	s_waitcnt vmcnt(0)
	global_store_b128 v[3:4], v[9:12], off
	s_and_b32 exec_lo, exec_lo, s2
	s_cbranch_execz .LBB63_25
; %bb.16:
	v_lshlrev_b64 v[3:4], 2, v[7:8]
	s_ashr_i32 s7, s6, 31
	v_mov_b32_e32 v7, 0
	s_delay_alu instid0(VALU_DEP_2) | instskip(NEXT) | instid1(VALU_DEP_1)
	v_or_b32_e32 v8, s7, v4
	v_cmp_ne_u64_e32 vcc_lo, 0, v[7:8]
                                        ; implicit-def: $vgpr7_vgpr8
	s_and_saveexec_b32 s2, vcc_lo
	s_delay_alu instid0(SALU_CYCLE_1)
	s_xor_b32 s3, exec_lo, s2
	s_cbranch_execz .LBB63_18
; %bb.17:
	s_add_u32 s8, s6, s7
	s_mov_b32 s4, s7
	s_mov_b32 s5, s7
	s_addc_u32 s9, s7, s7
	s_delay_alu instid0(SALU_CYCLE_1) | instskip(NEXT) | instid1(SALU_CYCLE_1)
	s_xor_b64 s[8:9], s[8:9], s[4:5]
	v_cvt_f32_u32_e32 v0, s8
	v_cvt_f32_u32_e32 v7, s9
	s_sub_u32 s2, 0, s8
	s_subb_u32 s14, 0, s9
	s_delay_alu instid0(VALU_DEP_1) | instskip(NEXT) | instid1(VALU_DEP_1)
	v_fmamk_f32 v0, v7, 0x4f800000, v0
	v_rcp_f32_e32 v0, v0
	s_waitcnt_depctr 0xfff
	v_mul_f32_e32 v0, 0x5f7ffffc, v0
	s_delay_alu instid0(VALU_DEP_1) | instskip(NEXT) | instid1(VALU_DEP_1)
	v_mul_f32_e32 v7, 0x2f800000, v0
	v_trunc_f32_e32 v7, v7
	s_delay_alu instid0(VALU_DEP_1) | instskip(SKIP_1) | instid1(VALU_DEP_2)
	v_fmamk_f32 v0, v7, 0xcf800000, v0
	v_cvt_u32_f32_e32 v7, v7
	v_cvt_u32_f32_e32 v0, v0
	s_delay_alu instid0(VALU_DEP_2) | instskip(NEXT) | instid1(VALU_DEP_2)
	v_mul_lo_u32 v8, s2, v7
	v_mul_hi_u32 v9, s2, v0
	v_mul_lo_u32 v10, s14, v0
	s_delay_alu instid0(VALU_DEP_2) | instskip(SKIP_1) | instid1(VALU_DEP_2)
	v_add_nc_u32_e32 v8, v9, v8
	v_mul_lo_u32 v9, s2, v0
	v_add_nc_u32_e32 v8, v8, v10
	s_delay_alu instid0(VALU_DEP_2) | instskip(NEXT) | instid1(VALU_DEP_2)
	v_mul_hi_u32 v10, v0, v9
	v_mul_lo_u32 v11, v0, v8
	v_mul_hi_u32 v12, v0, v8
	v_mul_hi_u32 v13, v7, v9
	v_mul_lo_u32 v9, v7, v9
	v_mul_hi_u32 v14, v7, v8
	v_mul_lo_u32 v8, v7, v8
	v_add_co_u32 v10, vcc_lo, v10, v11
	v_add_co_ci_u32_e32 v11, vcc_lo, 0, v12, vcc_lo
	s_delay_alu instid0(VALU_DEP_2) | instskip(NEXT) | instid1(VALU_DEP_2)
	v_add_co_u32 v9, vcc_lo, v10, v9
	v_add_co_ci_u32_e32 v9, vcc_lo, v11, v13, vcc_lo
	v_add_co_ci_u32_e32 v10, vcc_lo, 0, v14, vcc_lo
	v_ashrrev_i32_e32 v13, 31, v4
	s_delay_alu instid0(VALU_DEP_3) | instskip(NEXT) | instid1(VALU_DEP_3)
	v_add_co_u32 v8, vcc_lo, v9, v8
	v_add_co_ci_u32_e32 v9, vcc_lo, 0, v10, vcc_lo
	s_delay_alu instid0(VALU_DEP_2) | instskip(NEXT) | instid1(VALU_DEP_2)
	v_add_co_u32 v0, vcc_lo, v0, v8
	v_add_co_ci_u32_e32 v7, vcc_lo, v7, v9, vcc_lo
	s_delay_alu instid0(VALU_DEP_2) | instskip(SKIP_1) | instid1(VALU_DEP_3)
	v_mul_hi_u32 v8, s2, v0
	v_mul_lo_u32 v10, s14, v0
	v_mul_lo_u32 v9, s2, v7
	s_delay_alu instid0(VALU_DEP_1) | instskip(SKIP_1) | instid1(VALU_DEP_2)
	v_add_nc_u32_e32 v8, v8, v9
	v_mul_lo_u32 v9, s2, v0
	v_add_nc_u32_e32 v8, v8, v10
	s_delay_alu instid0(VALU_DEP_2) | instskip(NEXT) | instid1(VALU_DEP_2)
	v_mul_hi_u32 v10, v0, v9
	v_mul_lo_u32 v11, v0, v8
	v_mul_hi_u32 v12, v0, v8
	v_mul_hi_u32 v14, v7, v9
	v_mul_lo_u32 v9, v7, v9
	v_mul_hi_u32 v15, v7, v8
	v_mul_lo_u32 v8, v7, v8
	v_add_co_u32 v10, vcc_lo, v10, v11
	v_add_co_ci_u32_e32 v11, vcc_lo, 0, v12, vcc_lo
	s_delay_alu instid0(VALU_DEP_2) | instskip(NEXT) | instid1(VALU_DEP_2)
	v_add_co_u32 v9, vcc_lo, v10, v9
	v_add_co_ci_u32_e32 v9, vcc_lo, v11, v14, vcc_lo
	v_add_co_ci_u32_e32 v10, vcc_lo, 0, v15, vcc_lo
	v_add_co_u32 v3, vcc_lo, v3, v13
	v_add_co_ci_u32_e32 v4, vcc_lo, v4, v13, vcc_lo
	s_delay_alu instid0(VALU_DEP_4) | instskip(NEXT) | instid1(VALU_DEP_4)
	v_add_co_u32 v8, vcc_lo, v9, v8
	v_add_co_ci_u32_e32 v9, vcc_lo, 0, v10, vcc_lo
	s_delay_alu instid0(VALU_DEP_4) | instskip(NEXT) | instid1(VALU_DEP_3)
	v_xor_b32_e32 v11, v3, v13
	v_add_co_u32 v0, vcc_lo, v0, v8
	s_delay_alu instid0(VALU_DEP_3) | instskip(SKIP_1) | instid1(VALU_DEP_3)
	v_add_co_ci_u32_e32 v12, vcc_lo, v7, v9, vcc_lo
	v_xor_b32_e32 v14, v4, v13
	v_mul_hi_u32 v15, v11, v0
	s_delay_alu instid0(VALU_DEP_3) | instskip(NEXT) | instid1(VALU_DEP_3)
	v_mad_u64_u32 v[3:4], null, v11, v12, 0
	v_mad_u64_u32 v[7:8], null, v14, v0, 0
	;; [unrolled: 1-line block ×3, first 2 shown]
	s_delay_alu instid0(VALU_DEP_3) | instskip(NEXT) | instid1(VALU_DEP_4)
	v_add_co_u32 v0, vcc_lo, v15, v3
	v_add_co_ci_u32_e32 v3, vcc_lo, 0, v4, vcc_lo
	s_delay_alu instid0(VALU_DEP_2) | instskip(NEXT) | instid1(VALU_DEP_2)
	v_add_co_u32 v0, vcc_lo, v0, v7
	v_add_co_ci_u32_e32 v0, vcc_lo, v3, v8, vcc_lo
	v_add_co_ci_u32_e32 v3, vcc_lo, 0, v10, vcc_lo
	s_delay_alu instid0(VALU_DEP_2) | instskip(NEXT) | instid1(VALU_DEP_2)
	v_add_co_u32 v0, vcc_lo, v0, v9
	v_add_co_ci_u32_e32 v7, vcc_lo, 0, v3, vcc_lo
	s_delay_alu instid0(VALU_DEP_2) | instskip(SKIP_1) | instid1(VALU_DEP_3)
	v_mul_lo_u32 v8, s9, v0
	v_mad_u64_u32 v[3:4], null, s8, v0, 0
	v_mul_lo_u32 v9, s8, v7
	s_delay_alu instid0(VALU_DEP_2) | instskip(NEXT) | instid1(VALU_DEP_2)
	v_sub_co_u32 v3, vcc_lo, v11, v3
	v_add3_u32 v4, v4, v9, v8
	s_delay_alu instid0(VALU_DEP_1) | instskip(NEXT) | instid1(VALU_DEP_1)
	v_sub_nc_u32_e32 v8, v14, v4
	v_subrev_co_ci_u32_e64 v8, s2, s9, v8, vcc_lo
	v_add_co_u32 v9, s2, v0, 2
	s_delay_alu instid0(VALU_DEP_1) | instskip(SKIP_3) | instid1(VALU_DEP_3)
	v_add_co_ci_u32_e64 v10, s2, 0, v7, s2
	v_sub_co_u32 v11, s2, v3, s8
	v_sub_co_ci_u32_e32 v4, vcc_lo, v14, v4, vcc_lo
	v_subrev_co_ci_u32_e64 v8, s2, 0, v8, s2
	v_cmp_le_u32_e32 vcc_lo, s8, v11
	s_delay_alu instid0(VALU_DEP_3) | instskip(SKIP_1) | instid1(VALU_DEP_4)
	v_cmp_eq_u32_e64 s2, s9, v4
	v_cndmask_b32_e64 v11, 0, -1, vcc_lo
	v_cmp_le_u32_e32 vcc_lo, s9, v8
	v_cndmask_b32_e64 v12, 0, -1, vcc_lo
	v_cmp_le_u32_e32 vcc_lo, s8, v3
	;; [unrolled: 2-line block ×3, first 2 shown]
	v_cndmask_b32_e64 v14, 0, -1, vcc_lo
	v_cmp_eq_u32_e32 vcc_lo, s9, v8
	s_delay_alu instid0(VALU_DEP_2) | instskip(SKIP_3) | instid1(VALU_DEP_3)
	v_cndmask_b32_e64 v3, v14, v3, s2
	v_cndmask_b32_e32 v8, v12, v11, vcc_lo
	v_add_co_u32 v11, vcc_lo, v0, 1
	v_add_co_ci_u32_e32 v12, vcc_lo, 0, v7, vcc_lo
	v_cmp_ne_u32_e32 vcc_lo, 0, v8
	s_delay_alu instid0(VALU_DEP_2) | instskip(NEXT) | instid1(VALU_DEP_4)
	v_cndmask_b32_e32 v4, v12, v10, vcc_lo
	v_cndmask_b32_e32 v8, v11, v9, vcc_lo
	v_cmp_ne_u32_e32 vcc_lo, 0, v3
	v_xor_b32_e32 v3, s4, v13
	s_delay_alu instid0(VALU_DEP_3) | instskip(SKIP_2) | instid1(VALU_DEP_3)
	v_cndmask_b32_e32 v0, v0, v8, vcc_lo
	v_cndmask_b32_e32 v4, v7, v4, vcc_lo
	v_xor_b32_e32 v8, s5, v13
	v_xor_b32_e32 v0, v0, v3
	s_delay_alu instid0(VALU_DEP_2) | instskip(NEXT) | instid1(VALU_DEP_2)
	v_xor_b32_e32 v4, v4, v8
	v_sub_co_u32 v7, vcc_lo, v0, v3
	s_delay_alu instid0(VALU_DEP_2)
	v_sub_co_ci_u32_e32 v8, vcc_lo, v4, v8, vcc_lo
                                        ; implicit-def: $vgpr3_vgpr4
.LBB63_18:
	s_or_saveexec_b32 s2, s3
	v_cvt_f32_u32_e32 v9, s6
	s_xor_b32 exec_lo, exec_lo, s2
	s_cbranch_execz .LBB63_20
; %bb.19:
	s_delay_alu instid0(VALU_DEP_1) | instskip(SKIP_4) | instid1(VALU_DEP_1)
	v_rcp_iflag_f32_e32 v0, v9
	s_sub_i32 s3, 0, s6
	v_mov_b32_e32 v8, 0
	s_waitcnt_depctr 0xfff
	v_mul_f32_e32 v0, 0x4f7ffffe, v0
	v_cvt_u32_f32_e32 v0, v0
	s_delay_alu instid0(VALU_DEP_1) | instskip(NEXT) | instid1(VALU_DEP_1)
	v_mul_lo_u32 v4, s3, v0
	v_mul_hi_u32 v4, v0, v4
	s_delay_alu instid0(VALU_DEP_1) | instskip(NEXT) | instid1(VALU_DEP_1)
	v_add_nc_u32_e32 v0, v0, v4
	v_mul_hi_u32 v0, v3, v0
	s_delay_alu instid0(VALU_DEP_1) | instskip(NEXT) | instid1(VALU_DEP_1)
	v_mul_lo_u32 v4, v0, s6
	v_sub_nc_u32_e32 v3, v3, v4
	v_add_nc_u32_e32 v4, 1, v0
	s_delay_alu instid0(VALU_DEP_2) | instskip(SKIP_1) | instid1(VALU_DEP_2)
	v_subrev_nc_u32_e32 v7, s6, v3
	v_cmp_le_u32_e32 vcc_lo, s6, v3
	v_dual_cndmask_b32 v3, v3, v7 :: v_dual_cndmask_b32 v0, v0, v4
	s_delay_alu instid0(VALU_DEP_1) | instskip(NEXT) | instid1(VALU_DEP_2)
	v_cmp_le_u32_e32 vcc_lo, s6, v3
	v_add_nc_u32_e32 v4, 1, v0
	s_delay_alu instid0(VALU_DEP_1)
	v_cndmask_b32_e32 v7, v0, v4, vcc_lo
.LBB63_20:
	s_or_b32 exec_lo, exec_lo, s2
	v_mad_u64_u32 v[3:4], null, s16, s10, v[5:6]
	s_mul_i32 s2, s17, s10
	s_mul_i32 s3, s16, s11
	s_delay_alu instid0(VALU_DEP_1) | instid1(SALU_CYCLE_1)
	v_add3_u32 v0, s3, s2, v4
	s_delay_alu instid0(VALU_DEP_2) | instskip(SKIP_1) | instid1(VALU_DEP_2)
	v_add_co_u32 v3, vcc_lo, v3, v7
	s_load_b64 s[2:3], s[0:1], 0x10
	v_add_co_ci_u32_e32 v0, vcc_lo, v0, v8, vcc_lo
	s_delay_alu instid0(VALU_DEP_1) | instskip(NEXT) | instid1(VALU_DEP_1)
	v_ashrrev_i32_e32 v4, 31, v0
	v_lshrrev_b32_e32 v4, 30, v4
	s_delay_alu instid0(VALU_DEP_1) | instskip(SKIP_1) | instid1(VALU_DEP_2)
	v_add_co_u32 v3, vcc_lo, v3, v4
	v_add_co_ci_u32_e32 v0, vcc_lo, 0, v0, vcc_lo
	v_and_b32_e32 v3, -4, v3
	s_delay_alu instid0(VALU_DEP_1) | instskip(NEXT) | instid1(VALU_DEP_3)
	v_add_co_u32 v3, vcc_lo, s12, v3
	v_add_co_ci_u32_e32 v4, vcc_lo, s13, v0, vcc_lo
	global_load_b32 v0, v[3:4], off
	v_mov_b32_e32 v3, 0
	v_or_b32_e32 v4, s7, v2
	s_delay_alu instid0(VALU_DEP_1) | instskip(SKIP_1) | instid1(SALU_CYCLE_1)
	v_cmp_ne_u64_e32 vcc_lo, 0, v[3:4]
                                        ; implicit-def: $vgpr3_vgpr4
	s_and_saveexec_b32 s0, vcc_lo
	s_xor_b32 s1, exec_lo, s0
	s_cbranch_execz .LBB63_22
; %bb.21:
	s_add_u32 s8, s6, s7
	s_mov_b32 s4, s7
	s_mov_b32 s5, s7
	s_addc_u32 s9, s7, s7
	s_delay_alu instid0(SALU_CYCLE_1) | instskip(NEXT) | instid1(SALU_CYCLE_1)
	s_xor_b64 s[8:9], s[8:9], s[4:5]
	v_cvt_f32_u32_e32 v3, s8
	v_cvt_f32_u32_e32 v4, s9
	s_sub_u32 s0, 0, s8
	s_subb_u32 s7, 0, s9
	s_delay_alu instid0(VALU_DEP_1) | instskip(NEXT) | instid1(VALU_DEP_1)
	v_fmamk_f32 v3, v4, 0x4f800000, v3
	v_rcp_f32_e32 v3, v3
	s_waitcnt_depctr 0xfff
	v_mul_f32_e32 v3, 0x5f7ffffc, v3
	s_delay_alu instid0(VALU_DEP_1) | instskip(NEXT) | instid1(VALU_DEP_1)
	v_mul_f32_e32 v4, 0x2f800000, v3
	v_trunc_f32_e32 v4, v4
	s_delay_alu instid0(VALU_DEP_1) | instskip(SKIP_1) | instid1(VALU_DEP_2)
	v_fmamk_f32 v3, v4, 0xcf800000, v3
	v_cvt_u32_f32_e32 v4, v4
	v_cvt_u32_f32_e32 v3, v3
	s_delay_alu instid0(VALU_DEP_2) | instskip(NEXT) | instid1(VALU_DEP_2)
	v_mul_lo_u32 v5, s0, v4
	v_mul_hi_u32 v6, s0, v3
	v_mul_lo_u32 v7, s7, v3
	s_delay_alu instid0(VALU_DEP_2) | instskip(SKIP_1) | instid1(VALU_DEP_2)
	v_add_nc_u32_e32 v5, v6, v5
	v_mul_lo_u32 v6, s0, v3
	v_add_nc_u32_e32 v5, v5, v7
	s_delay_alu instid0(VALU_DEP_2) | instskip(NEXT) | instid1(VALU_DEP_2)
	v_mul_hi_u32 v7, v3, v6
	v_mul_lo_u32 v8, v3, v5
	v_mul_hi_u32 v9, v3, v5
	v_mul_hi_u32 v10, v4, v6
	v_mul_lo_u32 v6, v4, v6
	v_mul_hi_u32 v11, v4, v5
	v_mul_lo_u32 v5, v4, v5
	v_add_co_u32 v7, vcc_lo, v7, v8
	v_add_co_ci_u32_e32 v8, vcc_lo, 0, v9, vcc_lo
	s_delay_alu instid0(VALU_DEP_2) | instskip(NEXT) | instid1(VALU_DEP_2)
	v_add_co_u32 v6, vcc_lo, v7, v6
	v_add_co_ci_u32_e32 v6, vcc_lo, v8, v10, vcc_lo
	v_add_co_ci_u32_e32 v7, vcc_lo, 0, v11, vcc_lo
	v_ashrrev_i32_e32 v10, 31, v2
	s_delay_alu instid0(VALU_DEP_3) | instskip(NEXT) | instid1(VALU_DEP_3)
	v_add_co_u32 v5, vcc_lo, v6, v5
	v_add_co_ci_u32_e32 v6, vcc_lo, 0, v7, vcc_lo
	s_delay_alu instid0(VALU_DEP_2) | instskip(NEXT) | instid1(VALU_DEP_2)
	v_add_co_u32 v3, vcc_lo, v3, v5
	v_add_co_ci_u32_e32 v4, vcc_lo, v4, v6, vcc_lo
	s_delay_alu instid0(VALU_DEP_2) | instskip(SKIP_1) | instid1(VALU_DEP_3)
	v_mul_hi_u32 v5, s0, v3
	v_mul_lo_u32 v7, s7, v3
	v_mul_lo_u32 v6, s0, v4
	s_delay_alu instid0(VALU_DEP_1) | instskip(SKIP_1) | instid1(VALU_DEP_2)
	v_add_nc_u32_e32 v5, v5, v6
	v_mul_lo_u32 v6, s0, v3
	v_add_nc_u32_e32 v5, v5, v7
	s_delay_alu instid0(VALU_DEP_2) | instskip(NEXT) | instid1(VALU_DEP_2)
	v_mul_hi_u32 v7, v3, v6
	v_mul_lo_u32 v8, v3, v5
	v_mul_hi_u32 v9, v3, v5
	v_mul_hi_u32 v11, v4, v6
	v_mul_lo_u32 v6, v4, v6
	v_mul_hi_u32 v12, v4, v5
	v_mul_lo_u32 v5, v4, v5
	v_add_co_u32 v7, vcc_lo, v7, v8
	v_add_co_ci_u32_e32 v8, vcc_lo, 0, v9, vcc_lo
	s_delay_alu instid0(VALU_DEP_2) | instskip(NEXT) | instid1(VALU_DEP_2)
	v_add_co_u32 v6, vcc_lo, v7, v6
	v_add_co_ci_u32_e32 v6, vcc_lo, v8, v11, vcc_lo
	v_add_co_ci_u32_e32 v7, vcc_lo, 0, v12, vcc_lo
	v_add_co_u32 v1, vcc_lo, v1, v10
	v_add_co_ci_u32_e32 v2, vcc_lo, v2, v10, vcc_lo
	s_delay_alu instid0(VALU_DEP_4) | instskip(NEXT) | instid1(VALU_DEP_4)
	v_add_co_u32 v5, vcc_lo, v6, v5
	v_add_co_ci_u32_e32 v6, vcc_lo, 0, v7, vcc_lo
	s_delay_alu instid0(VALU_DEP_4) | instskip(NEXT) | instid1(VALU_DEP_3)
	v_xor_b32_e32 v7, v1, v10
	v_add_co_u32 v5, vcc_lo, v3, v5
	s_delay_alu instid0(VALU_DEP_3) | instskip(SKIP_1) | instid1(VALU_DEP_3)
	v_add_co_ci_u32_e32 v8, vcc_lo, v4, v6, vcc_lo
	v_xor_b32_e32 v9, v2, v10
	v_mul_hi_u32 v11, v7, v5
	s_delay_alu instid0(VALU_DEP_3) | instskip(NEXT) | instid1(VALU_DEP_3)
	v_mad_u64_u32 v[1:2], null, v7, v8, 0
	v_mad_u64_u32 v[3:4], null, v9, v5, 0
	;; [unrolled: 1-line block ×3, first 2 shown]
	s_delay_alu instid0(VALU_DEP_3) | instskip(NEXT) | instid1(VALU_DEP_4)
	v_add_co_u32 v1, vcc_lo, v11, v1
	v_add_co_ci_u32_e32 v2, vcc_lo, 0, v2, vcc_lo
	s_delay_alu instid0(VALU_DEP_2) | instskip(NEXT) | instid1(VALU_DEP_2)
	v_add_co_u32 v1, vcc_lo, v1, v3
	v_add_co_ci_u32_e32 v1, vcc_lo, v2, v4, vcc_lo
	v_add_co_ci_u32_e32 v2, vcc_lo, 0, v6, vcc_lo
	s_delay_alu instid0(VALU_DEP_2) | instskip(NEXT) | instid1(VALU_DEP_2)
	v_add_co_u32 v3, vcc_lo, v1, v5
	v_add_co_ci_u32_e32 v4, vcc_lo, 0, v2, vcc_lo
	s_delay_alu instid0(VALU_DEP_2) | instskip(SKIP_1) | instid1(VALU_DEP_3)
	v_mul_lo_u32 v5, s9, v3
	v_mad_u64_u32 v[1:2], null, s8, v3, 0
	v_mul_lo_u32 v6, s8, v4
	s_delay_alu instid0(VALU_DEP_2) | instskip(NEXT) | instid1(VALU_DEP_2)
	v_sub_co_u32 v1, vcc_lo, v7, v1
	v_add3_u32 v2, v2, v6, v5
	s_delay_alu instid0(VALU_DEP_1) | instskip(NEXT) | instid1(VALU_DEP_1)
	v_sub_nc_u32_e32 v5, v9, v2
	v_subrev_co_ci_u32_e64 v5, s0, s9, v5, vcc_lo
	v_add_co_u32 v6, s0, v3, 2
	s_delay_alu instid0(VALU_DEP_1) | instskip(SKIP_3) | instid1(VALU_DEP_3)
	v_add_co_ci_u32_e64 v7, s0, 0, v4, s0
	v_sub_co_u32 v8, s0, v1, s8
	v_sub_co_ci_u32_e32 v2, vcc_lo, v9, v2, vcc_lo
	v_subrev_co_ci_u32_e64 v5, s0, 0, v5, s0
	v_cmp_le_u32_e32 vcc_lo, s8, v8
	s_delay_alu instid0(VALU_DEP_3) | instskip(SKIP_1) | instid1(VALU_DEP_4)
	v_cmp_eq_u32_e64 s0, s9, v2
	v_cndmask_b32_e64 v8, 0, -1, vcc_lo
	v_cmp_le_u32_e32 vcc_lo, s9, v5
	v_cndmask_b32_e64 v9, 0, -1, vcc_lo
	v_cmp_le_u32_e32 vcc_lo, s8, v1
	;; [unrolled: 2-line block ×3, first 2 shown]
	v_cndmask_b32_e64 v11, 0, -1, vcc_lo
	v_cmp_eq_u32_e32 vcc_lo, s9, v5
	s_delay_alu instid0(VALU_DEP_2) | instskip(SKIP_3) | instid1(VALU_DEP_3)
	v_cndmask_b32_e64 v1, v11, v1, s0
	v_cndmask_b32_e32 v5, v9, v8, vcc_lo
	v_add_co_u32 v8, vcc_lo, v3, 1
	v_add_co_ci_u32_e32 v9, vcc_lo, 0, v4, vcc_lo
	v_cmp_ne_u32_e32 vcc_lo, 0, v5
	s_delay_alu instid0(VALU_DEP_2) | instskip(SKIP_2) | instid1(VALU_DEP_3)
	v_dual_cndmask_b32 v2, v9, v7 :: v_dual_cndmask_b32 v5, v8, v6
	v_cmp_ne_u32_e32 vcc_lo, 0, v1
	v_xor_b32_e32 v1, s4, v10
                                        ; implicit-def: $vgpr9
	v_dual_cndmask_b32 v3, v3, v5 :: v_dual_cndmask_b32 v2, v4, v2
	v_xor_b32_e32 v4, s5, v10
	s_delay_alu instid0(VALU_DEP_2) | instskip(NEXT) | instid1(VALU_DEP_2)
	v_xor_b32_e32 v3, v3, v1
	v_xor_b32_e32 v2, v2, v4
	s_delay_alu instid0(VALU_DEP_2) | instskip(NEXT) | instid1(VALU_DEP_2)
	v_sub_co_u32 v3, vcc_lo, v3, v1
	v_sub_co_ci_u32_e32 v4, vcc_lo, v2, v4, vcc_lo
                                        ; implicit-def: $vgpr1_vgpr2
.LBB63_22:
	s_and_not1_saveexec_b32 s0, s1
	s_cbranch_execz .LBB63_24
; %bb.23:
	v_rcp_iflag_f32_e32 v2, v9
	s_sub_i32 s1, 0, s6
	s_waitcnt_depctr 0xfff
	v_mul_f32_e32 v2, 0x4f7ffffe, v2
	s_delay_alu instid0(VALU_DEP_1) | instskip(NEXT) | instid1(VALU_DEP_1)
	v_cvt_u32_f32_e32 v2, v2
	v_mul_lo_u32 v3, s1, v2
	s_delay_alu instid0(VALU_DEP_1) | instskip(NEXT) | instid1(VALU_DEP_1)
	v_mul_hi_u32 v3, v2, v3
	v_add_nc_u32_e32 v2, v2, v3
	s_delay_alu instid0(VALU_DEP_1) | instskip(NEXT) | instid1(VALU_DEP_1)
	v_mul_hi_u32 v2, v1, v2
	v_mul_lo_u32 v3, v2, s6
	s_delay_alu instid0(VALU_DEP_1) | instskip(SKIP_1) | instid1(VALU_DEP_2)
	v_sub_nc_u32_e32 v1, v1, v3
	v_add_nc_u32_e32 v3, 1, v2
	v_subrev_nc_u32_e32 v4, s6, v1
	v_cmp_le_u32_e32 vcc_lo, s6, v1
	s_delay_alu instid0(VALU_DEP_2) | instskip(NEXT) | instid1(VALU_DEP_4)
	v_dual_cndmask_b32 v1, v1, v4 :: v_dual_mov_b32 v4, 0
	v_cndmask_b32_e32 v2, v2, v3, vcc_lo
	s_delay_alu instid0(VALU_DEP_2) | instskip(NEXT) | instid1(VALU_DEP_2)
	v_cmp_le_u32_e32 vcc_lo, s6, v1
	v_add_nc_u32_e32 v3, 1, v2
	s_delay_alu instid0(VALU_DEP_1)
	v_cndmask_b32_e32 v3, v2, v3, vcc_lo
.LBB63_24:
	s_or_b32 exec_lo, exec_lo, s0
	s_delay_alu instid0(VALU_DEP_1) | instskip(SKIP_1) | instid1(VALU_DEP_1)
	v_lshlrev_b64 v[1:2], 2, v[3:4]
	s_waitcnt lgkmcnt(0)
	v_add_co_u32 v1, vcc_lo, s2, v1
	s_delay_alu instid0(VALU_DEP_2)
	v_add_co_ci_u32_e32 v2, vcc_lo, s3, v2, vcc_lo
	s_waitcnt vmcnt(0)
	global_store_b32 v[1:2], v0, off
.LBB63_25:
	s_nop 0
	s_sendmsg sendmsg(MSG_DEALLOC_VGPRS)
	s_endpgm
	.section	.rodata,"a",@progbits
	.p2align	6, 0x0
	.amdhsa_kernel _ZN4vllm38cp_gather_indexer_k_quant_cache_kernelILi8EEEvPKcPcS3_PKiS5_illllliii
		.amdhsa_group_segment_fixed_size 32
		.amdhsa_private_segment_fixed_size 0
		.amdhsa_kernarg_size 360
		.amdhsa_user_sgpr_count 14
		.amdhsa_user_sgpr_dispatch_ptr 0
		.amdhsa_user_sgpr_queue_ptr 0
		.amdhsa_user_sgpr_kernarg_segment_ptr 1
		.amdhsa_user_sgpr_dispatch_id 0
		.amdhsa_user_sgpr_private_segment_size 0
		.amdhsa_wavefront_size32 1
		.amdhsa_uses_dynamic_stack 0
		.amdhsa_enable_private_segment 0
		.amdhsa_system_sgpr_workgroup_id_x 1
		.amdhsa_system_sgpr_workgroup_id_y 1
		.amdhsa_system_sgpr_workgroup_id_z 0
		.amdhsa_system_sgpr_workgroup_info 0
		.amdhsa_system_vgpr_workitem_id 1
		.amdhsa_next_free_vgpr 19
		.amdhsa_next_free_sgpr 26
		.amdhsa_reserve_vcc 1
		.amdhsa_float_round_mode_32 0
		.amdhsa_float_round_mode_16_64 0
		.amdhsa_float_denorm_mode_32 3
		.amdhsa_float_denorm_mode_16_64 3
		.amdhsa_dx10_clamp 1
		.amdhsa_ieee_mode 1
		.amdhsa_fp16_overflow 0
		.amdhsa_workgroup_processor_mode 1
		.amdhsa_memory_ordered 1
		.amdhsa_forward_progress 0
		.amdhsa_shared_vgpr_count 0
		.amdhsa_exception_fp_ieee_invalid_op 0
		.amdhsa_exception_fp_denorm_src 0
		.amdhsa_exception_fp_ieee_div_zero 0
		.amdhsa_exception_fp_ieee_overflow 0
		.amdhsa_exception_fp_ieee_underflow 0
		.amdhsa_exception_fp_ieee_inexact 0
		.amdhsa_exception_int_div_zero 0
	.end_amdhsa_kernel
	.section	.text._ZN4vllm38cp_gather_indexer_k_quant_cache_kernelILi8EEEvPKcPcS3_PKiS5_illllliii,"axG",@progbits,_ZN4vllm38cp_gather_indexer_k_quant_cache_kernelILi8EEEvPKcPcS3_PKiS5_illllliii,comdat
.Lfunc_end63:
	.size	_ZN4vllm38cp_gather_indexer_k_quant_cache_kernelILi8EEEvPKcPcS3_PKiS5_illllliii, .Lfunc_end63-_ZN4vllm38cp_gather_indexer_k_quant_cache_kernelILi8EEEvPKcPcS3_PKiS5_illllliii
                                        ; -- End function
	.section	.AMDGPU.csdata,"",@progbits
; Kernel info:
; codeLenInByte = 4192
; NumSgprs: 28
; NumVgprs: 19
; ScratchSize: 0
; MemoryBound: 0
; FloatMode: 240
; IeeeMode: 1
; LDSByteSize: 32 bytes/workgroup (compile time only)
; SGPRBlocks: 3
; VGPRBlocks: 2
; NumSGPRsForWavesPerEU: 28
; NumVGPRsForWavesPerEU: 19
; Occupancy: 16
; WaveLimiterHint : 1
; COMPUTE_PGM_RSRC2:SCRATCH_EN: 0
; COMPUTE_PGM_RSRC2:USER_SGPR: 14
; COMPUTE_PGM_RSRC2:TRAP_HANDLER: 0
; COMPUTE_PGM_RSRC2:TGID_X_EN: 1
; COMPUTE_PGM_RSRC2:TGID_Y_EN: 1
; COMPUTE_PGM_RSRC2:TGID_Z_EN: 0
; COMPUTE_PGM_RSRC2:TIDIG_COMP_CNT: 1
	.section	.text._ZN4vllm38cp_gather_indexer_k_quant_cache_kernelILi16EEEvPKcPcS3_PKiS5_illllliii,"axG",@progbits,_ZN4vllm38cp_gather_indexer_k_quant_cache_kernelILi16EEEvPKcPcS3_PKiS5_illllliii,comdat
	.protected	_ZN4vllm38cp_gather_indexer_k_quant_cache_kernelILi16EEEvPKcPcS3_PKiS5_illllliii ; -- Begin function _ZN4vllm38cp_gather_indexer_k_quant_cache_kernelILi16EEEvPKcPcS3_PKiS5_illllliii
	.globl	_ZN4vllm38cp_gather_indexer_k_quant_cache_kernelILi16EEEvPKcPcS3_PKiS5_illllliii
	.p2align	8
	.type	_ZN4vllm38cp_gather_indexer_k_quant_cache_kernelILi16EEEvPKcPcS3_PKiS5_illllliii,@function
_ZN4vllm38cp_gather_indexer_k_quant_cache_kernelILi16EEEvPKcPcS3_PKiS5_illllliii: ; @_ZN4vllm38cp_gather_indexer_k_quant_cache_kernelILi16EEEvPKcPcS3_PKiS5_illllliii
; %bb.0:
	s_clause 0x1
	s_load_b64 s[12:13], s[0:1], 0x20
	s_load_b32 s5, s[0:1], 0x74
	v_and_b32_e32 v4, 0x3ff, v0
	v_bfe_u32 v2, v0, 10, 10
	s_delay_alu instid0(VALU_DEP_2) | instskip(NEXT) | instid1(VALU_DEP_2)
	v_cmp_eq_u32_e64 s2, 0, v4
	v_lshlrev_b32_e32 v5, 2, v2
	s_delay_alu instid0(VALU_DEP_2)
	s_and_saveexec_b32 s3, s2
	s_cbranch_execz .LBB64_2
; %bb.1:
	v_mov_b32_e32 v0, -1
	ds_store_b32 v5, v0
.LBB64_2:
	s_or_b32 exec_lo, exec_lo, s3
	s_waitcnt lgkmcnt(0)
	s_and_b32 s3, s5, 0xffff
	s_load_b32 s4, s[0:1], 0x28
	v_cvt_f32_u32_e32 v0, s3
	s_sub_i32 s7, 0, s3
	s_lshr_b32 s5, s5, 16
	s_waitcnt lgkmcnt(0)
	s_barrier
	v_rcp_iflag_f32_e32 v0, v0
	buffer_gl0_inv
	v_mul_f32_e32 v0, 0x4f7ffffe, v0
	s_add_i32 s8, s4, s3
	s_delay_alu instid0(VALU_DEP_1) | instskip(SKIP_1) | instid1(SALU_CYCLE_1)
	v_cvt_u32_f32_e32 v0, v0
	s_add_i32 s8, s8, -1
	s_abs_i32 s9, s8
	s_ashr_i32 s8, s8, 31
	s_delay_alu instid0(VALU_DEP_1) | instskip(SKIP_1) | instid1(VALU_DEP_2)
	v_readfirstlane_b32 s6, v0
	v_mad_u64_u32 v[0:1], null, s14, s5, v[2:3]
	s_mul_i32 s7, s7, s6
	s_delay_alu instid0(SALU_CYCLE_1) | instskip(NEXT) | instid1(SALU_CYCLE_1)
	s_mul_hi_u32 s7, s6, s7
	s_add_i32 s6, s6, s7
	s_delay_alu instid0(SALU_CYCLE_1) | instskip(NEXT) | instid1(SALU_CYCLE_1)
	s_mul_hi_u32 s6, s9, s6
	s_mul_i32 s7, s6, s3
	s_delay_alu instid0(SALU_CYCLE_1)
	s_sub_i32 s7, s9, s7
	s_add_i32 s9, s6, 1
	s_sub_i32 s10, s7, s3
	s_cmp_ge_u32 s7, s3
	s_cselect_b32 s6, s9, s6
	s_cselect_b32 s7, s10, s7
	s_add_i32 s9, s6, 1
	s_cmp_ge_u32 s7, s3
	s_cselect_b32 s6, s9, s6
	s_delay_alu instid0(SALU_CYCLE_1) | instskip(NEXT) | instid1(SALU_CYCLE_1)
	s_xor_b32 s5, s6, s8
	s_sub_i32 s5, s5, s8
	s_delay_alu instid0(SALU_CYCLE_1)
	s_cmp_lt_i32 s5, 1
	s_cbranch_scc1 .LBB64_9
; %bb.3:
	v_mov_b32_e32 v1, v4
	s_set_inst_prefetch_distance 0x1
	s_branch .LBB64_5
	.p2align	6
.LBB64_4:                               ;   in Loop: Header=BB64_5 Depth=1
	s_or_b32 exec_lo, exec_lo, s6
	v_add_nc_u32_e32 v1, s3, v1
	s_add_i32 s5, s5, -1
	s_delay_alu instid0(SALU_CYCLE_1)
	s_cmp_eq_u32 s5, 0
	s_cbranch_scc1 .LBB64_9
.LBB64_5:                               ; =>This Inner Loop Header: Depth=1
	s_mov_b32 s6, exec_lo
	s_delay_alu instid0(VALU_DEP_1)
	v_cmpx_gt_i32_e64 s4, v1
	s_cbranch_execz .LBB64_4
; %bb.6:                                ;   in Loop: Header=BB64_5 Depth=1
	v_ashrrev_i32_e32 v2, 31, v1
	s_delay_alu instid0(VALU_DEP_1) | instskip(NEXT) | instid1(VALU_DEP_1)
	v_lshlrev_b64 v[2:3], 2, v[1:2]
	v_add_co_u32 v2, vcc_lo, s12, v2
	s_delay_alu instid0(VALU_DEP_2)
	v_add_co_ci_u32_e32 v3, vcc_lo, s13, v3, vcc_lo
	global_load_b32 v6, v[2:3], off
	s_waitcnt vmcnt(0)
	v_cmp_ge_i32_e32 vcc_lo, v0, v6
	s_and_b32 exec_lo, exec_lo, vcc_lo
	s_cbranch_execz .LBB64_4
; %bb.7:                                ;   in Loop: Header=BB64_5 Depth=1
	global_load_b32 v2, v[2:3], off offset:4
	s_waitcnt vmcnt(0)
	v_cmp_lt_i32_e32 vcc_lo, v0, v2
	s_and_b32 exec_lo, exec_lo, vcc_lo
	s_cbranch_execz .LBB64_4
; %bb.8:                                ;   in Loop: Header=BB64_5 Depth=1
	ds_store_b32 v5, v1
	s_branch .LBB64_4
.LBB64_9:
	s_set_inst_prefetch_distance 0x2
	s_load_b128 s[8:11], s[0:1], 0x30
	s_mul_i32 s15, s15, s3
	s_waitcnt lgkmcnt(0)
	v_add_lshl_u32 v3, s15, v4, 4
	s_barrier
	buffer_gl0_inv
	s_mov_b32 s3, exec_lo
	v_ashrrev_i32_e32 v4, 31, v3
	s_delay_alu instid0(VALU_DEP_1)
	v_cmpx_gt_i64_e64 s[10:11], v[3:4]
	s_cbranch_execz .LBB64_25
; %bb.10:
	s_load_b128 s[4:7], s[0:1], 0x58
	ds_load_b32 v1, v5
	s_waitcnt lgkmcnt(0)
	v_cmp_gt_i32_e32 vcc_lo, s5, v0
	v_cmp_lt_i32_e64 s3, -1, v1
	s_delay_alu instid0(VALU_DEP_1) | instskip(NEXT) | instid1(SALU_CYCLE_1)
	s_and_b32 s3, vcc_lo, s3
	s_and_b32 exec_lo, exec_lo, s3
	s_cbranch_execz .LBB64_25
; %bb.11:
	v_mov_b32_e32 v2, 0
	s_delay_alu instid0(VALU_DEP_1) | instskip(NEXT) | instid1(VALU_DEP_1)
	v_lshlrev_b64 v[5:6], 2, v[1:2]
	v_add_co_u32 v5, vcc_lo, s12, v5
	s_delay_alu instid0(VALU_DEP_2)
	v_add_co_ci_u32_e32 v6, vcc_lo, s13, v6, vcc_lo
	global_load_b32 v5, v[5:6], off
	s_clause 0x3
	s_load_b64 s[16:17], s[0:1], 0x50
	s_load_b64 s[18:19], s[0:1], 0x40
	s_load_b128 s[12:15], s[0:1], 0x0
	s_load_b64 s[20:21], s[0:1], 0x18
	s_waitcnt vmcnt(0)
	v_sub_nc_u32_e32 v7, v0, v5
	v_mov_b32_e32 v5, v2
	s_delay_alu instid0(VALU_DEP_2) | instskip(SKIP_1) | instid1(VALU_DEP_1)
	v_ashrrev_i32_e32 v8, 31, v7
	s_waitcnt lgkmcnt(0)
	v_or_b32_e32 v6, s17, v8
	s_delay_alu instid0(VALU_DEP_1) | instskip(SKIP_1) | instid1(SALU_CYCLE_1)
	v_cmp_ne_u64_e32 vcc_lo, 0, v[5:6]
                                        ; implicit-def: $vgpr5_vgpr6
	s_and_saveexec_b32 s3, vcc_lo
	s_xor_b32 s5, exec_lo, s3
	s_cbranch_execz .LBB64_13
; %bb.12:
	s_ashr_i32 s22, s17, 31
	s_delay_alu instid0(SALU_CYCLE_1) | instskip(SKIP_2) | instid1(SALU_CYCLE_1)
	s_add_u32 s24, s16, s22
	s_mov_b32 s23, s22
	s_addc_u32 s25, s17, s22
	s_xor_b64 s[24:25], s[24:25], s[22:23]
	s_delay_alu instid0(SALU_CYCLE_1) | instskip(SKIP_3) | instid1(VALU_DEP_1)
	v_cvt_f32_u32_e32 v2, s24
	v_cvt_f32_u32_e32 v5, s25
	s_sub_u32 s3, 0, s24
	s_subb_u32 s7, 0, s25
	v_fmamk_f32 v2, v5, 0x4f800000, v2
	s_delay_alu instid0(VALU_DEP_1) | instskip(SKIP_2) | instid1(VALU_DEP_1)
	v_rcp_f32_e32 v2, v2
	s_waitcnt_depctr 0xfff
	v_mul_f32_e32 v2, 0x5f7ffffc, v2
	v_mul_f32_e32 v5, 0x2f800000, v2
	s_delay_alu instid0(VALU_DEP_1) | instskip(NEXT) | instid1(VALU_DEP_1)
	v_trunc_f32_e32 v5, v5
	v_fmamk_f32 v2, v5, 0xcf800000, v2
	v_cvt_u32_f32_e32 v5, v5
	s_delay_alu instid0(VALU_DEP_2) | instskip(NEXT) | instid1(VALU_DEP_2)
	v_cvt_u32_f32_e32 v2, v2
	v_mul_lo_u32 v6, s3, v5
	s_delay_alu instid0(VALU_DEP_2) | instskip(SKIP_1) | instid1(VALU_DEP_2)
	v_mul_hi_u32 v9, s3, v2
	v_mul_lo_u32 v10, s7, v2
	v_add_nc_u32_e32 v6, v9, v6
	v_mul_lo_u32 v9, s3, v2
	s_delay_alu instid0(VALU_DEP_2) | instskip(NEXT) | instid1(VALU_DEP_2)
	v_add_nc_u32_e32 v6, v6, v10
	v_mul_hi_u32 v10, v2, v9
	s_delay_alu instid0(VALU_DEP_2)
	v_mul_lo_u32 v11, v2, v6
	v_mul_hi_u32 v12, v2, v6
	v_mul_hi_u32 v13, v5, v9
	v_mul_lo_u32 v9, v5, v9
	v_mul_hi_u32 v14, v5, v6
	v_mul_lo_u32 v6, v5, v6
	v_add_co_u32 v10, vcc_lo, v10, v11
	v_add_co_ci_u32_e32 v11, vcc_lo, 0, v12, vcc_lo
	s_delay_alu instid0(VALU_DEP_2) | instskip(NEXT) | instid1(VALU_DEP_2)
	v_add_co_u32 v9, vcc_lo, v10, v9
	v_add_co_ci_u32_e32 v9, vcc_lo, v11, v13, vcc_lo
	v_add_co_ci_u32_e32 v10, vcc_lo, 0, v14, vcc_lo
	v_mov_b32_e32 v13, v8
	s_delay_alu instid0(VALU_DEP_3) | instskip(NEXT) | instid1(VALU_DEP_3)
	v_add_co_u32 v6, vcc_lo, v9, v6
	v_add_co_ci_u32_e32 v9, vcc_lo, 0, v10, vcc_lo
	v_mov_b32_e32 v14, v8
	s_delay_alu instid0(VALU_DEP_3) | instskip(NEXT) | instid1(VALU_DEP_3)
	v_add_co_u32 v2, vcc_lo, v2, v6
	v_add_co_ci_u32_e32 v5, vcc_lo, v5, v9, vcc_lo
	s_delay_alu instid0(VALU_DEP_2) | instskip(SKIP_1) | instid1(VALU_DEP_3)
	v_mul_hi_u32 v6, s3, v2
	v_mul_lo_u32 v10, s7, v2
	v_mul_lo_u32 v9, s3, v5
	s_delay_alu instid0(VALU_DEP_1) | instskip(SKIP_1) | instid1(VALU_DEP_2)
	v_add_nc_u32_e32 v6, v6, v9
	v_mul_lo_u32 v9, s3, v2
	v_add_nc_u32_e32 v6, v6, v10
	s_delay_alu instid0(VALU_DEP_2) | instskip(NEXT) | instid1(VALU_DEP_2)
	v_mul_hi_u32 v10, v2, v9
	v_mul_lo_u32 v11, v2, v6
	v_mul_hi_u32 v12, v2, v6
	v_mul_hi_u32 v15, v5, v9
	v_mul_lo_u32 v9, v5, v9
	v_mul_hi_u32 v16, v5, v6
	v_mul_lo_u32 v6, v5, v6
	v_add_co_u32 v10, vcc_lo, v10, v11
	v_add_co_ci_u32_e32 v11, vcc_lo, 0, v12, vcc_lo
	s_delay_alu instid0(VALU_DEP_2) | instskip(NEXT) | instid1(VALU_DEP_2)
	v_add_co_u32 v9, vcc_lo, v10, v9
	v_add_co_ci_u32_e32 v9, vcc_lo, v11, v15, vcc_lo
	v_add_co_ci_u32_e32 v10, vcc_lo, 0, v16, vcc_lo
	v_add_co_u32 v11, vcc_lo, v7, v13
	v_add_co_ci_u32_e32 v12, vcc_lo, v8, v14, vcc_lo
	s_delay_alu instid0(VALU_DEP_4) | instskip(NEXT) | instid1(VALU_DEP_4)
	v_add_co_u32 v6, vcc_lo, v9, v6
	v_add_co_ci_u32_e32 v9, vcc_lo, 0, v10, vcc_lo
	s_delay_alu instid0(VALU_DEP_4) | instskip(NEXT) | instid1(VALU_DEP_3)
	v_xor_b32_e32 v15, v11, v13
	v_add_co_u32 v2, vcc_lo, v2, v6
	s_delay_alu instid0(VALU_DEP_3) | instskip(SKIP_1) | instid1(VALU_DEP_3)
	v_add_co_ci_u32_e32 v16, vcc_lo, v5, v9, vcc_lo
	v_xor_b32_e32 v17, v12, v14
	v_mul_hi_u32 v18, v15, v2
	s_delay_alu instid0(VALU_DEP_3) | instskip(NEXT) | instid1(VALU_DEP_3)
	v_mad_u64_u32 v[5:6], null, v15, v16, 0
	v_mad_u64_u32 v[9:10], null, v17, v2, 0
	;; [unrolled: 1-line block ×3, first 2 shown]
	s_delay_alu instid0(VALU_DEP_3) | instskip(NEXT) | instid1(VALU_DEP_4)
	v_add_co_u32 v2, vcc_lo, v18, v5
	v_add_co_ci_u32_e32 v5, vcc_lo, 0, v6, vcc_lo
	s_delay_alu instid0(VALU_DEP_2) | instskip(NEXT) | instid1(VALU_DEP_2)
	v_add_co_u32 v2, vcc_lo, v2, v9
	v_add_co_ci_u32_e32 v2, vcc_lo, v5, v10, vcc_lo
	v_add_co_ci_u32_e32 v5, vcc_lo, 0, v12, vcc_lo
	s_delay_alu instid0(VALU_DEP_2) | instskip(NEXT) | instid1(VALU_DEP_2)
	v_add_co_u32 v2, vcc_lo, v2, v11
	v_add_co_ci_u32_e32 v9, vcc_lo, 0, v5, vcc_lo
	s_delay_alu instid0(VALU_DEP_2) | instskip(SKIP_1) | instid1(VALU_DEP_3)
	v_mul_lo_u32 v10, s25, v2
	v_mad_u64_u32 v[5:6], null, s24, v2, 0
	v_mul_lo_u32 v11, s24, v9
	s_delay_alu instid0(VALU_DEP_2) | instskip(NEXT) | instid1(VALU_DEP_2)
	v_sub_co_u32 v5, vcc_lo, v15, v5
	v_add3_u32 v6, v6, v11, v10
	s_delay_alu instid0(VALU_DEP_1) | instskip(NEXT) | instid1(VALU_DEP_1)
	v_sub_nc_u32_e32 v10, v17, v6
	v_subrev_co_ci_u32_e64 v10, s3, s25, v10, vcc_lo
	v_add_co_u32 v11, s3, v2, 2
	s_delay_alu instid0(VALU_DEP_1) | instskip(SKIP_3) | instid1(VALU_DEP_3)
	v_add_co_ci_u32_e64 v12, s3, 0, v9, s3
	v_sub_co_u32 v15, s3, v5, s24
	v_sub_co_ci_u32_e32 v6, vcc_lo, v17, v6, vcc_lo
	v_subrev_co_ci_u32_e64 v10, s3, 0, v10, s3
	v_cmp_le_u32_e32 vcc_lo, s24, v15
	s_delay_alu instid0(VALU_DEP_3) | instskip(SKIP_1) | instid1(VALU_DEP_4)
	v_cmp_eq_u32_e64 s3, s25, v6
	v_cndmask_b32_e64 v15, 0, -1, vcc_lo
	v_cmp_le_u32_e32 vcc_lo, s25, v10
	v_cndmask_b32_e64 v16, 0, -1, vcc_lo
	v_cmp_le_u32_e32 vcc_lo, s24, v5
	v_cndmask_b32_e64 v5, 0, -1, vcc_lo
	v_cmp_le_u32_e32 vcc_lo, s25, v6
	v_cndmask_b32_e64 v17, 0, -1, vcc_lo
	v_cmp_eq_u32_e32 vcc_lo, s25, v10
	s_delay_alu instid0(VALU_DEP_2) | instskip(SKIP_3) | instid1(VALU_DEP_3)
	v_cndmask_b32_e64 v5, v17, v5, s3
	v_cndmask_b32_e32 v10, v16, v15, vcc_lo
	v_add_co_u32 v15, vcc_lo, v2, 1
	v_add_co_ci_u32_e32 v16, vcc_lo, 0, v9, vcc_lo
	v_cmp_ne_u32_e32 vcc_lo, 0, v10
	s_delay_alu instid0(VALU_DEP_2) | instskip(NEXT) | instid1(VALU_DEP_4)
	v_cndmask_b32_e32 v6, v16, v12, vcc_lo
	v_cndmask_b32_e32 v10, v15, v11, vcc_lo
	v_cmp_ne_u32_e32 vcc_lo, 0, v5
	v_xor_b32_e32 v5, s22, v13
	s_delay_alu instid0(VALU_DEP_3) | instskip(SKIP_2) | instid1(VALU_DEP_3)
	v_cndmask_b32_e32 v2, v2, v10, vcc_lo
	v_cndmask_b32_e32 v6, v9, v6, vcc_lo
	v_xor_b32_e32 v9, s22, v14
	v_xor_b32_e32 v2, v2, v5
	s_delay_alu instid0(VALU_DEP_2) | instskip(NEXT) | instid1(VALU_DEP_2)
	v_xor_b32_e32 v6, v6, v9
	v_sub_co_u32 v5, vcc_lo, v2, v5
	s_delay_alu instid0(VALU_DEP_2)
	v_sub_co_ci_u32_e32 v6, vcc_lo, v6, v9, vcc_lo
.LBB64_13:
	s_and_not1_saveexec_b32 s3, s5
	s_cbranch_execz .LBB64_15
; %bb.14:
	v_cvt_f32_u32_e32 v2, s16
	s_sub_i32 s5, 0, s16
	s_delay_alu instid0(VALU_DEP_1) | instskip(SKIP_2) | instid1(VALU_DEP_1)
	v_rcp_iflag_f32_e32 v2, v2
	s_waitcnt_depctr 0xfff
	v_mul_f32_e32 v2, 0x4f7ffffe, v2
	v_cvt_u32_f32_e32 v2, v2
	s_delay_alu instid0(VALU_DEP_1) | instskip(NEXT) | instid1(VALU_DEP_1)
	v_mul_lo_u32 v5, s5, v2
	v_mul_hi_u32 v5, v2, v5
	s_delay_alu instid0(VALU_DEP_1) | instskip(NEXT) | instid1(VALU_DEP_1)
	v_add_nc_u32_e32 v2, v2, v5
	v_mul_hi_u32 v2, v7, v2
	s_delay_alu instid0(VALU_DEP_1) | instskip(SKIP_1) | instid1(VALU_DEP_2)
	v_mul_lo_u32 v5, v2, s16
	v_add_nc_u32_e32 v6, 1, v2
	v_sub_nc_u32_e32 v5, v7, v5
	s_delay_alu instid0(VALU_DEP_1) | instskip(SKIP_1) | instid1(VALU_DEP_2)
	v_subrev_nc_u32_e32 v9, s16, v5
	v_cmp_le_u32_e32 vcc_lo, s16, v5
	v_dual_cndmask_b32 v5, v5, v9 :: v_dual_cndmask_b32 v2, v2, v6
	s_delay_alu instid0(VALU_DEP_1) | instskip(NEXT) | instid1(VALU_DEP_2)
	v_cmp_le_u32_e32 vcc_lo, s16, v5
	v_add_nc_u32_e32 v6, 1, v2
	s_delay_alu instid0(VALU_DEP_1)
	v_dual_cndmask_b32 v5, v2, v6 :: v_dual_mov_b32 v6, 0
.LBB64_15:
	s_or_b32 exec_lo, exec_lo, s3
	v_mul_lo_u32 v1, v1, s4
	s_delay_alu instid0(VALU_DEP_2) | instskip(SKIP_2) | instid1(VALU_DEP_3)
	v_lshlrev_b64 v[9:10], 2, v[5:6]
	v_mul_lo_u32 v6, v6, s16
	v_ashrrev_i32_e32 v13, 31, v0
	v_add_co_u32 v9, vcc_lo, s20, v9
	v_ashrrev_i32_e32 v2, 31, v1
	v_add_co_ci_u32_e32 v10, vcc_lo, s21, v10, vcc_lo
	s_delay_alu instid0(VALU_DEP_2) | instskip(NEXT) | instid1(VALU_DEP_1)
	v_lshlrev_b64 v[1:2], 2, v[1:2]
	v_add_co_u32 v1, vcc_lo, v9, v1
	s_delay_alu instid0(VALU_DEP_2) | instskip(SKIP_3) | instid1(VALU_DEP_1)
	v_add_co_ci_u32_e32 v2, vcc_lo, v10, v2, vcc_lo
	v_mul_lo_u32 v10, v5, s17
	global_load_b32 v9, v[1:2], off
	v_mad_u64_u32 v[1:2], null, v5, s16, 0
	v_add3_u32 v2, v2, v10, v6
	s_delay_alu instid0(VALU_DEP_2) | instskip(NEXT) | instid1(VALU_DEP_2)
	v_sub_co_u32 v1, vcc_lo, v7, v1
	v_sub_co_ci_u32_e32 v2, vcc_lo, v8, v2, vcc_lo
	s_delay_alu instid0(VALU_DEP_2) | instskip(SKIP_1) | instid1(VALU_DEP_3)
	v_mul_lo_u32 v10, v1, s11
	v_mad_u64_u32 v[7:8], null, v1, s10, v[3:4]
	v_mul_lo_u32 v2, v2, s10
	s_delay_alu instid0(VALU_DEP_1) | instskip(SKIP_4) | instid1(VALU_DEP_3)
	v_add3_u32 v8, v2, v8, v10
	s_waitcnt vmcnt(0)
	v_ashrrev_i32_e32 v1, 31, v9
	v_mul_lo_u32 v11, v9, s19
	v_mad_u64_u32 v[5:6], null, v9, s18, 0
	v_mul_lo_u32 v1, v1, s18
	s_delay_alu instid0(VALU_DEP_1) | instskip(NEXT) | instid1(VALU_DEP_3)
	v_add3_u32 v6, v6, v11, v1
	v_add_co_u32 v1, vcc_lo, v7, v5
	s_delay_alu instid0(VALU_DEP_2) | instskip(NEXT) | instid1(VALU_DEP_1)
	v_add_co_ci_u32_e32 v2, vcc_lo, v8, v6, vcc_lo
	v_ashrrev_i32_e32 v9, 31, v2
	s_delay_alu instid0(VALU_DEP_1) | instskip(NEXT) | instid1(VALU_DEP_1)
	v_lshrrev_b32_e32 v9, 28, v9
	v_add_co_u32 v1, vcc_lo, v1, v9
	v_add_co_ci_u32_e32 v2, vcc_lo, 0, v2, vcc_lo
	s_delay_alu instid0(VALU_DEP_2) | instskip(NEXT) | instid1(VALU_DEP_1)
	v_and_b32_e32 v1, -16, v1
	v_add_co_u32 v1, vcc_lo, s12, v1
	s_delay_alu instid0(VALU_DEP_3) | instskip(SKIP_4) | instid1(VALU_DEP_1)
	v_add_co_ci_u32_e32 v2, vcc_lo, s13, v2, vcc_lo
	global_load_b128 v[9:12], v[1:2], off
	v_mad_u64_u32 v[1:2], null, v0, s8, v[3:4]
	v_mul_lo_u32 v0, v0, s9
	v_mul_lo_u32 v3, v13, s8
	v_add3_u32 v2, v3, v2, v0
	s_delay_alu instid0(VALU_DEP_1) | instskip(NEXT) | instid1(VALU_DEP_1)
	v_ashrrev_i32_e32 v0, 31, v2
	v_lshrrev_b32_e32 v0, 28, v0
	s_delay_alu instid0(VALU_DEP_1) | instskip(SKIP_1) | instid1(VALU_DEP_2)
	v_add_co_u32 v0, vcc_lo, v1, v0
	v_add_co_ci_u32_e32 v4, vcc_lo, 0, v2, vcc_lo
	v_and_b32_e32 v0, -16, v0
	s_delay_alu instid0(VALU_DEP_1) | instskip(NEXT) | instid1(VALU_DEP_3)
	v_add_co_u32 v3, vcc_lo, s14, v0
	v_add_co_ci_u32_e32 v4, vcc_lo, s15, v4, vcc_lo
	s_waitcnt vmcnt(0)
	global_store_b128 v[3:4], v[9:12], off
	s_and_b32 exec_lo, exec_lo, s2
	s_cbranch_execz .LBB64_25
; %bb.16:
	v_lshlrev_b64 v[3:4], 2, v[7:8]
	s_ashr_i32 s7, s6, 31
	v_mov_b32_e32 v7, 0
	s_delay_alu instid0(VALU_DEP_2) | instskip(NEXT) | instid1(VALU_DEP_1)
	v_or_b32_e32 v8, s7, v4
	v_cmp_ne_u64_e32 vcc_lo, 0, v[7:8]
                                        ; implicit-def: $vgpr7_vgpr8
	s_and_saveexec_b32 s2, vcc_lo
	s_delay_alu instid0(SALU_CYCLE_1)
	s_xor_b32 s3, exec_lo, s2
	s_cbranch_execz .LBB64_18
; %bb.17:
	s_add_u32 s8, s6, s7
	s_mov_b32 s4, s7
	s_mov_b32 s5, s7
	s_addc_u32 s9, s7, s7
	s_delay_alu instid0(SALU_CYCLE_1) | instskip(NEXT) | instid1(SALU_CYCLE_1)
	s_xor_b64 s[8:9], s[8:9], s[4:5]
	v_cvt_f32_u32_e32 v0, s8
	v_cvt_f32_u32_e32 v7, s9
	s_sub_u32 s2, 0, s8
	s_subb_u32 s14, 0, s9
	s_delay_alu instid0(VALU_DEP_1) | instskip(NEXT) | instid1(VALU_DEP_1)
	v_fmamk_f32 v0, v7, 0x4f800000, v0
	v_rcp_f32_e32 v0, v0
	s_waitcnt_depctr 0xfff
	v_mul_f32_e32 v0, 0x5f7ffffc, v0
	s_delay_alu instid0(VALU_DEP_1) | instskip(NEXT) | instid1(VALU_DEP_1)
	v_mul_f32_e32 v7, 0x2f800000, v0
	v_trunc_f32_e32 v7, v7
	s_delay_alu instid0(VALU_DEP_1) | instskip(SKIP_1) | instid1(VALU_DEP_2)
	v_fmamk_f32 v0, v7, 0xcf800000, v0
	v_cvt_u32_f32_e32 v7, v7
	v_cvt_u32_f32_e32 v0, v0
	s_delay_alu instid0(VALU_DEP_2) | instskip(NEXT) | instid1(VALU_DEP_2)
	v_mul_lo_u32 v8, s2, v7
	v_mul_hi_u32 v9, s2, v0
	v_mul_lo_u32 v10, s14, v0
	s_delay_alu instid0(VALU_DEP_2) | instskip(SKIP_1) | instid1(VALU_DEP_2)
	v_add_nc_u32_e32 v8, v9, v8
	v_mul_lo_u32 v9, s2, v0
	v_add_nc_u32_e32 v8, v8, v10
	s_delay_alu instid0(VALU_DEP_2) | instskip(NEXT) | instid1(VALU_DEP_2)
	v_mul_hi_u32 v10, v0, v9
	v_mul_lo_u32 v11, v0, v8
	v_mul_hi_u32 v12, v0, v8
	v_mul_hi_u32 v13, v7, v9
	v_mul_lo_u32 v9, v7, v9
	v_mul_hi_u32 v14, v7, v8
	v_mul_lo_u32 v8, v7, v8
	v_add_co_u32 v10, vcc_lo, v10, v11
	v_add_co_ci_u32_e32 v11, vcc_lo, 0, v12, vcc_lo
	s_delay_alu instid0(VALU_DEP_2) | instskip(NEXT) | instid1(VALU_DEP_2)
	v_add_co_u32 v9, vcc_lo, v10, v9
	v_add_co_ci_u32_e32 v9, vcc_lo, v11, v13, vcc_lo
	v_add_co_ci_u32_e32 v10, vcc_lo, 0, v14, vcc_lo
	v_ashrrev_i32_e32 v13, 31, v4
	s_delay_alu instid0(VALU_DEP_3) | instskip(NEXT) | instid1(VALU_DEP_3)
	v_add_co_u32 v8, vcc_lo, v9, v8
	v_add_co_ci_u32_e32 v9, vcc_lo, 0, v10, vcc_lo
	s_delay_alu instid0(VALU_DEP_2) | instskip(NEXT) | instid1(VALU_DEP_2)
	v_add_co_u32 v0, vcc_lo, v0, v8
	v_add_co_ci_u32_e32 v7, vcc_lo, v7, v9, vcc_lo
	s_delay_alu instid0(VALU_DEP_2) | instskip(SKIP_1) | instid1(VALU_DEP_3)
	v_mul_hi_u32 v8, s2, v0
	v_mul_lo_u32 v10, s14, v0
	v_mul_lo_u32 v9, s2, v7
	s_delay_alu instid0(VALU_DEP_1) | instskip(SKIP_1) | instid1(VALU_DEP_2)
	v_add_nc_u32_e32 v8, v8, v9
	v_mul_lo_u32 v9, s2, v0
	v_add_nc_u32_e32 v8, v8, v10
	s_delay_alu instid0(VALU_DEP_2) | instskip(NEXT) | instid1(VALU_DEP_2)
	v_mul_hi_u32 v10, v0, v9
	v_mul_lo_u32 v11, v0, v8
	v_mul_hi_u32 v12, v0, v8
	v_mul_hi_u32 v14, v7, v9
	v_mul_lo_u32 v9, v7, v9
	v_mul_hi_u32 v15, v7, v8
	v_mul_lo_u32 v8, v7, v8
	v_add_co_u32 v10, vcc_lo, v10, v11
	v_add_co_ci_u32_e32 v11, vcc_lo, 0, v12, vcc_lo
	s_delay_alu instid0(VALU_DEP_2) | instskip(NEXT) | instid1(VALU_DEP_2)
	v_add_co_u32 v9, vcc_lo, v10, v9
	v_add_co_ci_u32_e32 v9, vcc_lo, v11, v14, vcc_lo
	v_add_co_ci_u32_e32 v10, vcc_lo, 0, v15, vcc_lo
	v_add_co_u32 v3, vcc_lo, v3, v13
	v_add_co_ci_u32_e32 v4, vcc_lo, v4, v13, vcc_lo
	s_delay_alu instid0(VALU_DEP_4) | instskip(NEXT) | instid1(VALU_DEP_4)
	v_add_co_u32 v8, vcc_lo, v9, v8
	v_add_co_ci_u32_e32 v9, vcc_lo, 0, v10, vcc_lo
	s_delay_alu instid0(VALU_DEP_4) | instskip(NEXT) | instid1(VALU_DEP_3)
	v_xor_b32_e32 v11, v3, v13
	v_add_co_u32 v0, vcc_lo, v0, v8
	s_delay_alu instid0(VALU_DEP_3) | instskip(SKIP_1) | instid1(VALU_DEP_3)
	v_add_co_ci_u32_e32 v12, vcc_lo, v7, v9, vcc_lo
	v_xor_b32_e32 v14, v4, v13
	v_mul_hi_u32 v15, v11, v0
	s_delay_alu instid0(VALU_DEP_3) | instskip(NEXT) | instid1(VALU_DEP_3)
	v_mad_u64_u32 v[3:4], null, v11, v12, 0
	v_mad_u64_u32 v[7:8], null, v14, v0, 0
	;; [unrolled: 1-line block ×3, first 2 shown]
	s_delay_alu instid0(VALU_DEP_3) | instskip(NEXT) | instid1(VALU_DEP_4)
	v_add_co_u32 v0, vcc_lo, v15, v3
	v_add_co_ci_u32_e32 v3, vcc_lo, 0, v4, vcc_lo
	s_delay_alu instid0(VALU_DEP_2) | instskip(NEXT) | instid1(VALU_DEP_2)
	v_add_co_u32 v0, vcc_lo, v0, v7
	v_add_co_ci_u32_e32 v0, vcc_lo, v3, v8, vcc_lo
	v_add_co_ci_u32_e32 v3, vcc_lo, 0, v10, vcc_lo
	s_delay_alu instid0(VALU_DEP_2) | instskip(NEXT) | instid1(VALU_DEP_2)
	v_add_co_u32 v0, vcc_lo, v0, v9
	v_add_co_ci_u32_e32 v7, vcc_lo, 0, v3, vcc_lo
	s_delay_alu instid0(VALU_DEP_2) | instskip(SKIP_1) | instid1(VALU_DEP_3)
	v_mul_lo_u32 v8, s9, v0
	v_mad_u64_u32 v[3:4], null, s8, v0, 0
	v_mul_lo_u32 v9, s8, v7
	s_delay_alu instid0(VALU_DEP_2) | instskip(NEXT) | instid1(VALU_DEP_2)
	v_sub_co_u32 v3, vcc_lo, v11, v3
	v_add3_u32 v4, v4, v9, v8
	s_delay_alu instid0(VALU_DEP_1) | instskip(NEXT) | instid1(VALU_DEP_1)
	v_sub_nc_u32_e32 v8, v14, v4
	v_subrev_co_ci_u32_e64 v8, s2, s9, v8, vcc_lo
	v_add_co_u32 v9, s2, v0, 2
	s_delay_alu instid0(VALU_DEP_1) | instskip(SKIP_3) | instid1(VALU_DEP_3)
	v_add_co_ci_u32_e64 v10, s2, 0, v7, s2
	v_sub_co_u32 v11, s2, v3, s8
	v_sub_co_ci_u32_e32 v4, vcc_lo, v14, v4, vcc_lo
	v_subrev_co_ci_u32_e64 v8, s2, 0, v8, s2
	v_cmp_le_u32_e32 vcc_lo, s8, v11
	s_delay_alu instid0(VALU_DEP_3) | instskip(SKIP_1) | instid1(VALU_DEP_4)
	v_cmp_eq_u32_e64 s2, s9, v4
	v_cndmask_b32_e64 v11, 0, -1, vcc_lo
	v_cmp_le_u32_e32 vcc_lo, s9, v8
	v_cndmask_b32_e64 v12, 0, -1, vcc_lo
	v_cmp_le_u32_e32 vcc_lo, s8, v3
	;; [unrolled: 2-line block ×3, first 2 shown]
	v_cndmask_b32_e64 v14, 0, -1, vcc_lo
	v_cmp_eq_u32_e32 vcc_lo, s9, v8
	s_delay_alu instid0(VALU_DEP_2) | instskip(SKIP_3) | instid1(VALU_DEP_3)
	v_cndmask_b32_e64 v3, v14, v3, s2
	v_cndmask_b32_e32 v8, v12, v11, vcc_lo
	v_add_co_u32 v11, vcc_lo, v0, 1
	v_add_co_ci_u32_e32 v12, vcc_lo, 0, v7, vcc_lo
	v_cmp_ne_u32_e32 vcc_lo, 0, v8
	s_delay_alu instid0(VALU_DEP_2) | instskip(NEXT) | instid1(VALU_DEP_4)
	v_cndmask_b32_e32 v4, v12, v10, vcc_lo
	v_cndmask_b32_e32 v8, v11, v9, vcc_lo
	v_cmp_ne_u32_e32 vcc_lo, 0, v3
	v_xor_b32_e32 v3, s4, v13
	s_delay_alu instid0(VALU_DEP_3) | instskip(SKIP_2) | instid1(VALU_DEP_3)
	v_cndmask_b32_e32 v0, v0, v8, vcc_lo
	v_cndmask_b32_e32 v4, v7, v4, vcc_lo
	v_xor_b32_e32 v8, s5, v13
	v_xor_b32_e32 v0, v0, v3
	s_delay_alu instid0(VALU_DEP_2) | instskip(NEXT) | instid1(VALU_DEP_2)
	v_xor_b32_e32 v4, v4, v8
	v_sub_co_u32 v7, vcc_lo, v0, v3
	s_delay_alu instid0(VALU_DEP_2)
	v_sub_co_ci_u32_e32 v8, vcc_lo, v4, v8, vcc_lo
                                        ; implicit-def: $vgpr3_vgpr4
.LBB64_18:
	s_or_saveexec_b32 s2, s3
	v_cvt_f32_u32_e32 v9, s6
	s_xor_b32 exec_lo, exec_lo, s2
	s_cbranch_execz .LBB64_20
; %bb.19:
	s_delay_alu instid0(VALU_DEP_1) | instskip(SKIP_4) | instid1(VALU_DEP_1)
	v_rcp_iflag_f32_e32 v0, v9
	s_sub_i32 s3, 0, s6
	v_mov_b32_e32 v8, 0
	s_waitcnt_depctr 0xfff
	v_mul_f32_e32 v0, 0x4f7ffffe, v0
	v_cvt_u32_f32_e32 v0, v0
	s_delay_alu instid0(VALU_DEP_1) | instskip(NEXT) | instid1(VALU_DEP_1)
	v_mul_lo_u32 v4, s3, v0
	v_mul_hi_u32 v4, v0, v4
	s_delay_alu instid0(VALU_DEP_1) | instskip(NEXT) | instid1(VALU_DEP_1)
	v_add_nc_u32_e32 v0, v0, v4
	v_mul_hi_u32 v0, v3, v0
	s_delay_alu instid0(VALU_DEP_1) | instskip(NEXT) | instid1(VALU_DEP_1)
	v_mul_lo_u32 v4, v0, s6
	v_sub_nc_u32_e32 v3, v3, v4
	v_add_nc_u32_e32 v4, 1, v0
	s_delay_alu instid0(VALU_DEP_2) | instskip(SKIP_1) | instid1(VALU_DEP_2)
	v_subrev_nc_u32_e32 v7, s6, v3
	v_cmp_le_u32_e32 vcc_lo, s6, v3
	v_dual_cndmask_b32 v3, v3, v7 :: v_dual_cndmask_b32 v0, v0, v4
	s_delay_alu instid0(VALU_DEP_1) | instskip(NEXT) | instid1(VALU_DEP_2)
	v_cmp_le_u32_e32 vcc_lo, s6, v3
	v_add_nc_u32_e32 v4, 1, v0
	s_delay_alu instid0(VALU_DEP_1)
	v_cndmask_b32_e32 v7, v0, v4, vcc_lo
.LBB64_20:
	s_or_b32 exec_lo, exec_lo, s2
	v_mad_u64_u32 v[3:4], null, s16, s10, v[5:6]
	s_mul_i32 s2, s17, s10
	s_mul_i32 s3, s16, s11
	s_delay_alu instid0(VALU_DEP_1) | instid1(SALU_CYCLE_1)
	v_add3_u32 v0, s3, s2, v4
	s_delay_alu instid0(VALU_DEP_2) | instskip(SKIP_1) | instid1(VALU_DEP_2)
	v_add_co_u32 v3, vcc_lo, v3, v7
	s_load_b64 s[2:3], s[0:1], 0x10
	v_add_co_ci_u32_e32 v0, vcc_lo, v0, v8, vcc_lo
	s_delay_alu instid0(VALU_DEP_1) | instskip(NEXT) | instid1(VALU_DEP_1)
	v_ashrrev_i32_e32 v4, 31, v0
	v_lshrrev_b32_e32 v4, 30, v4
	s_delay_alu instid0(VALU_DEP_1) | instskip(SKIP_1) | instid1(VALU_DEP_2)
	v_add_co_u32 v3, vcc_lo, v3, v4
	v_add_co_ci_u32_e32 v0, vcc_lo, 0, v0, vcc_lo
	v_and_b32_e32 v3, -4, v3
	s_delay_alu instid0(VALU_DEP_1) | instskip(NEXT) | instid1(VALU_DEP_3)
	v_add_co_u32 v3, vcc_lo, s12, v3
	v_add_co_ci_u32_e32 v4, vcc_lo, s13, v0, vcc_lo
	global_load_b32 v0, v[3:4], off
	v_mov_b32_e32 v3, 0
	v_or_b32_e32 v4, s7, v2
	s_delay_alu instid0(VALU_DEP_1) | instskip(SKIP_1) | instid1(SALU_CYCLE_1)
	v_cmp_ne_u64_e32 vcc_lo, 0, v[3:4]
                                        ; implicit-def: $vgpr3_vgpr4
	s_and_saveexec_b32 s0, vcc_lo
	s_xor_b32 s1, exec_lo, s0
	s_cbranch_execz .LBB64_22
; %bb.21:
	s_add_u32 s8, s6, s7
	s_mov_b32 s4, s7
	s_mov_b32 s5, s7
	s_addc_u32 s9, s7, s7
	s_delay_alu instid0(SALU_CYCLE_1) | instskip(NEXT) | instid1(SALU_CYCLE_1)
	s_xor_b64 s[8:9], s[8:9], s[4:5]
	v_cvt_f32_u32_e32 v3, s8
	v_cvt_f32_u32_e32 v4, s9
	s_sub_u32 s0, 0, s8
	s_subb_u32 s7, 0, s9
	s_delay_alu instid0(VALU_DEP_1) | instskip(NEXT) | instid1(VALU_DEP_1)
	v_fmamk_f32 v3, v4, 0x4f800000, v3
	v_rcp_f32_e32 v3, v3
	s_waitcnt_depctr 0xfff
	v_mul_f32_e32 v3, 0x5f7ffffc, v3
	s_delay_alu instid0(VALU_DEP_1) | instskip(NEXT) | instid1(VALU_DEP_1)
	v_mul_f32_e32 v4, 0x2f800000, v3
	v_trunc_f32_e32 v4, v4
	s_delay_alu instid0(VALU_DEP_1) | instskip(SKIP_1) | instid1(VALU_DEP_2)
	v_fmamk_f32 v3, v4, 0xcf800000, v3
	v_cvt_u32_f32_e32 v4, v4
	v_cvt_u32_f32_e32 v3, v3
	s_delay_alu instid0(VALU_DEP_2) | instskip(NEXT) | instid1(VALU_DEP_2)
	v_mul_lo_u32 v5, s0, v4
	v_mul_hi_u32 v6, s0, v3
	v_mul_lo_u32 v7, s7, v3
	s_delay_alu instid0(VALU_DEP_2) | instskip(SKIP_1) | instid1(VALU_DEP_2)
	v_add_nc_u32_e32 v5, v6, v5
	v_mul_lo_u32 v6, s0, v3
	v_add_nc_u32_e32 v5, v5, v7
	s_delay_alu instid0(VALU_DEP_2) | instskip(NEXT) | instid1(VALU_DEP_2)
	v_mul_hi_u32 v7, v3, v6
	v_mul_lo_u32 v8, v3, v5
	v_mul_hi_u32 v9, v3, v5
	v_mul_hi_u32 v10, v4, v6
	v_mul_lo_u32 v6, v4, v6
	v_mul_hi_u32 v11, v4, v5
	v_mul_lo_u32 v5, v4, v5
	v_add_co_u32 v7, vcc_lo, v7, v8
	v_add_co_ci_u32_e32 v8, vcc_lo, 0, v9, vcc_lo
	s_delay_alu instid0(VALU_DEP_2) | instskip(NEXT) | instid1(VALU_DEP_2)
	v_add_co_u32 v6, vcc_lo, v7, v6
	v_add_co_ci_u32_e32 v6, vcc_lo, v8, v10, vcc_lo
	v_add_co_ci_u32_e32 v7, vcc_lo, 0, v11, vcc_lo
	v_ashrrev_i32_e32 v10, 31, v2
	s_delay_alu instid0(VALU_DEP_3) | instskip(NEXT) | instid1(VALU_DEP_3)
	v_add_co_u32 v5, vcc_lo, v6, v5
	v_add_co_ci_u32_e32 v6, vcc_lo, 0, v7, vcc_lo
	s_delay_alu instid0(VALU_DEP_2) | instskip(NEXT) | instid1(VALU_DEP_2)
	v_add_co_u32 v3, vcc_lo, v3, v5
	v_add_co_ci_u32_e32 v4, vcc_lo, v4, v6, vcc_lo
	s_delay_alu instid0(VALU_DEP_2) | instskip(SKIP_1) | instid1(VALU_DEP_3)
	v_mul_hi_u32 v5, s0, v3
	v_mul_lo_u32 v7, s7, v3
	v_mul_lo_u32 v6, s0, v4
	s_delay_alu instid0(VALU_DEP_1) | instskip(SKIP_1) | instid1(VALU_DEP_2)
	v_add_nc_u32_e32 v5, v5, v6
	v_mul_lo_u32 v6, s0, v3
	v_add_nc_u32_e32 v5, v5, v7
	s_delay_alu instid0(VALU_DEP_2) | instskip(NEXT) | instid1(VALU_DEP_2)
	v_mul_hi_u32 v7, v3, v6
	v_mul_lo_u32 v8, v3, v5
	v_mul_hi_u32 v9, v3, v5
	v_mul_hi_u32 v11, v4, v6
	v_mul_lo_u32 v6, v4, v6
	v_mul_hi_u32 v12, v4, v5
	v_mul_lo_u32 v5, v4, v5
	v_add_co_u32 v7, vcc_lo, v7, v8
	v_add_co_ci_u32_e32 v8, vcc_lo, 0, v9, vcc_lo
	s_delay_alu instid0(VALU_DEP_2) | instskip(NEXT) | instid1(VALU_DEP_2)
	v_add_co_u32 v6, vcc_lo, v7, v6
	v_add_co_ci_u32_e32 v6, vcc_lo, v8, v11, vcc_lo
	v_add_co_ci_u32_e32 v7, vcc_lo, 0, v12, vcc_lo
	v_add_co_u32 v1, vcc_lo, v1, v10
	v_add_co_ci_u32_e32 v2, vcc_lo, v2, v10, vcc_lo
	s_delay_alu instid0(VALU_DEP_4) | instskip(NEXT) | instid1(VALU_DEP_4)
	v_add_co_u32 v5, vcc_lo, v6, v5
	v_add_co_ci_u32_e32 v6, vcc_lo, 0, v7, vcc_lo
	s_delay_alu instid0(VALU_DEP_4) | instskip(NEXT) | instid1(VALU_DEP_3)
	v_xor_b32_e32 v7, v1, v10
	v_add_co_u32 v5, vcc_lo, v3, v5
	s_delay_alu instid0(VALU_DEP_3) | instskip(SKIP_1) | instid1(VALU_DEP_3)
	v_add_co_ci_u32_e32 v8, vcc_lo, v4, v6, vcc_lo
	v_xor_b32_e32 v9, v2, v10
	v_mul_hi_u32 v11, v7, v5
	s_delay_alu instid0(VALU_DEP_3) | instskip(NEXT) | instid1(VALU_DEP_3)
	v_mad_u64_u32 v[1:2], null, v7, v8, 0
	v_mad_u64_u32 v[3:4], null, v9, v5, 0
	;; [unrolled: 1-line block ×3, first 2 shown]
	s_delay_alu instid0(VALU_DEP_3) | instskip(NEXT) | instid1(VALU_DEP_4)
	v_add_co_u32 v1, vcc_lo, v11, v1
	v_add_co_ci_u32_e32 v2, vcc_lo, 0, v2, vcc_lo
	s_delay_alu instid0(VALU_DEP_2) | instskip(NEXT) | instid1(VALU_DEP_2)
	v_add_co_u32 v1, vcc_lo, v1, v3
	v_add_co_ci_u32_e32 v1, vcc_lo, v2, v4, vcc_lo
	v_add_co_ci_u32_e32 v2, vcc_lo, 0, v6, vcc_lo
	s_delay_alu instid0(VALU_DEP_2) | instskip(NEXT) | instid1(VALU_DEP_2)
	v_add_co_u32 v3, vcc_lo, v1, v5
	v_add_co_ci_u32_e32 v4, vcc_lo, 0, v2, vcc_lo
	s_delay_alu instid0(VALU_DEP_2) | instskip(SKIP_1) | instid1(VALU_DEP_3)
	v_mul_lo_u32 v5, s9, v3
	v_mad_u64_u32 v[1:2], null, s8, v3, 0
	v_mul_lo_u32 v6, s8, v4
	s_delay_alu instid0(VALU_DEP_2) | instskip(NEXT) | instid1(VALU_DEP_2)
	v_sub_co_u32 v1, vcc_lo, v7, v1
	v_add3_u32 v2, v2, v6, v5
	s_delay_alu instid0(VALU_DEP_1) | instskip(NEXT) | instid1(VALU_DEP_1)
	v_sub_nc_u32_e32 v5, v9, v2
	v_subrev_co_ci_u32_e64 v5, s0, s9, v5, vcc_lo
	v_add_co_u32 v6, s0, v3, 2
	s_delay_alu instid0(VALU_DEP_1) | instskip(SKIP_3) | instid1(VALU_DEP_3)
	v_add_co_ci_u32_e64 v7, s0, 0, v4, s0
	v_sub_co_u32 v8, s0, v1, s8
	v_sub_co_ci_u32_e32 v2, vcc_lo, v9, v2, vcc_lo
	v_subrev_co_ci_u32_e64 v5, s0, 0, v5, s0
	v_cmp_le_u32_e32 vcc_lo, s8, v8
	s_delay_alu instid0(VALU_DEP_3) | instskip(SKIP_1) | instid1(VALU_DEP_4)
	v_cmp_eq_u32_e64 s0, s9, v2
	v_cndmask_b32_e64 v8, 0, -1, vcc_lo
	v_cmp_le_u32_e32 vcc_lo, s9, v5
	v_cndmask_b32_e64 v9, 0, -1, vcc_lo
	v_cmp_le_u32_e32 vcc_lo, s8, v1
	;; [unrolled: 2-line block ×3, first 2 shown]
	v_cndmask_b32_e64 v11, 0, -1, vcc_lo
	v_cmp_eq_u32_e32 vcc_lo, s9, v5
	s_delay_alu instid0(VALU_DEP_2) | instskip(SKIP_3) | instid1(VALU_DEP_3)
	v_cndmask_b32_e64 v1, v11, v1, s0
	v_cndmask_b32_e32 v5, v9, v8, vcc_lo
	v_add_co_u32 v8, vcc_lo, v3, 1
	v_add_co_ci_u32_e32 v9, vcc_lo, 0, v4, vcc_lo
	v_cmp_ne_u32_e32 vcc_lo, 0, v5
	s_delay_alu instid0(VALU_DEP_2) | instskip(SKIP_2) | instid1(VALU_DEP_3)
	v_dual_cndmask_b32 v2, v9, v7 :: v_dual_cndmask_b32 v5, v8, v6
	v_cmp_ne_u32_e32 vcc_lo, 0, v1
	v_xor_b32_e32 v1, s4, v10
                                        ; implicit-def: $vgpr9
	v_dual_cndmask_b32 v3, v3, v5 :: v_dual_cndmask_b32 v2, v4, v2
	v_xor_b32_e32 v4, s5, v10
	s_delay_alu instid0(VALU_DEP_2) | instskip(NEXT) | instid1(VALU_DEP_2)
	v_xor_b32_e32 v3, v3, v1
	v_xor_b32_e32 v2, v2, v4
	s_delay_alu instid0(VALU_DEP_2) | instskip(NEXT) | instid1(VALU_DEP_2)
	v_sub_co_u32 v3, vcc_lo, v3, v1
	v_sub_co_ci_u32_e32 v4, vcc_lo, v2, v4, vcc_lo
                                        ; implicit-def: $vgpr1_vgpr2
.LBB64_22:
	s_and_not1_saveexec_b32 s0, s1
	s_cbranch_execz .LBB64_24
; %bb.23:
	v_rcp_iflag_f32_e32 v2, v9
	s_sub_i32 s1, 0, s6
	s_waitcnt_depctr 0xfff
	v_mul_f32_e32 v2, 0x4f7ffffe, v2
	s_delay_alu instid0(VALU_DEP_1) | instskip(NEXT) | instid1(VALU_DEP_1)
	v_cvt_u32_f32_e32 v2, v2
	v_mul_lo_u32 v3, s1, v2
	s_delay_alu instid0(VALU_DEP_1) | instskip(NEXT) | instid1(VALU_DEP_1)
	v_mul_hi_u32 v3, v2, v3
	v_add_nc_u32_e32 v2, v2, v3
	s_delay_alu instid0(VALU_DEP_1) | instskip(NEXT) | instid1(VALU_DEP_1)
	v_mul_hi_u32 v2, v1, v2
	v_mul_lo_u32 v3, v2, s6
	s_delay_alu instid0(VALU_DEP_1) | instskip(SKIP_1) | instid1(VALU_DEP_2)
	v_sub_nc_u32_e32 v1, v1, v3
	v_add_nc_u32_e32 v3, 1, v2
	v_subrev_nc_u32_e32 v4, s6, v1
	v_cmp_le_u32_e32 vcc_lo, s6, v1
	s_delay_alu instid0(VALU_DEP_2) | instskip(NEXT) | instid1(VALU_DEP_4)
	v_dual_cndmask_b32 v1, v1, v4 :: v_dual_mov_b32 v4, 0
	v_cndmask_b32_e32 v2, v2, v3, vcc_lo
	s_delay_alu instid0(VALU_DEP_2) | instskip(NEXT) | instid1(VALU_DEP_2)
	v_cmp_le_u32_e32 vcc_lo, s6, v1
	v_add_nc_u32_e32 v3, 1, v2
	s_delay_alu instid0(VALU_DEP_1)
	v_cndmask_b32_e32 v3, v2, v3, vcc_lo
.LBB64_24:
	s_or_b32 exec_lo, exec_lo, s0
	s_delay_alu instid0(VALU_DEP_1) | instskip(SKIP_1) | instid1(VALU_DEP_1)
	v_lshlrev_b64 v[1:2], 2, v[3:4]
	s_waitcnt lgkmcnt(0)
	v_add_co_u32 v1, vcc_lo, s2, v1
	s_delay_alu instid0(VALU_DEP_2)
	v_add_co_ci_u32_e32 v2, vcc_lo, s3, v2, vcc_lo
	s_waitcnt vmcnt(0)
	global_store_b32 v[1:2], v0, off
.LBB64_25:
	s_nop 0
	s_sendmsg sendmsg(MSG_DEALLOC_VGPRS)
	s_endpgm
	.section	.rodata,"a",@progbits
	.p2align	6, 0x0
	.amdhsa_kernel _ZN4vllm38cp_gather_indexer_k_quant_cache_kernelILi16EEEvPKcPcS3_PKiS5_illllliii
		.amdhsa_group_segment_fixed_size 64
		.amdhsa_private_segment_fixed_size 0
		.amdhsa_kernarg_size 360
		.amdhsa_user_sgpr_count 14
		.amdhsa_user_sgpr_dispatch_ptr 0
		.amdhsa_user_sgpr_queue_ptr 0
		.amdhsa_user_sgpr_kernarg_segment_ptr 1
		.amdhsa_user_sgpr_dispatch_id 0
		.amdhsa_user_sgpr_private_segment_size 0
		.amdhsa_wavefront_size32 1
		.amdhsa_uses_dynamic_stack 0
		.amdhsa_enable_private_segment 0
		.amdhsa_system_sgpr_workgroup_id_x 1
		.amdhsa_system_sgpr_workgroup_id_y 1
		.amdhsa_system_sgpr_workgroup_id_z 0
		.amdhsa_system_sgpr_workgroup_info 0
		.amdhsa_system_vgpr_workitem_id 1
		.amdhsa_next_free_vgpr 19
		.amdhsa_next_free_sgpr 26
		.amdhsa_reserve_vcc 1
		.amdhsa_float_round_mode_32 0
		.amdhsa_float_round_mode_16_64 0
		.amdhsa_float_denorm_mode_32 3
		.amdhsa_float_denorm_mode_16_64 3
		.amdhsa_dx10_clamp 1
		.amdhsa_ieee_mode 1
		.amdhsa_fp16_overflow 0
		.amdhsa_workgroup_processor_mode 1
		.amdhsa_memory_ordered 1
		.amdhsa_forward_progress 0
		.amdhsa_shared_vgpr_count 0
		.amdhsa_exception_fp_ieee_invalid_op 0
		.amdhsa_exception_fp_denorm_src 0
		.amdhsa_exception_fp_ieee_div_zero 0
		.amdhsa_exception_fp_ieee_overflow 0
		.amdhsa_exception_fp_ieee_underflow 0
		.amdhsa_exception_fp_ieee_inexact 0
		.amdhsa_exception_int_div_zero 0
	.end_amdhsa_kernel
	.section	.text._ZN4vllm38cp_gather_indexer_k_quant_cache_kernelILi16EEEvPKcPcS3_PKiS5_illllliii,"axG",@progbits,_ZN4vllm38cp_gather_indexer_k_quant_cache_kernelILi16EEEvPKcPcS3_PKiS5_illllliii,comdat
.Lfunc_end64:
	.size	_ZN4vllm38cp_gather_indexer_k_quant_cache_kernelILi16EEEvPKcPcS3_PKiS5_illllliii, .Lfunc_end64-_ZN4vllm38cp_gather_indexer_k_quant_cache_kernelILi16EEEvPKcPcS3_PKiS5_illllliii
                                        ; -- End function
	.section	.AMDGPU.csdata,"",@progbits
; Kernel info:
; codeLenInByte = 4192
; NumSgprs: 28
; NumVgprs: 19
; ScratchSize: 0
; MemoryBound: 0
; FloatMode: 240
; IeeeMode: 1
; LDSByteSize: 64 bytes/workgroup (compile time only)
; SGPRBlocks: 3
; VGPRBlocks: 2
; NumSGPRsForWavesPerEU: 28
; NumVGPRsForWavesPerEU: 19
; Occupancy: 16
; WaveLimiterHint : 1
; COMPUTE_PGM_RSRC2:SCRATCH_EN: 0
; COMPUTE_PGM_RSRC2:USER_SGPR: 14
; COMPUTE_PGM_RSRC2:TRAP_HANDLER: 0
; COMPUTE_PGM_RSRC2:TGID_X_EN: 1
; COMPUTE_PGM_RSRC2:TGID_Y_EN: 1
; COMPUTE_PGM_RSRC2:TGID_Z_EN: 0
; COMPUTE_PGM_RSRC2:TIDIG_COMP_CNT: 1
	.section	.text._ZN4vllm38cp_gather_indexer_k_quant_cache_kernelILi32EEEvPKcPcS3_PKiS5_illllliii,"axG",@progbits,_ZN4vllm38cp_gather_indexer_k_quant_cache_kernelILi32EEEvPKcPcS3_PKiS5_illllliii,comdat
	.protected	_ZN4vllm38cp_gather_indexer_k_quant_cache_kernelILi32EEEvPKcPcS3_PKiS5_illllliii ; -- Begin function _ZN4vllm38cp_gather_indexer_k_quant_cache_kernelILi32EEEvPKcPcS3_PKiS5_illllliii
	.globl	_ZN4vllm38cp_gather_indexer_k_quant_cache_kernelILi32EEEvPKcPcS3_PKiS5_illllliii
	.p2align	8
	.type	_ZN4vllm38cp_gather_indexer_k_quant_cache_kernelILi32EEEvPKcPcS3_PKiS5_illllliii,@function
_ZN4vllm38cp_gather_indexer_k_quant_cache_kernelILi32EEEvPKcPcS3_PKiS5_illllliii: ; @_ZN4vllm38cp_gather_indexer_k_quant_cache_kernelILi32EEEvPKcPcS3_PKiS5_illllliii
; %bb.0:
	s_clause 0x1
	s_load_b64 s[12:13], s[0:1], 0x20
	s_load_b32 s5, s[0:1], 0x74
	v_and_b32_e32 v4, 0x3ff, v0
	v_bfe_u32 v2, v0, 10, 10
	s_delay_alu instid0(VALU_DEP_2) | instskip(NEXT) | instid1(VALU_DEP_2)
	v_cmp_eq_u32_e64 s2, 0, v4
	v_lshlrev_b32_e32 v5, 2, v2
	s_delay_alu instid0(VALU_DEP_2)
	s_and_saveexec_b32 s3, s2
	s_cbranch_execz .LBB65_2
; %bb.1:
	v_mov_b32_e32 v0, -1
	ds_store_b32 v5, v0
.LBB65_2:
	s_or_b32 exec_lo, exec_lo, s3
	s_waitcnt lgkmcnt(0)
	s_and_b32 s3, s5, 0xffff
	s_load_b32 s4, s[0:1], 0x28
	v_cvt_f32_u32_e32 v0, s3
	s_sub_i32 s7, 0, s3
	s_lshr_b32 s5, s5, 16
	s_waitcnt lgkmcnt(0)
	s_barrier
	v_rcp_iflag_f32_e32 v0, v0
	buffer_gl0_inv
	v_mul_f32_e32 v0, 0x4f7ffffe, v0
	s_add_i32 s8, s4, s3
	s_delay_alu instid0(VALU_DEP_1) | instskip(SKIP_1) | instid1(SALU_CYCLE_1)
	v_cvt_u32_f32_e32 v0, v0
	s_add_i32 s8, s8, -1
	s_abs_i32 s9, s8
	s_ashr_i32 s8, s8, 31
	s_delay_alu instid0(VALU_DEP_1) | instskip(SKIP_1) | instid1(VALU_DEP_2)
	v_readfirstlane_b32 s6, v0
	v_mad_u64_u32 v[0:1], null, s14, s5, v[2:3]
	s_mul_i32 s7, s7, s6
	s_delay_alu instid0(SALU_CYCLE_1) | instskip(NEXT) | instid1(SALU_CYCLE_1)
	s_mul_hi_u32 s7, s6, s7
	s_add_i32 s6, s6, s7
	s_delay_alu instid0(SALU_CYCLE_1) | instskip(NEXT) | instid1(SALU_CYCLE_1)
	s_mul_hi_u32 s6, s9, s6
	s_mul_i32 s7, s6, s3
	s_delay_alu instid0(SALU_CYCLE_1)
	s_sub_i32 s7, s9, s7
	s_add_i32 s9, s6, 1
	s_sub_i32 s10, s7, s3
	s_cmp_ge_u32 s7, s3
	s_cselect_b32 s6, s9, s6
	s_cselect_b32 s7, s10, s7
	s_add_i32 s9, s6, 1
	s_cmp_ge_u32 s7, s3
	s_cselect_b32 s6, s9, s6
	s_delay_alu instid0(SALU_CYCLE_1) | instskip(NEXT) | instid1(SALU_CYCLE_1)
	s_xor_b32 s5, s6, s8
	s_sub_i32 s5, s5, s8
	s_delay_alu instid0(SALU_CYCLE_1)
	s_cmp_lt_i32 s5, 1
	s_cbranch_scc1 .LBB65_9
; %bb.3:
	v_mov_b32_e32 v1, v4
	s_set_inst_prefetch_distance 0x1
	s_branch .LBB65_5
	.p2align	6
.LBB65_4:                               ;   in Loop: Header=BB65_5 Depth=1
	s_or_b32 exec_lo, exec_lo, s6
	v_add_nc_u32_e32 v1, s3, v1
	s_add_i32 s5, s5, -1
	s_delay_alu instid0(SALU_CYCLE_1)
	s_cmp_eq_u32 s5, 0
	s_cbranch_scc1 .LBB65_9
.LBB65_5:                               ; =>This Inner Loop Header: Depth=1
	s_mov_b32 s6, exec_lo
	s_delay_alu instid0(VALU_DEP_1)
	v_cmpx_gt_i32_e64 s4, v1
	s_cbranch_execz .LBB65_4
; %bb.6:                                ;   in Loop: Header=BB65_5 Depth=1
	v_ashrrev_i32_e32 v2, 31, v1
	s_delay_alu instid0(VALU_DEP_1) | instskip(NEXT) | instid1(VALU_DEP_1)
	v_lshlrev_b64 v[2:3], 2, v[1:2]
	v_add_co_u32 v2, vcc_lo, s12, v2
	s_delay_alu instid0(VALU_DEP_2)
	v_add_co_ci_u32_e32 v3, vcc_lo, s13, v3, vcc_lo
	global_load_b32 v6, v[2:3], off
	s_waitcnt vmcnt(0)
	v_cmp_ge_i32_e32 vcc_lo, v0, v6
	s_and_b32 exec_lo, exec_lo, vcc_lo
	s_cbranch_execz .LBB65_4
; %bb.7:                                ;   in Loop: Header=BB65_5 Depth=1
	global_load_b32 v2, v[2:3], off offset:4
	s_waitcnt vmcnt(0)
	v_cmp_lt_i32_e32 vcc_lo, v0, v2
	s_and_b32 exec_lo, exec_lo, vcc_lo
	s_cbranch_execz .LBB65_4
; %bb.8:                                ;   in Loop: Header=BB65_5 Depth=1
	ds_store_b32 v5, v1
	s_branch .LBB65_4
.LBB65_9:
	s_set_inst_prefetch_distance 0x2
	s_load_b128 s[8:11], s[0:1], 0x30
	s_mul_i32 s15, s15, s3
	s_waitcnt lgkmcnt(0)
	v_add_lshl_u32 v3, s15, v4, 4
	s_barrier
	buffer_gl0_inv
	s_mov_b32 s3, exec_lo
	v_ashrrev_i32_e32 v4, 31, v3
	s_delay_alu instid0(VALU_DEP_1)
	v_cmpx_gt_i64_e64 s[10:11], v[3:4]
	s_cbranch_execz .LBB65_25
; %bb.10:
	s_load_b128 s[4:7], s[0:1], 0x58
	ds_load_b32 v1, v5
	s_waitcnt lgkmcnt(0)
	v_cmp_gt_i32_e32 vcc_lo, s5, v0
	v_cmp_lt_i32_e64 s3, -1, v1
	s_delay_alu instid0(VALU_DEP_1) | instskip(NEXT) | instid1(SALU_CYCLE_1)
	s_and_b32 s3, vcc_lo, s3
	s_and_b32 exec_lo, exec_lo, s3
	s_cbranch_execz .LBB65_25
; %bb.11:
	v_mov_b32_e32 v2, 0
	s_delay_alu instid0(VALU_DEP_1) | instskip(NEXT) | instid1(VALU_DEP_1)
	v_lshlrev_b64 v[5:6], 2, v[1:2]
	v_add_co_u32 v5, vcc_lo, s12, v5
	s_delay_alu instid0(VALU_DEP_2)
	v_add_co_ci_u32_e32 v6, vcc_lo, s13, v6, vcc_lo
	global_load_b32 v5, v[5:6], off
	s_clause 0x3
	s_load_b64 s[16:17], s[0:1], 0x50
	s_load_b64 s[18:19], s[0:1], 0x40
	s_load_b128 s[12:15], s[0:1], 0x0
	s_load_b64 s[20:21], s[0:1], 0x18
	s_waitcnt vmcnt(0)
	v_sub_nc_u32_e32 v7, v0, v5
	v_mov_b32_e32 v5, v2
	s_delay_alu instid0(VALU_DEP_2) | instskip(SKIP_1) | instid1(VALU_DEP_1)
	v_ashrrev_i32_e32 v8, 31, v7
	s_waitcnt lgkmcnt(0)
	v_or_b32_e32 v6, s17, v8
	s_delay_alu instid0(VALU_DEP_1) | instskip(SKIP_1) | instid1(SALU_CYCLE_1)
	v_cmp_ne_u64_e32 vcc_lo, 0, v[5:6]
                                        ; implicit-def: $vgpr5_vgpr6
	s_and_saveexec_b32 s3, vcc_lo
	s_xor_b32 s5, exec_lo, s3
	s_cbranch_execz .LBB65_13
; %bb.12:
	s_ashr_i32 s22, s17, 31
	s_delay_alu instid0(SALU_CYCLE_1) | instskip(SKIP_2) | instid1(SALU_CYCLE_1)
	s_add_u32 s24, s16, s22
	s_mov_b32 s23, s22
	s_addc_u32 s25, s17, s22
	s_xor_b64 s[24:25], s[24:25], s[22:23]
	s_delay_alu instid0(SALU_CYCLE_1) | instskip(SKIP_3) | instid1(VALU_DEP_1)
	v_cvt_f32_u32_e32 v2, s24
	v_cvt_f32_u32_e32 v5, s25
	s_sub_u32 s3, 0, s24
	s_subb_u32 s7, 0, s25
	v_fmamk_f32 v2, v5, 0x4f800000, v2
	s_delay_alu instid0(VALU_DEP_1) | instskip(SKIP_2) | instid1(VALU_DEP_1)
	v_rcp_f32_e32 v2, v2
	s_waitcnt_depctr 0xfff
	v_mul_f32_e32 v2, 0x5f7ffffc, v2
	v_mul_f32_e32 v5, 0x2f800000, v2
	s_delay_alu instid0(VALU_DEP_1) | instskip(NEXT) | instid1(VALU_DEP_1)
	v_trunc_f32_e32 v5, v5
	v_fmamk_f32 v2, v5, 0xcf800000, v2
	v_cvt_u32_f32_e32 v5, v5
	s_delay_alu instid0(VALU_DEP_2) | instskip(NEXT) | instid1(VALU_DEP_2)
	v_cvt_u32_f32_e32 v2, v2
	v_mul_lo_u32 v6, s3, v5
	s_delay_alu instid0(VALU_DEP_2) | instskip(SKIP_1) | instid1(VALU_DEP_2)
	v_mul_hi_u32 v9, s3, v2
	v_mul_lo_u32 v10, s7, v2
	v_add_nc_u32_e32 v6, v9, v6
	v_mul_lo_u32 v9, s3, v2
	s_delay_alu instid0(VALU_DEP_2) | instskip(NEXT) | instid1(VALU_DEP_2)
	v_add_nc_u32_e32 v6, v6, v10
	v_mul_hi_u32 v10, v2, v9
	s_delay_alu instid0(VALU_DEP_2)
	v_mul_lo_u32 v11, v2, v6
	v_mul_hi_u32 v12, v2, v6
	v_mul_hi_u32 v13, v5, v9
	v_mul_lo_u32 v9, v5, v9
	v_mul_hi_u32 v14, v5, v6
	v_mul_lo_u32 v6, v5, v6
	v_add_co_u32 v10, vcc_lo, v10, v11
	v_add_co_ci_u32_e32 v11, vcc_lo, 0, v12, vcc_lo
	s_delay_alu instid0(VALU_DEP_2) | instskip(NEXT) | instid1(VALU_DEP_2)
	v_add_co_u32 v9, vcc_lo, v10, v9
	v_add_co_ci_u32_e32 v9, vcc_lo, v11, v13, vcc_lo
	v_add_co_ci_u32_e32 v10, vcc_lo, 0, v14, vcc_lo
	v_mov_b32_e32 v13, v8
	s_delay_alu instid0(VALU_DEP_3) | instskip(NEXT) | instid1(VALU_DEP_3)
	v_add_co_u32 v6, vcc_lo, v9, v6
	v_add_co_ci_u32_e32 v9, vcc_lo, 0, v10, vcc_lo
	v_mov_b32_e32 v14, v8
	s_delay_alu instid0(VALU_DEP_3) | instskip(NEXT) | instid1(VALU_DEP_3)
	v_add_co_u32 v2, vcc_lo, v2, v6
	v_add_co_ci_u32_e32 v5, vcc_lo, v5, v9, vcc_lo
	s_delay_alu instid0(VALU_DEP_2) | instskip(SKIP_1) | instid1(VALU_DEP_3)
	v_mul_hi_u32 v6, s3, v2
	v_mul_lo_u32 v10, s7, v2
	v_mul_lo_u32 v9, s3, v5
	s_delay_alu instid0(VALU_DEP_1) | instskip(SKIP_1) | instid1(VALU_DEP_2)
	v_add_nc_u32_e32 v6, v6, v9
	v_mul_lo_u32 v9, s3, v2
	v_add_nc_u32_e32 v6, v6, v10
	s_delay_alu instid0(VALU_DEP_2) | instskip(NEXT) | instid1(VALU_DEP_2)
	v_mul_hi_u32 v10, v2, v9
	v_mul_lo_u32 v11, v2, v6
	v_mul_hi_u32 v12, v2, v6
	v_mul_hi_u32 v15, v5, v9
	v_mul_lo_u32 v9, v5, v9
	v_mul_hi_u32 v16, v5, v6
	v_mul_lo_u32 v6, v5, v6
	v_add_co_u32 v10, vcc_lo, v10, v11
	v_add_co_ci_u32_e32 v11, vcc_lo, 0, v12, vcc_lo
	s_delay_alu instid0(VALU_DEP_2) | instskip(NEXT) | instid1(VALU_DEP_2)
	v_add_co_u32 v9, vcc_lo, v10, v9
	v_add_co_ci_u32_e32 v9, vcc_lo, v11, v15, vcc_lo
	v_add_co_ci_u32_e32 v10, vcc_lo, 0, v16, vcc_lo
	v_add_co_u32 v11, vcc_lo, v7, v13
	v_add_co_ci_u32_e32 v12, vcc_lo, v8, v14, vcc_lo
	s_delay_alu instid0(VALU_DEP_4) | instskip(NEXT) | instid1(VALU_DEP_4)
	v_add_co_u32 v6, vcc_lo, v9, v6
	v_add_co_ci_u32_e32 v9, vcc_lo, 0, v10, vcc_lo
	s_delay_alu instid0(VALU_DEP_4) | instskip(NEXT) | instid1(VALU_DEP_3)
	v_xor_b32_e32 v15, v11, v13
	v_add_co_u32 v2, vcc_lo, v2, v6
	s_delay_alu instid0(VALU_DEP_3) | instskip(SKIP_1) | instid1(VALU_DEP_3)
	v_add_co_ci_u32_e32 v16, vcc_lo, v5, v9, vcc_lo
	v_xor_b32_e32 v17, v12, v14
	v_mul_hi_u32 v18, v15, v2
	s_delay_alu instid0(VALU_DEP_3) | instskip(NEXT) | instid1(VALU_DEP_3)
	v_mad_u64_u32 v[5:6], null, v15, v16, 0
	v_mad_u64_u32 v[9:10], null, v17, v2, 0
	;; [unrolled: 1-line block ×3, first 2 shown]
	s_delay_alu instid0(VALU_DEP_3) | instskip(NEXT) | instid1(VALU_DEP_4)
	v_add_co_u32 v2, vcc_lo, v18, v5
	v_add_co_ci_u32_e32 v5, vcc_lo, 0, v6, vcc_lo
	s_delay_alu instid0(VALU_DEP_2) | instskip(NEXT) | instid1(VALU_DEP_2)
	v_add_co_u32 v2, vcc_lo, v2, v9
	v_add_co_ci_u32_e32 v2, vcc_lo, v5, v10, vcc_lo
	v_add_co_ci_u32_e32 v5, vcc_lo, 0, v12, vcc_lo
	s_delay_alu instid0(VALU_DEP_2) | instskip(NEXT) | instid1(VALU_DEP_2)
	v_add_co_u32 v2, vcc_lo, v2, v11
	v_add_co_ci_u32_e32 v9, vcc_lo, 0, v5, vcc_lo
	s_delay_alu instid0(VALU_DEP_2) | instskip(SKIP_1) | instid1(VALU_DEP_3)
	v_mul_lo_u32 v10, s25, v2
	v_mad_u64_u32 v[5:6], null, s24, v2, 0
	v_mul_lo_u32 v11, s24, v9
	s_delay_alu instid0(VALU_DEP_2) | instskip(NEXT) | instid1(VALU_DEP_2)
	v_sub_co_u32 v5, vcc_lo, v15, v5
	v_add3_u32 v6, v6, v11, v10
	s_delay_alu instid0(VALU_DEP_1) | instskip(NEXT) | instid1(VALU_DEP_1)
	v_sub_nc_u32_e32 v10, v17, v6
	v_subrev_co_ci_u32_e64 v10, s3, s25, v10, vcc_lo
	v_add_co_u32 v11, s3, v2, 2
	s_delay_alu instid0(VALU_DEP_1) | instskip(SKIP_3) | instid1(VALU_DEP_3)
	v_add_co_ci_u32_e64 v12, s3, 0, v9, s3
	v_sub_co_u32 v15, s3, v5, s24
	v_sub_co_ci_u32_e32 v6, vcc_lo, v17, v6, vcc_lo
	v_subrev_co_ci_u32_e64 v10, s3, 0, v10, s3
	v_cmp_le_u32_e32 vcc_lo, s24, v15
	s_delay_alu instid0(VALU_DEP_3) | instskip(SKIP_1) | instid1(VALU_DEP_4)
	v_cmp_eq_u32_e64 s3, s25, v6
	v_cndmask_b32_e64 v15, 0, -1, vcc_lo
	v_cmp_le_u32_e32 vcc_lo, s25, v10
	v_cndmask_b32_e64 v16, 0, -1, vcc_lo
	v_cmp_le_u32_e32 vcc_lo, s24, v5
	;; [unrolled: 2-line block ×3, first 2 shown]
	v_cndmask_b32_e64 v17, 0, -1, vcc_lo
	v_cmp_eq_u32_e32 vcc_lo, s25, v10
	s_delay_alu instid0(VALU_DEP_2) | instskip(SKIP_3) | instid1(VALU_DEP_3)
	v_cndmask_b32_e64 v5, v17, v5, s3
	v_cndmask_b32_e32 v10, v16, v15, vcc_lo
	v_add_co_u32 v15, vcc_lo, v2, 1
	v_add_co_ci_u32_e32 v16, vcc_lo, 0, v9, vcc_lo
	v_cmp_ne_u32_e32 vcc_lo, 0, v10
	s_delay_alu instid0(VALU_DEP_2) | instskip(NEXT) | instid1(VALU_DEP_4)
	v_cndmask_b32_e32 v6, v16, v12, vcc_lo
	v_cndmask_b32_e32 v10, v15, v11, vcc_lo
	v_cmp_ne_u32_e32 vcc_lo, 0, v5
	v_xor_b32_e32 v5, s22, v13
	s_delay_alu instid0(VALU_DEP_3) | instskip(SKIP_2) | instid1(VALU_DEP_3)
	v_cndmask_b32_e32 v2, v2, v10, vcc_lo
	v_cndmask_b32_e32 v6, v9, v6, vcc_lo
	v_xor_b32_e32 v9, s22, v14
	v_xor_b32_e32 v2, v2, v5
	s_delay_alu instid0(VALU_DEP_2) | instskip(NEXT) | instid1(VALU_DEP_2)
	v_xor_b32_e32 v6, v6, v9
	v_sub_co_u32 v5, vcc_lo, v2, v5
	s_delay_alu instid0(VALU_DEP_2)
	v_sub_co_ci_u32_e32 v6, vcc_lo, v6, v9, vcc_lo
.LBB65_13:
	s_and_not1_saveexec_b32 s3, s5
	s_cbranch_execz .LBB65_15
; %bb.14:
	v_cvt_f32_u32_e32 v2, s16
	s_sub_i32 s5, 0, s16
	s_delay_alu instid0(VALU_DEP_1) | instskip(SKIP_2) | instid1(VALU_DEP_1)
	v_rcp_iflag_f32_e32 v2, v2
	s_waitcnt_depctr 0xfff
	v_mul_f32_e32 v2, 0x4f7ffffe, v2
	v_cvt_u32_f32_e32 v2, v2
	s_delay_alu instid0(VALU_DEP_1) | instskip(NEXT) | instid1(VALU_DEP_1)
	v_mul_lo_u32 v5, s5, v2
	v_mul_hi_u32 v5, v2, v5
	s_delay_alu instid0(VALU_DEP_1) | instskip(NEXT) | instid1(VALU_DEP_1)
	v_add_nc_u32_e32 v2, v2, v5
	v_mul_hi_u32 v2, v7, v2
	s_delay_alu instid0(VALU_DEP_1) | instskip(SKIP_1) | instid1(VALU_DEP_2)
	v_mul_lo_u32 v5, v2, s16
	v_add_nc_u32_e32 v6, 1, v2
	v_sub_nc_u32_e32 v5, v7, v5
	s_delay_alu instid0(VALU_DEP_1) | instskip(SKIP_1) | instid1(VALU_DEP_2)
	v_subrev_nc_u32_e32 v9, s16, v5
	v_cmp_le_u32_e32 vcc_lo, s16, v5
	v_dual_cndmask_b32 v5, v5, v9 :: v_dual_cndmask_b32 v2, v2, v6
	s_delay_alu instid0(VALU_DEP_1) | instskip(NEXT) | instid1(VALU_DEP_2)
	v_cmp_le_u32_e32 vcc_lo, s16, v5
	v_add_nc_u32_e32 v6, 1, v2
	s_delay_alu instid0(VALU_DEP_1)
	v_dual_cndmask_b32 v5, v2, v6 :: v_dual_mov_b32 v6, 0
.LBB65_15:
	s_or_b32 exec_lo, exec_lo, s3
	v_mul_lo_u32 v1, v1, s4
	s_delay_alu instid0(VALU_DEP_2) | instskip(SKIP_2) | instid1(VALU_DEP_3)
	v_lshlrev_b64 v[9:10], 2, v[5:6]
	v_mul_lo_u32 v6, v6, s16
	v_ashrrev_i32_e32 v13, 31, v0
	v_add_co_u32 v9, vcc_lo, s20, v9
	v_ashrrev_i32_e32 v2, 31, v1
	v_add_co_ci_u32_e32 v10, vcc_lo, s21, v10, vcc_lo
	s_delay_alu instid0(VALU_DEP_2) | instskip(NEXT) | instid1(VALU_DEP_1)
	v_lshlrev_b64 v[1:2], 2, v[1:2]
	v_add_co_u32 v1, vcc_lo, v9, v1
	s_delay_alu instid0(VALU_DEP_2) | instskip(SKIP_3) | instid1(VALU_DEP_1)
	v_add_co_ci_u32_e32 v2, vcc_lo, v10, v2, vcc_lo
	v_mul_lo_u32 v10, v5, s17
	global_load_b32 v9, v[1:2], off
	v_mad_u64_u32 v[1:2], null, v5, s16, 0
	v_add3_u32 v2, v2, v10, v6
	s_delay_alu instid0(VALU_DEP_2) | instskip(NEXT) | instid1(VALU_DEP_2)
	v_sub_co_u32 v1, vcc_lo, v7, v1
	v_sub_co_ci_u32_e32 v2, vcc_lo, v8, v2, vcc_lo
	s_delay_alu instid0(VALU_DEP_2) | instskip(SKIP_1) | instid1(VALU_DEP_3)
	v_mul_lo_u32 v10, v1, s11
	v_mad_u64_u32 v[7:8], null, v1, s10, v[3:4]
	v_mul_lo_u32 v2, v2, s10
	s_delay_alu instid0(VALU_DEP_1) | instskip(SKIP_4) | instid1(VALU_DEP_3)
	v_add3_u32 v8, v2, v8, v10
	s_waitcnt vmcnt(0)
	v_ashrrev_i32_e32 v1, 31, v9
	v_mul_lo_u32 v11, v9, s19
	v_mad_u64_u32 v[5:6], null, v9, s18, 0
	v_mul_lo_u32 v1, v1, s18
	s_delay_alu instid0(VALU_DEP_1) | instskip(NEXT) | instid1(VALU_DEP_3)
	v_add3_u32 v6, v6, v11, v1
	v_add_co_u32 v1, vcc_lo, v7, v5
	s_delay_alu instid0(VALU_DEP_2) | instskip(NEXT) | instid1(VALU_DEP_1)
	v_add_co_ci_u32_e32 v2, vcc_lo, v8, v6, vcc_lo
	v_ashrrev_i32_e32 v9, 31, v2
	s_delay_alu instid0(VALU_DEP_1) | instskip(NEXT) | instid1(VALU_DEP_1)
	v_lshrrev_b32_e32 v9, 28, v9
	v_add_co_u32 v1, vcc_lo, v1, v9
	v_add_co_ci_u32_e32 v2, vcc_lo, 0, v2, vcc_lo
	s_delay_alu instid0(VALU_DEP_2) | instskip(NEXT) | instid1(VALU_DEP_1)
	v_and_b32_e32 v1, -16, v1
	v_add_co_u32 v1, vcc_lo, s12, v1
	s_delay_alu instid0(VALU_DEP_3) | instskip(SKIP_4) | instid1(VALU_DEP_1)
	v_add_co_ci_u32_e32 v2, vcc_lo, s13, v2, vcc_lo
	global_load_b128 v[9:12], v[1:2], off
	v_mad_u64_u32 v[1:2], null, v0, s8, v[3:4]
	v_mul_lo_u32 v0, v0, s9
	v_mul_lo_u32 v3, v13, s8
	v_add3_u32 v2, v3, v2, v0
	s_delay_alu instid0(VALU_DEP_1) | instskip(NEXT) | instid1(VALU_DEP_1)
	v_ashrrev_i32_e32 v0, 31, v2
	v_lshrrev_b32_e32 v0, 28, v0
	s_delay_alu instid0(VALU_DEP_1) | instskip(SKIP_1) | instid1(VALU_DEP_2)
	v_add_co_u32 v0, vcc_lo, v1, v0
	v_add_co_ci_u32_e32 v4, vcc_lo, 0, v2, vcc_lo
	v_and_b32_e32 v0, -16, v0
	s_delay_alu instid0(VALU_DEP_1) | instskip(NEXT) | instid1(VALU_DEP_3)
	v_add_co_u32 v3, vcc_lo, s14, v0
	v_add_co_ci_u32_e32 v4, vcc_lo, s15, v4, vcc_lo
	s_waitcnt vmcnt(0)
	global_store_b128 v[3:4], v[9:12], off
	s_and_b32 exec_lo, exec_lo, s2
	s_cbranch_execz .LBB65_25
; %bb.16:
	v_lshlrev_b64 v[3:4], 2, v[7:8]
	s_ashr_i32 s7, s6, 31
	v_mov_b32_e32 v7, 0
	s_delay_alu instid0(VALU_DEP_2) | instskip(NEXT) | instid1(VALU_DEP_1)
	v_or_b32_e32 v8, s7, v4
	v_cmp_ne_u64_e32 vcc_lo, 0, v[7:8]
                                        ; implicit-def: $vgpr7_vgpr8
	s_and_saveexec_b32 s2, vcc_lo
	s_delay_alu instid0(SALU_CYCLE_1)
	s_xor_b32 s3, exec_lo, s2
	s_cbranch_execz .LBB65_18
; %bb.17:
	s_add_u32 s8, s6, s7
	s_mov_b32 s4, s7
	s_mov_b32 s5, s7
	s_addc_u32 s9, s7, s7
	s_delay_alu instid0(SALU_CYCLE_1) | instskip(NEXT) | instid1(SALU_CYCLE_1)
	s_xor_b64 s[8:9], s[8:9], s[4:5]
	v_cvt_f32_u32_e32 v0, s8
	v_cvt_f32_u32_e32 v7, s9
	s_sub_u32 s2, 0, s8
	s_subb_u32 s14, 0, s9
	s_delay_alu instid0(VALU_DEP_1) | instskip(NEXT) | instid1(VALU_DEP_1)
	v_fmamk_f32 v0, v7, 0x4f800000, v0
	v_rcp_f32_e32 v0, v0
	s_waitcnt_depctr 0xfff
	v_mul_f32_e32 v0, 0x5f7ffffc, v0
	s_delay_alu instid0(VALU_DEP_1) | instskip(NEXT) | instid1(VALU_DEP_1)
	v_mul_f32_e32 v7, 0x2f800000, v0
	v_trunc_f32_e32 v7, v7
	s_delay_alu instid0(VALU_DEP_1) | instskip(SKIP_1) | instid1(VALU_DEP_2)
	v_fmamk_f32 v0, v7, 0xcf800000, v0
	v_cvt_u32_f32_e32 v7, v7
	v_cvt_u32_f32_e32 v0, v0
	s_delay_alu instid0(VALU_DEP_2) | instskip(NEXT) | instid1(VALU_DEP_2)
	v_mul_lo_u32 v8, s2, v7
	v_mul_hi_u32 v9, s2, v0
	v_mul_lo_u32 v10, s14, v0
	s_delay_alu instid0(VALU_DEP_2) | instskip(SKIP_1) | instid1(VALU_DEP_2)
	v_add_nc_u32_e32 v8, v9, v8
	v_mul_lo_u32 v9, s2, v0
	v_add_nc_u32_e32 v8, v8, v10
	s_delay_alu instid0(VALU_DEP_2) | instskip(NEXT) | instid1(VALU_DEP_2)
	v_mul_hi_u32 v10, v0, v9
	v_mul_lo_u32 v11, v0, v8
	v_mul_hi_u32 v12, v0, v8
	v_mul_hi_u32 v13, v7, v9
	v_mul_lo_u32 v9, v7, v9
	v_mul_hi_u32 v14, v7, v8
	v_mul_lo_u32 v8, v7, v8
	v_add_co_u32 v10, vcc_lo, v10, v11
	v_add_co_ci_u32_e32 v11, vcc_lo, 0, v12, vcc_lo
	s_delay_alu instid0(VALU_DEP_2) | instskip(NEXT) | instid1(VALU_DEP_2)
	v_add_co_u32 v9, vcc_lo, v10, v9
	v_add_co_ci_u32_e32 v9, vcc_lo, v11, v13, vcc_lo
	v_add_co_ci_u32_e32 v10, vcc_lo, 0, v14, vcc_lo
	v_ashrrev_i32_e32 v13, 31, v4
	s_delay_alu instid0(VALU_DEP_3) | instskip(NEXT) | instid1(VALU_DEP_3)
	v_add_co_u32 v8, vcc_lo, v9, v8
	v_add_co_ci_u32_e32 v9, vcc_lo, 0, v10, vcc_lo
	s_delay_alu instid0(VALU_DEP_2) | instskip(NEXT) | instid1(VALU_DEP_2)
	v_add_co_u32 v0, vcc_lo, v0, v8
	v_add_co_ci_u32_e32 v7, vcc_lo, v7, v9, vcc_lo
	s_delay_alu instid0(VALU_DEP_2) | instskip(SKIP_1) | instid1(VALU_DEP_3)
	v_mul_hi_u32 v8, s2, v0
	v_mul_lo_u32 v10, s14, v0
	v_mul_lo_u32 v9, s2, v7
	s_delay_alu instid0(VALU_DEP_1) | instskip(SKIP_1) | instid1(VALU_DEP_2)
	v_add_nc_u32_e32 v8, v8, v9
	v_mul_lo_u32 v9, s2, v0
	v_add_nc_u32_e32 v8, v8, v10
	s_delay_alu instid0(VALU_DEP_2) | instskip(NEXT) | instid1(VALU_DEP_2)
	v_mul_hi_u32 v10, v0, v9
	v_mul_lo_u32 v11, v0, v8
	v_mul_hi_u32 v12, v0, v8
	v_mul_hi_u32 v14, v7, v9
	v_mul_lo_u32 v9, v7, v9
	v_mul_hi_u32 v15, v7, v8
	v_mul_lo_u32 v8, v7, v8
	v_add_co_u32 v10, vcc_lo, v10, v11
	v_add_co_ci_u32_e32 v11, vcc_lo, 0, v12, vcc_lo
	s_delay_alu instid0(VALU_DEP_2) | instskip(NEXT) | instid1(VALU_DEP_2)
	v_add_co_u32 v9, vcc_lo, v10, v9
	v_add_co_ci_u32_e32 v9, vcc_lo, v11, v14, vcc_lo
	v_add_co_ci_u32_e32 v10, vcc_lo, 0, v15, vcc_lo
	v_add_co_u32 v3, vcc_lo, v3, v13
	v_add_co_ci_u32_e32 v4, vcc_lo, v4, v13, vcc_lo
	s_delay_alu instid0(VALU_DEP_4) | instskip(NEXT) | instid1(VALU_DEP_4)
	v_add_co_u32 v8, vcc_lo, v9, v8
	v_add_co_ci_u32_e32 v9, vcc_lo, 0, v10, vcc_lo
	s_delay_alu instid0(VALU_DEP_4) | instskip(NEXT) | instid1(VALU_DEP_3)
	v_xor_b32_e32 v11, v3, v13
	v_add_co_u32 v0, vcc_lo, v0, v8
	s_delay_alu instid0(VALU_DEP_3) | instskip(SKIP_1) | instid1(VALU_DEP_3)
	v_add_co_ci_u32_e32 v12, vcc_lo, v7, v9, vcc_lo
	v_xor_b32_e32 v14, v4, v13
	v_mul_hi_u32 v15, v11, v0
	s_delay_alu instid0(VALU_DEP_3) | instskip(NEXT) | instid1(VALU_DEP_3)
	v_mad_u64_u32 v[3:4], null, v11, v12, 0
	v_mad_u64_u32 v[7:8], null, v14, v0, 0
	;; [unrolled: 1-line block ×3, first 2 shown]
	s_delay_alu instid0(VALU_DEP_3) | instskip(NEXT) | instid1(VALU_DEP_4)
	v_add_co_u32 v0, vcc_lo, v15, v3
	v_add_co_ci_u32_e32 v3, vcc_lo, 0, v4, vcc_lo
	s_delay_alu instid0(VALU_DEP_2) | instskip(NEXT) | instid1(VALU_DEP_2)
	v_add_co_u32 v0, vcc_lo, v0, v7
	v_add_co_ci_u32_e32 v0, vcc_lo, v3, v8, vcc_lo
	v_add_co_ci_u32_e32 v3, vcc_lo, 0, v10, vcc_lo
	s_delay_alu instid0(VALU_DEP_2) | instskip(NEXT) | instid1(VALU_DEP_2)
	v_add_co_u32 v0, vcc_lo, v0, v9
	v_add_co_ci_u32_e32 v7, vcc_lo, 0, v3, vcc_lo
	s_delay_alu instid0(VALU_DEP_2) | instskip(SKIP_1) | instid1(VALU_DEP_3)
	v_mul_lo_u32 v8, s9, v0
	v_mad_u64_u32 v[3:4], null, s8, v0, 0
	v_mul_lo_u32 v9, s8, v7
	s_delay_alu instid0(VALU_DEP_2) | instskip(NEXT) | instid1(VALU_DEP_2)
	v_sub_co_u32 v3, vcc_lo, v11, v3
	v_add3_u32 v4, v4, v9, v8
	s_delay_alu instid0(VALU_DEP_1) | instskip(NEXT) | instid1(VALU_DEP_1)
	v_sub_nc_u32_e32 v8, v14, v4
	v_subrev_co_ci_u32_e64 v8, s2, s9, v8, vcc_lo
	v_add_co_u32 v9, s2, v0, 2
	s_delay_alu instid0(VALU_DEP_1) | instskip(SKIP_3) | instid1(VALU_DEP_3)
	v_add_co_ci_u32_e64 v10, s2, 0, v7, s2
	v_sub_co_u32 v11, s2, v3, s8
	v_sub_co_ci_u32_e32 v4, vcc_lo, v14, v4, vcc_lo
	v_subrev_co_ci_u32_e64 v8, s2, 0, v8, s2
	v_cmp_le_u32_e32 vcc_lo, s8, v11
	s_delay_alu instid0(VALU_DEP_3) | instskip(SKIP_1) | instid1(VALU_DEP_4)
	v_cmp_eq_u32_e64 s2, s9, v4
	v_cndmask_b32_e64 v11, 0, -1, vcc_lo
	v_cmp_le_u32_e32 vcc_lo, s9, v8
	v_cndmask_b32_e64 v12, 0, -1, vcc_lo
	v_cmp_le_u32_e32 vcc_lo, s8, v3
	;; [unrolled: 2-line block ×3, first 2 shown]
	v_cndmask_b32_e64 v14, 0, -1, vcc_lo
	v_cmp_eq_u32_e32 vcc_lo, s9, v8
	s_delay_alu instid0(VALU_DEP_2) | instskip(SKIP_3) | instid1(VALU_DEP_3)
	v_cndmask_b32_e64 v3, v14, v3, s2
	v_cndmask_b32_e32 v8, v12, v11, vcc_lo
	v_add_co_u32 v11, vcc_lo, v0, 1
	v_add_co_ci_u32_e32 v12, vcc_lo, 0, v7, vcc_lo
	v_cmp_ne_u32_e32 vcc_lo, 0, v8
	s_delay_alu instid0(VALU_DEP_2) | instskip(NEXT) | instid1(VALU_DEP_4)
	v_cndmask_b32_e32 v4, v12, v10, vcc_lo
	v_cndmask_b32_e32 v8, v11, v9, vcc_lo
	v_cmp_ne_u32_e32 vcc_lo, 0, v3
	v_xor_b32_e32 v3, s4, v13
	s_delay_alu instid0(VALU_DEP_3) | instskip(SKIP_2) | instid1(VALU_DEP_3)
	v_cndmask_b32_e32 v0, v0, v8, vcc_lo
	v_cndmask_b32_e32 v4, v7, v4, vcc_lo
	v_xor_b32_e32 v8, s5, v13
	v_xor_b32_e32 v0, v0, v3
	s_delay_alu instid0(VALU_DEP_2) | instskip(NEXT) | instid1(VALU_DEP_2)
	v_xor_b32_e32 v4, v4, v8
	v_sub_co_u32 v7, vcc_lo, v0, v3
	s_delay_alu instid0(VALU_DEP_2)
	v_sub_co_ci_u32_e32 v8, vcc_lo, v4, v8, vcc_lo
                                        ; implicit-def: $vgpr3_vgpr4
.LBB65_18:
	s_or_saveexec_b32 s2, s3
	v_cvt_f32_u32_e32 v9, s6
	s_xor_b32 exec_lo, exec_lo, s2
	s_cbranch_execz .LBB65_20
; %bb.19:
	s_delay_alu instid0(VALU_DEP_1) | instskip(SKIP_4) | instid1(VALU_DEP_1)
	v_rcp_iflag_f32_e32 v0, v9
	s_sub_i32 s3, 0, s6
	v_mov_b32_e32 v8, 0
	s_waitcnt_depctr 0xfff
	v_mul_f32_e32 v0, 0x4f7ffffe, v0
	v_cvt_u32_f32_e32 v0, v0
	s_delay_alu instid0(VALU_DEP_1) | instskip(NEXT) | instid1(VALU_DEP_1)
	v_mul_lo_u32 v4, s3, v0
	v_mul_hi_u32 v4, v0, v4
	s_delay_alu instid0(VALU_DEP_1) | instskip(NEXT) | instid1(VALU_DEP_1)
	v_add_nc_u32_e32 v0, v0, v4
	v_mul_hi_u32 v0, v3, v0
	s_delay_alu instid0(VALU_DEP_1) | instskip(NEXT) | instid1(VALU_DEP_1)
	v_mul_lo_u32 v4, v0, s6
	v_sub_nc_u32_e32 v3, v3, v4
	v_add_nc_u32_e32 v4, 1, v0
	s_delay_alu instid0(VALU_DEP_2) | instskip(SKIP_1) | instid1(VALU_DEP_2)
	v_subrev_nc_u32_e32 v7, s6, v3
	v_cmp_le_u32_e32 vcc_lo, s6, v3
	v_dual_cndmask_b32 v3, v3, v7 :: v_dual_cndmask_b32 v0, v0, v4
	s_delay_alu instid0(VALU_DEP_1) | instskip(NEXT) | instid1(VALU_DEP_2)
	v_cmp_le_u32_e32 vcc_lo, s6, v3
	v_add_nc_u32_e32 v4, 1, v0
	s_delay_alu instid0(VALU_DEP_1)
	v_cndmask_b32_e32 v7, v0, v4, vcc_lo
.LBB65_20:
	s_or_b32 exec_lo, exec_lo, s2
	v_mad_u64_u32 v[3:4], null, s16, s10, v[5:6]
	s_mul_i32 s2, s17, s10
	s_mul_i32 s3, s16, s11
	s_delay_alu instid0(VALU_DEP_1) | instid1(SALU_CYCLE_1)
	v_add3_u32 v0, s3, s2, v4
	s_delay_alu instid0(VALU_DEP_2) | instskip(SKIP_1) | instid1(VALU_DEP_2)
	v_add_co_u32 v3, vcc_lo, v3, v7
	s_load_b64 s[2:3], s[0:1], 0x10
	v_add_co_ci_u32_e32 v0, vcc_lo, v0, v8, vcc_lo
	s_delay_alu instid0(VALU_DEP_1) | instskip(NEXT) | instid1(VALU_DEP_1)
	v_ashrrev_i32_e32 v4, 31, v0
	v_lshrrev_b32_e32 v4, 30, v4
	s_delay_alu instid0(VALU_DEP_1) | instskip(SKIP_1) | instid1(VALU_DEP_2)
	v_add_co_u32 v3, vcc_lo, v3, v4
	v_add_co_ci_u32_e32 v0, vcc_lo, 0, v0, vcc_lo
	v_and_b32_e32 v3, -4, v3
	s_delay_alu instid0(VALU_DEP_1) | instskip(NEXT) | instid1(VALU_DEP_3)
	v_add_co_u32 v3, vcc_lo, s12, v3
	v_add_co_ci_u32_e32 v4, vcc_lo, s13, v0, vcc_lo
	global_load_b32 v0, v[3:4], off
	v_mov_b32_e32 v3, 0
	v_or_b32_e32 v4, s7, v2
	s_delay_alu instid0(VALU_DEP_1) | instskip(SKIP_1) | instid1(SALU_CYCLE_1)
	v_cmp_ne_u64_e32 vcc_lo, 0, v[3:4]
                                        ; implicit-def: $vgpr3_vgpr4
	s_and_saveexec_b32 s0, vcc_lo
	s_xor_b32 s1, exec_lo, s0
	s_cbranch_execz .LBB65_22
; %bb.21:
	s_add_u32 s8, s6, s7
	s_mov_b32 s4, s7
	s_mov_b32 s5, s7
	s_addc_u32 s9, s7, s7
	s_delay_alu instid0(SALU_CYCLE_1) | instskip(NEXT) | instid1(SALU_CYCLE_1)
	s_xor_b64 s[8:9], s[8:9], s[4:5]
	v_cvt_f32_u32_e32 v3, s8
	v_cvt_f32_u32_e32 v4, s9
	s_sub_u32 s0, 0, s8
	s_subb_u32 s7, 0, s9
	s_delay_alu instid0(VALU_DEP_1) | instskip(NEXT) | instid1(VALU_DEP_1)
	v_fmamk_f32 v3, v4, 0x4f800000, v3
	v_rcp_f32_e32 v3, v3
	s_waitcnt_depctr 0xfff
	v_mul_f32_e32 v3, 0x5f7ffffc, v3
	s_delay_alu instid0(VALU_DEP_1) | instskip(NEXT) | instid1(VALU_DEP_1)
	v_mul_f32_e32 v4, 0x2f800000, v3
	v_trunc_f32_e32 v4, v4
	s_delay_alu instid0(VALU_DEP_1) | instskip(SKIP_1) | instid1(VALU_DEP_2)
	v_fmamk_f32 v3, v4, 0xcf800000, v3
	v_cvt_u32_f32_e32 v4, v4
	v_cvt_u32_f32_e32 v3, v3
	s_delay_alu instid0(VALU_DEP_2) | instskip(NEXT) | instid1(VALU_DEP_2)
	v_mul_lo_u32 v5, s0, v4
	v_mul_hi_u32 v6, s0, v3
	v_mul_lo_u32 v7, s7, v3
	s_delay_alu instid0(VALU_DEP_2) | instskip(SKIP_1) | instid1(VALU_DEP_2)
	v_add_nc_u32_e32 v5, v6, v5
	v_mul_lo_u32 v6, s0, v3
	v_add_nc_u32_e32 v5, v5, v7
	s_delay_alu instid0(VALU_DEP_2) | instskip(NEXT) | instid1(VALU_DEP_2)
	v_mul_hi_u32 v7, v3, v6
	v_mul_lo_u32 v8, v3, v5
	v_mul_hi_u32 v9, v3, v5
	v_mul_hi_u32 v10, v4, v6
	v_mul_lo_u32 v6, v4, v6
	v_mul_hi_u32 v11, v4, v5
	v_mul_lo_u32 v5, v4, v5
	v_add_co_u32 v7, vcc_lo, v7, v8
	v_add_co_ci_u32_e32 v8, vcc_lo, 0, v9, vcc_lo
	s_delay_alu instid0(VALU_DEP_2) | instskip(NEXT) | instid1(VALU_DEP_2)
	v_add_co_u32 v6, vcc_lo, v7, v6
	v_add_co_ci_u32_e32 v6, vcc_lo, v8, v10, vcc_lo
	v_add_co_ci_u32_e32 v7, vcc_lo, 0, v11, vcc_lo
	v_ashrrev_i32_e32 v10, 31, v2
	s_delay_alu instid0(VALU_DEP_3) | instskip(NEXT) | instid1(VALU_DEP_3)
	v_add_co_u32 v5, vcc_lo, v6, v5
	v_add_co_ci_u32_e32 v6, vcc_lo, 0, v7, vcc_lo
	s_delay_alu instid0(VALU_DEP_2) | instskip(NEXT) | instid1(VALU_DEP_2)
	v_add_co_u32 v3, vcc_lo, v3, v5
	v_add_co_ci_u32_e32 v4, vcc_lo, v4, v6, vcc_lo
	s_delay_alu instid0(VALU_DEP_2) | instskip(SKIP_1) | instid1(VALU_DEP_3)
	v_mul_hi_u32 v5, s0, v3
	v_mul_lo_u32 v7, s7, v3
	v_mul_lo_u32 v6, s0, v4
	s_delay_alu instid0(VALU_DEP_1) | instskip(SKIP_1) | instid1(VALU_DEP_2)
	v_add_nc_u32_e32 v5, v5, v6
	v_mul_lo_u32 v6, s0, v3
	v_add_nc_u32_e32 v5, v5, v7
	s_delay_alu instid0(VALU_DEP_2) | instskip(NEXT) | instid1(VALU_DEP_2)
	v_mul_hi_u32 v7, v3, v6
	v_mul_lo_u32 v8, v3, v5
	v_mul_hi_u32 v9, v3, v5
	v_mul_hi_u32 v11, v4, v6
	v_mul_lo_u32 v6, v4, v6
	v_mul_hi_u32 v12, v4, v5
	v_mul_lo_u32 v5, v4, v5
	v_add_co_u32 v7, vcc_lo, v7, v8
	v_add_co_ci_u32_e32 v8, vcc_lo, 0, v9, vcc_lo
	s_delay_alu instid0(VALU_DEP_2) | instskip(NEXT) | instid1(VALU_DEP_2)
	v_add_co_u32 v6, vcc_lo, v7, v6
	v_add_co_ci_u32_e32 v6, vcc_lo, v8, v11, vcc_lo
	v_add_co_ci_u32_e32 v7, vcc_lo, 0, v12, vcc_lo
	v_add_co_u32 v1, vcc_lo, v1, v10
	v_add_co_ci_u32_e32 v2, vcc_lo, v2, v10, vcc_lo
	s_delay_alu instid0(VALU_DEP_4) | instskip(NEXT) | instid1(VALU_DEP_4)
	v_add_co_u32 v5, vcc_lo, v6, v5
	v_add_co_ci_u32_e32 v6, vcc_lo, 0, v7, vcc_lo
	s_delay_alu instid0(VALU_DEP_4) | instskip(NEXT) | instid1(VALU_DEP_3)
	v_xor_b32_e32 v7, v1, v10
	v_add_co_u32 v5, vcc_lo, v3, v5
	s_delay_alu instid0(VALU_DEP_3) | instskip(SKIP_1) | instid1(VALU_DEP_3)
	v_add_co_ci_u32_e32 v8, vcc_lo, v4, v6, vcc_lo
	v_xor_b32_e32 v9, v2, v10
	v_mul_hi_u32 v11, v7, v5
	s_delay_alu instid0(VALU_DEP_3) | instskip(NEXT) | instid1(VALU_DEP_3)
	v_mad_u64_u32 v[1:2], null, v7, v8, 0
	v_mad_u64_u32 v[3:4], null, v9, v5, 0
	;; [unrolled: 1-line block ×3, first 2 shown]
	s_delay_alu instid0(VALU_DEP_3) | instskip(NEXT) | instid1(VALU_DEP_4)
	v_add_co_u32 v1, vcc_lo, v11, v1
	v_add_co_ci_u32_e32 v2, vcc_lo, 0, v2, vcc_lo
	s_delay_alu instid0(VALU_DEP_2) | instskip(NEXT) | instid1(VALU_DEP_2)
	v_add_co_u32 v1, vcc_lo, v1, v3
	v_add_co_ci_u32_e32 v1, vcc_lo, v2, v4, vcc_lo
	v_add_co_ci_u32_e32 v2, vcc_lo, 0, v6, vcc_lo
	s_delay_alu instid0(VALU_DEP_2) | instskip(NEXT) | instid1(VALU_DEP_2)
	v_add_co_u32 v3, vcc_lo, v1, v5
	v_add_co_ci_u32_e32 v4, vcc_lo, 0, v2, vcc_lo
	s_delay_alu instid0(VALU_DEP_2) | instskip(SKIP_1) | instid1(VALU_DEP_3)
	v_mul_lo_u32 v5, s9, v3
	v_mad_u64_u32 v[1:2], null, s8, v3, 0
	v_mul_lo_u32 v6, s8, v4
	s_delay_alu instid0(VALU_DEP_2) | instskip(NEXT) | instid1(VALU_DEP_2)
	v_sub_co_u32 v1, vcc_lo, v7, v1
	v_add3_u32 v2, v2, v6, v5
	s_delay_alu instid0(VALU_DEP_1) | instskip(NEXT) | instid1(VALU_DEP_1)
	v_sub_nc_u32_e32 v5, v9, v2
	v_subrev_co_ci_u32_e64 v5, s0, s9, v5, vcc_lo
	v_add_co_u32 v6, s0, v3, 2
	s_delay_alu instid0(VALU_DEP_1) | instskip(SKIP_3) | instid1(VALU_DEP_3)
	v_add_co_ci_u32_e64 v7, s0, 0, v4, s0
	v_sub_co_u32 v8, s0, v1, s8
	v_sub_co_ci_u32_e32 v2, vcc_lo, v9, v2, vcc_lo
	v_subrev_co_ci_u32_e64 v5, s0, 0, v5, s0
	v_cmp_le_u32_e32 vcc_lo, s8, v8
	s_delay_alu instid0(VALU_DEP_3) | instskip(SKIP_1) | instid1(VALU_DEP_4)
	v_cmp_eq_u32_e64 s0, s9, v2
	v_cndmask_b32_e64 v8, 0, -1, vcc_lo
	v_cmp_le_u32_e32 vcc_lo, s9, v5
	v_cndmask_b32_e64 v9, 0, -1, vcc_lo
	v_cmp_le_u32_e32 vcc_lo, s8, v1
	;; [unrolled: 2-line block ×3, first 2 shown]
	v_cndmask_b32_e64 v11, 0, -1, vcc_lo
	v_cmp_eq_u32_e32 vcc_lo, s9, v5
	s_delay_alu instid0(VALU_DEP_2) | instskip(SKIP_3) | instid1(VALU_DEP_3)
	v_cndmask_b32_e64 v1, v11, v1, s0
	v_cndmask_b32_e32 v5, v9, v8, vcc_lo
	v_add_co_u32 v8, vcc_lo, v3, 1
	v_add_co_ci_u32_e32 v9, vcc_lo, 0, v4, vcc_lo
	v_cmp_ne_u32_e32 vcc_lo, 0, v5
	s_delay_alu instid0(VALU_DEP_2) | instskip(SKIP_2) | instid1(VALU_DEP_3)
	v_dual_cndmask_b32 v2, v9, v7 :: v_dual_cndmask_b32 v5, v8, v6
	v_cmp_ne_u32_e32 vcc_lo, 0, v1
	v_xor_b32_e32 v1, s4, v10
                                        ; implicit-def: $vgpr9
	v_dual_cndmask_b32 v3, v3, v5 :: v_dual_cndmask_b32 v2, v4, v2
	v_xor_b32_e32 v4, s5, v10
	s_delay_alu instid0(VALU_DEP_2) | instskip(NEXT) | instid1(VALU_DEP_2)
	v_xor_b32_e32 v3, v3, v1
	v_xor_b32_e32 v2, v2, v4
	s_delay_alu instid0(VALU_DEP_2) | instskip(NEXT) | instid1(VALU_DEP_2)
	v_sub_co_u32 v3, vcc_lo, v3, v1
	v_sub_co_ci_u32_e32 v4, vcc_lo, v2, v4, vcc_lo
                                        ; implicit-def: $vgpr1_vgpr2
.LBB65_22:
	s_and_not1_saveexec_b32 s0, s1
	s_cbranch_execz .LBB65_24
; %bb.23:
	v_rcp_iflag_f32_e32 v2, v9
	s_sub_i32 s1, 0, s6
	s_waitcnt_depctr 0xfff
	v_mul_f32_e32 v2, 0x4f7ffffe, v2
	s_delay_alu instid0(VALU_DEP_1) | instskip(NEXT) | instid1(VALU_DEP_1)
	v_cvt_u32_f32_e32 v2, v2
	v_mul_lo_u32 v3, s1, v2
	s_delay_alu instid0(VALU_DEP_1) | instskip(NEXT) | instid1(VALU_DEP_1)
	v_mul_hi_u32 v3, v2, v3
	v_add_nc_u32_e32 v2, v2, v3
	s_delay_alu instid0(VALU_DEP_1) | instskip(NEXT) | instid1(VALU_DEP_1)
	v_mul_hi_u32 v2, v1, v2
	v_mul_lo_u32 v3, v2, s6
	s_delay_alu instid0(VALU_DEP_1) | instskip(SKIP_1) | instid1(VALU_DEP_2)
	v_sub_nc_u32_e32 v1, v1, v3
	v_add_nc_u32_e32 v3, 1, v2
	v_subrev_nc_u32_e32 v4, s6, v1
	v_cmp_le_u32_e32 vcc_lo, s6, v1
	s_delay_alu instid0(VALU_DEP_2) | instskip(NEXT) | instid1(VALU_DEP_4)
	v_dual_cndmask_b32 v1, v1, v4 :: v_dual_mov_b32 v4, 0
	v_cndmask_b32_e32 v2, v2, v3, vcc_lo
	s_delay_alu instid0(VALU_DEP_2) | instskip(NEXT) | instid1(VALU_DEP_2)
	v_cmp_le_u32_e32 vcc_lo, s6, v1
	v_add_nc_u32_e32 v3, 1, v2
	s_delay_alu instid0(VALU_DEP_1)
	v_cndmask_b32_e32 v3, v2, v3, vcc_lo
.LBB65_24:
	s_or_b32 exec_lo, exec_lo, s0
	s_delay_alu instid0(VALU_DEP_1) | instskip(SKIP_1) | instid1(VALU_DEP_1)
	v_lshlrev_b64 v[1:2], 2, v[3:4]
	s_waitcnt lgkmcnt(0)
	v_add_co_u32 v1, vcc_lo, s2, v1
	s_delay_alu instid0(VALU_DEP_2)
	v_add_co_ci_u32_e32 v2, vcc_lo, s3, v2, vcc_lo
	s_waitcnt vmcnt(0)
	global_store_b32 v[1:2], v0, off
.LBB65_25:
	s_nop 0
	s_sendmsg sendmsg(MSG_DEALLOC_VGPRS)
	s_endpgm
	.section	.rodata,"a",@progbits
	.p2align	6, 0x0
	.amdhsa_kernel _ZN4vllm38cp_gather_indexer_k_quant_cache_kernelILi32EEEvPKcPcS3_PKiS5_illllliii
		.amdhsa_group_segment_fixed_size 128
		.amdhsa_private_segment_fixed_size 0
		.amdhsa_kernarg_size 360
		.amdhsa_user_sgpr_count 14
		.amdhsa_user_sgpr_dispatch_ptr 0
		.amdhsa_user_sgpr_queue_ptr 0
		.amdhsa_user_sgpr_kernarg_segment_ptr 1
		.amdhsa_user_sgpr_dispatch_id 0
		.amdhsa_user_sgpr_private_segment_size 0
		.amdhsa_wavefront_size32 1
		.amdhsa_uses_dynamic_stack 0
		.amdhsa_enable_private_segment 0
		.amdhsa_system_sgpr_workgroup_id_x 1
		.amdhsa_system_sgpr_workgroup_id_y 1
		.amdhsa_system_sgpr_workgroup_id_z 0
		.amdhsa_system_sgpr_workgroup_info 0
		.amdhsa_system_vgpr_workitem_id 1
		.amdhsa_next_free_vgpr 19
		.amdhsa_next_free_sgpr 26
		.amdhsa_reserve_vcc 1
		.amdhsa_float_round_mode_32 0
		.amdhsa_float_round_mode_16_64 0
		.amdhsa_float_denorm_mode_32 3
		.amdhsa_float_denorm_mode_16_64 3
		.amdhsa_dx10_clamp 1
		.amdhsa_ieee_mode 1
		.amdhsa_fp16_overflow 0
		.amdhsa_workgroup_processor_mode 1
		.amdhsa_memory_ordered 1
		.amdhsa_forward_progress 0
		.amdhsa_shared_vgpr_count 0
		.amdhsa_exception_fp_ieee_invalid_op 0
		.amdhsa_exception_fp_denorm_src 0
		.amdhsa_exception_fp_ieee_div_zero 0
		.amdhsa_exception_fp_ieee_overflow 0
		.amdhsa_exception_fp_ieee_underflow 0
		.amdhsa_exception_fp_ieee_inexact 0
		.amdhsa_exception_int_div_zero 0
	.end_amdhsa_kernel
	.section	.text._ZN4vllm38cp_gather_indexer_k_quant_cache_kernelILi32EEEvPKcPcS3_PKiS5_illllliii,"axG",@progbits,_ZN4vllm38cp_gather_indexer_k_quant_cache_kernelILi32EEEvPKcPcS3_PKiS5_illllliii,comdat
.Lfunc_end65:
	.size	_ZN4vllm38cp_gather_indexer_k_quant_cache_kernelILi32EEEvPKcPcS3_PKiS5_illllliii, .Lfunc_end65-_ZN4vllm38cp_gather_indexer_k_quant_cache_kernelILi32EEEvPKcPcS3_PKiS5_illllliii
                                        ; -- End function
	.section	.AMDGPU.csdata,"",@progbits
; Kernel info:
; codeLenInByte = 4192
; NumSgprs: 28
; NumVgprs: 19
; ScratchSize: 0
; MemoryBound: 0
; FloatMode: 240
; IeeeMode: 1
; LDSByteSize: 128 bytes/workgroup (compile time only)
; SGPRBlocks: 3
; VGPRBlocks: 2
; NumSGPRsForWavesPerEU: 28
; NumVGPRsForWavesPerEU: 19
; Occupancy: 16
; WaveLimiterHint : 1
; COMPUTE_PGM_RSRC2:SCRATCH_EN: 0
; COMPUTE_PGM_RSRC2:USER_SGPR: 14
; COMPUTE_PGM_RSRC2:TRAP_HANDLER: 0
; COMPUTE_PGM_RSRC2:TGID_X_EN: 1
; COMPUTE_PGM_RSRC2:TGID_Y_EN: 1
; COMPUTE_PGM_RSRC2:TGID_Z_EN: 0
; COMPUTE_PGM_RSRC2:TIDIG_COMP_CNT: 1
	.section	.text._ZN4vllm16ConcatMLAQKernelIN3c104HalfELi512EEEvPT_PKS3_S6_iillllll,"axG",@progbits,_ZN4vllm16ConcatMLAQKernelIN3c104HalfELi512EEEvPT_PKS3_S6_iillllll,comdat
	.protected	_ZN4vllm16ConcatMLAQKernelIN3c104HalfELi512EEEvPT_PKS3_S6_iillllll ; -- Begin function _ZN4vllm16ConcatMLAQKernelIN3c104HalfELi512EEEvPT_PKS3_S6_iillllll
	.globl	_ZN4vllm16ConcatMLAQKernelIN3c104HalfELi512EEEvPT_PKS3_S6_iillllll
	.p2align	8
	.type	_ZN4vllm16ConcatMLAQKernelIN3c104HalfELi512EEEvPT_PKS3_S6_iillllll,@function
_ZN4vllm16ConcatMLAQKernelIN3c104HalfELi512EEEvPT_PKS3_S6_iillllll: ; @_ZN4vllm16ConcatMLAQKernelIN3c104HalfELi512EEEvPT_PKS3_S6_iillllll
; %bb.0:
	s_clause 0x1
	s_load_b32 s4, s[0:1], 0x5c
	s_load_b64 s[2:3], s[0:1], 0x18
	s_waitcnt lgkmcnt(0)
	s_and_b32 s4, s4, 0xffff
	s_mul_i32 s2, s3, s2
	v_mad_u64_u32 v[1:2], null, s15, s4, v[0:1]
	s_delay_alu instid0(VALU_DEP_1) | instskip(NEXT) | instid1(VALU_DEP_1)
	v_lshrrev_b32_e32 v1, 5, v1
	v_cmp_gt_i32_e32 vcc_lo, s2, v1
	s_and_saveexec_b32 s2, vcc_lo
	s_cbranch_execz .LBB66_2
; %bb.1:
	s_abs_i32 s2, s3
	s_load_b128 s[16:19], s[0:1], 0x40
	v_cvt_f32_u32_e32 v2, s2
	s_sub_i32 s4, 0, s2
	v_and_b32_e32 v16, 31, v0
	s_delay_alu instid0(VALU_DEP_2) | instskip(SKIP_2) | instid1(VALU_DEP_1)
	v_rcp_iflag_f32_e32 v2, v2
	s_waitcnt_depctr 0xfff
	v_dual_mul_f32 v2, 0x4f7ffffe, v2 :: v_dual_lshlrev_b32 v17, 4, v16
	v_cvt_u32_f32_e32 v2, v2
	s_delay_alu instid0(VALU_DEP_1) | instskip(SKIP_4) | instid1(VALU_DEP_1)
	v_mul_lo_u32 v3, s4, v2
	s_clause 0x2
	s_load_b256 s[4:11], s[0:1], 0x20
	s_load_b128 s[12:15], s[0:1], 0x0
	s_load_b64 s[0:1], s[0:1], 0x10
	v_mul_hi_u32 v3, v2, v3
	s_delay_alu instid0(VALU_DEP_1) | instskip(NEXT) | instid1(VALU_DEP_1)
	v_add_nc_u32_e32 v2, v2, v3
	v_mul_hi_u32 v2, v1, v2
	s_delay_alu instid0(VALU_DEP_1) | instskip(SKIP_1) | instid1(VALU_DEP_2)
	v_mul_lo_u32 v3, v2, s2
	v_add_nc_u32_e32 v4, 1, v2
	v_sub_nc_u32_e32 v3, v1, v3
	s_delay_alu instid0(VALU_DEP_1) | instskip(SKIP_1) | instid1(VALU_DEP_2)
	v_subrev_nc_u32_e32 v5, s2, v3
	v_cmp_le_u32_e32 vcc_lo, s2, v3
	v_dual_cndmask_b32 v2, v2, v4 :: v_dual_cndmask_b32 v3, v3, v5
	s_delay_alu instid0(VALU_DEP_1) | instskip(NEXT) | instid1(VALU_DEP_2)
	v_add_nc_u32_e32 v4, 1, v2
	v_cmp_le_u32_e32 vcc_lo, s2, v3
	s_ashr_i32 s2, s3, 31
	s_delay_alu instid0(VALU_DEP_2) | instskip(NEXT) | instid1(VALU_DEP_1)
	v_cndmask_b32_e32 v2, v2, v4, vcc_lo
	v_xor_b32_e32 v2, s2, v2
	s_delay_alu instid0(VALU_DEP_1) | instskip(NEXT) | instid1(VALU_DEP_1)
	v_subrev_nc_u32_e32 v12, s2, v2
	v_mul_lo_u32 v2, v12, s3
	v_ashrrev_i32_e32 v13, 31, v12
	s_waitcnt lgkmcnt(0)
	v_mul_lo_u32 v9, v12, s9
	v_mul_lo_u32 v11, v12, s17
	v_mad_u64_u32 v[7:8], null, v12, s16, 0
	v_mul_lo_u32 v10, v13, s8
	v_mul_lo_u32 v15, v13, s16
	v_sub_nc_u32_e32 v14, v1, v2
	v_mad_u64_u32 v[1:2], null, v12, s8, 0
	v_mul_lo_u32 v18, v12, s5
	v_mul_lo_u32 v19, v13, s4
	s_delay_alu instid0(VALU_DEP_4) | instskip(SKIP_3) | instid1(VALU_DEP_4)
	v_mad_u64_u32 v[5:6], null, v14, s18, 0
	v_mad_u64_u32 v[3:4], null, v14, s10, 0
	v_add3_u32 v2, v2, v9, v10
	v_add3_u32 v8, v8, v11, v15
	v_mov_b32_e32 v0, v6
	s_delay_alu instid0(VALU_DEP_3) | instskip(SKIP_1) | instid1(VALU_DEP_4)
	v_lshlrev_b64 v[1:2], 1, v[1:2]
	v_mad_u64_u32 v[9:10], null, v14, s11, v[4:5]
	v_lshlrev_b64 v[7:8], 1, v[7:8]
	s_delay_alu instid0(VALU_DEP_3) | instskip(NEXT) | instid1(VALU_DEP_3)
	v_mad_u64_u32 v[10:11], null, v14, s19, v[0:1]
	v_dual_mov_b32 v4, v9 :: v_dual_lshlrev_b32 v11, 2, v16
	v_add_co_u32 v9, vcc_lo, s14, v1
	v_add_co_ci_u32_e32 v15, vcc_lo, s15, v2, vcc_lo
	s_delay_alu instid0(VALU_DEP_4) | instskip(NEXT) | instid1(VALU_DEP_4)
	v_mov_b32_e32 v6, v10
	v_lshlrev_b64 v[0:1], 1, v[3:4]
	v_add_co_u32 v4, vcc_lo, s0, v7
	v_add_co_ci_u32_e32 v7, vcc_lo, s1, v8, vcc_lo
	s_delay_alu instid0(VALU_DEP_4) | instskip(NEXT) | instid1(VALU_DEP_4)
	v_lshlrev_b64 v[2:3], 1, v[5:6]
	v_add_co_u32 v0, vcc_lo, v9, v0
	v_add_co_ci_u32_e32 v1, vcc_lo, v15, v1, vcc_lo
	s_delay_alu instid0(VALU_DEP_3) | instskip(NEXT) | instid1(VALU_DEP_4)
	v_add_co_u32 v2, vcc_lo, v4, v2
	v_add_co_ci_u32_e32 v3, vcc_lo, v7, v3, vcc_lo
	s_delay_alu instid0(VALU_DEP_4) | instskip(NEXT) | instid1(VALU_DEP_4)
	v_add_co_u32 v4, vcc_lo, v0, v17
	v_add_co_ci_u32_e32 v5, vcc_lo, 0, v1, vcc_lo
	s_delay_alu instid0(VALU_DEP_4) | instskip(NEXT) | instid1(VALU_DEP_4)
	v_add_co_u32 v8, vcc_lo, v2, v11
	v_add_co_ci_u32_e32 v9, vcc_lo, 0, v3, vcc_lo
	s_clause 0x1
	global_load_b128 v[0:3], v[4:5], off
	global_load_b128 v[4:7], v[4:5], off offset:512
	global_load_b32 v15, v[8:9], off
	v_mad_u64_u32 v[8:9], null, v14, s6, 0
	v_mad_u64_u32 v[10:11], null, v12, s4, 0
	s_delay_alu instid0(VALU_DEP_1) | instskip(NEXT) | instid1(VALU_DEP_2)
	v_mad_u64_u32 v[12:13], null, v14, s7, v[9:10]
	v_add3_u32 v11, v11, v18, v19
	s_delay_alu instid0(VALU_DEP_1) | instskip(NEXT) | instid1(VALU_DEP_3)
	v_lshlrev_b64 v[10:11], 1, v[10:11]
	v_mov_b32_e32 v9, v12
	v_mul_hi_i32_i24_e32 v12, -12, v16
	s_delay_alu instid0(VALU_DEP_2) | instskip(NEXT) | instid1(VALU_DEP_4)
	v_lshlrev_b64 v[8:9], 1, v[8:9]
	v_add_co_u32 v10, vcc_lo, s12, v10
	v_add_co_ci_u32_e32 v11, vcc_lo, s13, v11, vcc_lo
	s_delay_alu instid0(VALU_DEP_2) | instskip(NEXT) | instid1(VALU_DEP_2)
	v_add_co_u32 v8, vcc_lo, v10, v8
	v_add_co_ci_u32_e32 v9, vcc_lo, v11, v9, vcc_lo
	v_mul_i32_i24_e32 v10, -12, v16
	s_delay_alu instid0(VALU_DEP_3) | instskip(NEXT) | instid1(VALU_DEP_3)
	v_add_co_u32 v8, vcc_lo, v8, v17
	v_add_co_ci_u32_e32 v9, vcc_lo, 0, v9, vcc_lo
	s_delay_alu instid0(VALU_DEP_2) | instskip(NEXT) | instid1(VALU_DEP_2)
	v_add_co_u32 v10, vcc_lo, v8, v10
	v_add_co_ci_u32_e32 v11, vcc_lo, v9, v12, vcc_lo
	s_waitcnt vmcnt(2)
	global_store_b128 v[8:9], v[0:3], off
	s_waitcnt vmcnt(1)
	global_store_b128 v[8:9], v[4:7], off offset:512
	s_waitcnt vmcnt(0)
	global_store_b32 v[10:11], v15, off offset:1024
.LBB66_2:
	s_nop 0
	s_sendmsg sendmsg(MSG_DEALLOC_VGPRS)
	s_endpgm
	.section	.rodata,"a",@progbits
	.p2align	6, 0x0
	.amdhsa_kernel _ZN4vllm16ConcatMLAQKernelIN3c104HalfELi512EEEvPT_PKS3_S6_iillllll
		.amdhsa_group_segment_fixed_size 0
		.amdhsa_private_segment_fixed_size 0
		.amdhsa_kernarg_size 336
		.amdhsa_user_sgpr_count 15
		.amdhsa_user_sgpr_dispatch_ptr 0
		.amdhsa_user_sgpr_queue_ptr 0
		.amdhsa_user_sgpr_kernarg_segment_ptr 1
		.amdhsa_user_sgpr_dispatch_id 0
		.amdhsa_user_sgpr_private_segment_size 0
		.amdhsa_wavefront_size32 1
		.amdhsa_uses_dynamic_stack 0
		.amdhsa_enable_private_segment 0
		.amdhsa_system_sgpr_workgroup_id_x 1
		.amdhsa_system_sgpr_workgroup_id_y 0
		.amdhsa_system_sgpr_workgroup_id_z 0
		.amdhsa_system_sgpr_workgroup_info 0
		.amdhsa_system_vgpr_workitem_id 0
		.amdhsa_next_free_vgpr 20
		.amdhsa_next_free_sgpr 20
		.amdhsa_reserve_vcc 1
		.amdhsa_float_round_mode_32 0
		.amdhsa_float_round_mode_16_64 0
		.amdhsa_float_denorm_mode_32 3
		.amdhsa_float_denorm_mode_16_64 3
		.amdhsa_dx10_clamp 1
		.amdhsa_ieee_mode 1
		.amdhsa_fp16_overflow 0
		.amdhsa_workgroup_processor_mode 1
		.amdhsa_memory_ordered 1
		.amdhsa_forward_progress 0
		.amdhsa_shared_vgpr_count 0
		.amdhsa_exception_fp_ieee_invalid_op 0
		.amdhsa_exception_fp_denorm_src 0
		.amdhsa_exception_fp_ieee_div_zero 0
		.amdhsa_exception_fp_ieee_overflow 0
		.amdhsa_exception_fp_ieee_underflow 0
		.amdhsa_exception_fp_ieee_inexact 0
		.amdhsa_exception_int_div_zero 0
	.end_amdhsa_kernel
	.section	.text._ZN4vllm16ConcatMLAQKernelIN3c104HalfELi512EEEvPT_PKS3_S6_iillllll,"axG",@progbits,_ZN4vllm16ConcatMLAQKernelIN3c104HalfELi512EEEvPT_PKS3_S6_iillllll,comdat
.Lfunc_end66:
	.size	_ZN4vllm16ConcatMLAQKernelIN3c104HalfELi512EEEvPT_PKS3_S6_iillllll, .Lfunc_end66-_ZN4vllm16ConcatMLAQKernelIN3c104HalfELi512EEEvPT_PKS3_S6_iillllll
                                        ; -- End function
	.section	.AMDGPU.csdata,"",@progbits
; Kernel info:
; codeLenInByte = 748
; NumSgprs: 22
; NumVgprs: 20
; ScratchSize: 0
; MemoryBound: 0
; FloatMode: 240
; IeeeMode: 1
; LDSByteSize: 0 bytes/workgroup (compile time only)
; SGPRBlocks: 2
; VGPRBlocks: 2
; NumSGPRsForWavesPerEU: 22
; NumVGPRsForWavesPerEU: 20
; Occupancy: 16
; WaveLimiterHint : 0
; COMPUTE_PGM_RSRC2:SCRATCH_EN: 0
; COMPUTE_PGM_RSRC2:USER_SGPR: 15
; COMPUTE_PGM_RSRC2:TRAP_HANDLER: 0
; COMPUTE_PGM_RSRC2:TGID_X_EN: 1
; COMPUTE_PGM_RSRC2:TGID_Y_EN: 0
; COMPUTE_PGM_RSRC2:TGID_Z_EN: 0
; COMPUTE_PGM_RSRC2:TIDIG_COMP_CNT: 0
	.section	.text._ZN4vllm16ConcatMLAQKernelIN3c108BFloat16ELi512EEEvPT_PKS3_S6_iillllll,"axG",@progbits,_ZN4vllm16ConcatMLAQKernelIN3c108BFloat16ELi512EEEvPT_PKS3_S6_iillllll,comdat
	.protected	_ZN4vllm16ConcatMLAQKernelIN3c108BFloat16ELi512EEEvPT_PKS3_S6_iillllll ; -- Begin function _ZN4vllm16ConcatMLAQKernelIN3c108BFloat16ELi512EEEvPT_PKS3_S6_iillllll
	.globl	_ZN4vllm16ConcatMLAQKernelIN3c108BFloat16ELi512EEEvPT_PKS3_S6_iillllll
	.p2align	8
	.type	_ZN4vllm16ConcatMLAQKernelIN3c108BFloat16ELi512EEEvPT_PKS3_S6_iillllll,@function
_ZN4vllm16ConcatMLAQKernelIN3c108BFloat16ELi512EEEvPT_PKS3_S6_iillllll: ; @_ZN4vllm16ConcatMLAQKernelIN3c108BFloat16ELi512EEEvPT_PKS3_S6_iillllll
; %bb.0:
	s_clause 0x1
	s_load_b32 s4, s[0:1], 0x5c
	s_load_b64 s[2:3], s[0:1], 0x18
	s_waitcnt lgkmcnt(0)
	s_and_b32 s4, s4, 0xffff
	s_mul_i32 s2, s3, s2
	v_mad_u64_u32 v[1:2], null, s15, s4, v[0:1]
	s_delay_alu instid0(VALU_DEP_1) | instskip(NEXT) | instid1(VALU_DEP_1)
	v_lshrrev_b32_e32 v1, 5, v1
	v_cmp_gt_i32_e32 vcc_lo, s2, v1
	s_and_saveexec_b32 s2, vcc_lo
	s_cbranch_execz .LBB67_2
; %bb.1:
	s_abs_i32 s2, s3
	s_load_b128 s[16:19], s[0:1], 0x40
	v_cvt_f32_u32_e32 v2, s2
	s_sub_i32 s4, 0, s2
	v_and_b32_e32 v16, 31, v0
	s_delay_alu instid0(VALU_DEP_2) | instskip(SKIP_2) | instid1(VALU_DEP_1)
	v_rcp_iflag_f32_e32 v2, v2
	s_waitcnt_depctr 0xfff
	v_dual_mul_f32 v2, 0x4f7ffffe, v2 :: v_dual_lshlrev_b32 v17, 4, v16
	v_cvt_u32_f32_e32 v2, v2
	s_delay_alu instid0(VALU_DEP_1) | instskip(SKIP_4) | instid1(VALU_DEP_1)
	v_mul_lo_u32 v3, s4, v2
	s_clause 0x2
	s_load_b256 s[4:11], s[0:1], 0x20
	s_load_b128 s[12:15], s[0:1], 0x0
	s_load_b64 s[0:1], s[0:1], 0x10
	v_mul_hi_u32 v3, v2, v3
	s_delay_alu instid0(VALU_DEP_1) | instskip(NEXT) | instid1(VALU_DEP_1)
	v_add_nc_u32_e32 v2, v2, v3
	v_mul_hi_u32 v2, v1, v2
	s_delay_alu instid0(VALU_DEP_1) | instskip(SKIP_1) | instid1(VALU_DEP_2)
	v_mul_lo_u32 v3, v2, s2
	v_add_nc_u32_e32 v4, 1, v2
	v_sub_nc_u32_e32 v3, v1, v3
	s_delay_alu instid0(VALU_DEP_1) | instskip(SKIP_1) | instid1(VALU_DEP_2)
	v_subrev_nc_u32_e32 v5, s2, v3
	v_cmp_le_u32_e32 vcc_lo, s2, v3
	v_dual_cndmask_b32 v2, v2, v4 :: v_dual_cndmask_b32 v3, v3, v5
	s_delay_alu instid0(VALU_DEP_1) | instskip(NEXT) | instid1(VALU_DEP_2)
	v_add_nc_u32_e32 v4, 1, v2
	v_cmp_le_u32_e32 vcc_lo, s2, v3
	s_ashr_i32 s2, s3, 31
	s_delay_alu instid0(VALU_DEP_2) | instskip(NEXT) | instid1(VALU_DEP_1)
	v_cndmask_b32_e32 v2, v2, v4, vcc_lo
	v_xor_b32_e32 v2, s2, v2
	s_delay_alu instid0(VALU_DEP_1) | instskip(NEXT) | instid1(VALU_DEP_1)
	v_subrev_nc_u32_e32 v12, s2, v2
	v_mul_lo_u32 v2, v12, s3
	v_ashrrev_i32_e32 v13, 31, v12
	s_waitcnt lgkmcnt(0)
	v_mul_lo_u32 v9, v12, s9
	v_mul_lo_u32 v11, v12, s17
	v_mad_u64_u32 v[7:8], null, v12, s16, 0
	v_mul_lo_u32 v10, v13, s8
	v_mul_lo_u32 v15, v13, s16
	v_sub_nc_u32_e32 v14, v1, v2
	v_mad_u64_u32 v[1:2], null, v12, s8, 0
	v_mul_lo_u32 v18, v12, s5
	v_mul_lo_u32 v19, v13, s4
	s_delay_alu instid0(VALU_DEP_4) | instskip(SKIP_3) | instid1(VALU_DEP_4)
	v_mad_u64_u32 v[5:6], null, v14, s18, 0
	v_mad_u64_u32 v[3:4], null, v14, s10, 0
	v_add3_u32 v2, v2, v9, v10
	v_add3_u32 v8, v8, v11, v15
	v_mov_b32_e32 v0, v6
	s_delay_alu instid0(VALU_DEP_3) | instskip(SKIP_1) | instid1(VALU_DEP_4)
	v_lshlrev_b64 v[1:2], 1, v[1:2]
	v_mad_u64_u32 v[9:10], null, v14, s11, v[4:5]
	v_lshlrev_b64 v[7:8], 1, v[7:8]
	s_delay_alu instid0(VALU_DEP_3) | instskip(NEXT) | instid1(VALU_DEP_3)
	v_mad_u64_u32 v[10:11], null, v14, s19, v[0:1]
	v_dual_mov_b32 v4, v9 :: v_dual_lshlrev_b32 v11, 2, v16
	v_add_co_u32 v9, vcc_lo, s14, v1
	v_add_co_ci_u32_e32 v15, vcc_lo, s15, v2, vcc_lo
	s_delay_alu instid0(VALU_DEP_4) | instskip(NEXT) | instid1(VALU_DEP_4)
	v_mov_b32_e32 v6, v10
	v_lshlrev_b64 v[0:1], 1, v[3:4]
	v_add_co_u32 v4, vcc_lo, s0, v7
	v_add_co_ci_u32_e32 v7, vcc_lo, s1, v8, vcc_lo
	s_delay_alu instid0(VALU_DEP_4) | instskip(NEXT) | instid1(VALU_DEP_4)
	v_lshlrev_b64 v[2:3], 1, v[5:6]
	v_add_co_u32 v0, vcc_lo, v9, v0
	v_add_co_ci_u32_e32 v1, vcc_lo, v15, v1, vcc_lo
	s_delay_alu instid0(VALU_DEP_3) | instskip(NEXT) | instid1(VALU_DEP_4)
	v_add_co_u32 v2, vcc_lo, v4, v2
	v_add_co_ci_u32_e32 v3, vcc_lo, v7, v3, vcc_lo
	s_delay_alu instid0(VALU_DEP_4) | instskip(NEXT) | instid1(VALU_DEP_4)
	v_add_co_u32 v4, vcc_lo, v0, v17
	v_add_co_ci_u32_e32 v5, vcc_lo, 0, v1, vcc_lo
	s_delay_alu instid0(VALU_DEP_4) | instskip(NEXT) | instid1(VALU_DEP_4)
	v_add_co_u32 v8, vcc_lo, v2, v11
	v_add_co_ci_u32_e32 v9, vcc_lo, 0, v3, vcc_lo
	s_clause 0x1
	global_load_b128 v[0:3], v[4:5], off
	global_load_b128 v[4:7], v[4:5], off offset:512
	global_load_b32 v15, v[8:9], off
	v_mad_u64_u32 v[8:9], null, v14, s6, 0
	v_mad_u64_u32 v[10:11], null, v12, s4, 0
	s_delay_alu instid0(VALU_DEP_1) | instskip(NEXT) | instid1(VALU_DEP_2)
	v_mad_u64_u32 v[12:13], null, v14, s7, v[9:10]
	v_add3_u32 v11, v11, v18, v19
	s_delay_alu instid0(VALU_DEP_1) | instskip(NEXT) | instid1(VALU_DEP_3)
	v_lshlrev_b64 v[10:11], 1, v[10:11]
	v_mov_b32_e32 v9, v12
	v_mul_hi_i32_i24_e32 v12, -12, v16
	s_delay_alu instid0(VALU_DEP_2) | instskip(NEXT) | instid1(VALU_DEP_4)
	v_lshlrev_b64 v[8:9], 1, v[8:9]
	v_add_co_u32 v10, vcc_lo, s12, v10
	v_add_co_ci_u32_e32 v11, vcc_lo, s13, v11, vcc_lo
	s_delay_alu instid0(VALU_DEP_2) | instskip(NEXT) | instid1(VALU_DEP_2)
	v_add_co_u32 v8, vcc_lo, v10, v8
	v_add_co_ci_u32_e32 v9, vcc_lo, v11, v9, vcc_lo
	v_mul_i32_i24_e32 v10, -12, v16
	s_delay_alu instid0(VALU_DEP_3) | instskip(NEXT) | instid1(VALU_DEP_3)
	v_add_co_u32 v8, vcc_lo, v8, v17
	v_add_co_ci_u32_e32 v9, vcc_lo, 0, v9, vcc_lo
	s_delay_alu instid0(VALU_DEP_2) | instskip(NEXT) | instid1(VALU_DEP_2)
	v_add_co_u32 v10, vcc_lo, v8, v10
	v_add_co_ci_u32_e32 v11, vcc_lo, v9, v12, vcc_lo
	s_waitcnt vmcnt(2)
	global_store_b128 v[8:9], v[0:3], off
	s_waitcnt vmcnt(1)
	global_store_b128 v[8:9], v[4:7], off offset:512
	s_waitcnt vmcnt(0)
	global_store_b32 v[10:11], v15, off offset:1024
.LBB67_2:
	s_nop 0
	s_sendmsg sendmsg(MSG_DEALLOC_VGPRS)
	s_endpgm
	.section	.rodata,"a",@progbits
	.p2align	6, 0x0
	.amdhsa_kernel _ZN4vllm16ConcatMLAQKernelIN3c108BFloat16ELi512EEEvPT_PKS3_S6_iillllll
		.amdhsa_group_segment_fixed_size 0
		.amdhsa_private_segment_fixed_size 0
		.amdhsa_kernarg_size 336
		.amdhsa_user_sgpr_count 15
		.amdhsa_user_sgpr_dispatch_ptr 0
		.amdhsa_user_sgpr_queue_ptr 0
		.amdhsa_user_sgpr_kernarg_segment_ptr 1
		.amdhsa_user_sgpr_dispatch_id 0
		.amdhsa_user_sgpr_private_segment_size 0
		.amdhsa_wavefront_size32 1
		.amdhsa_uses_dynamic_stack 0
		.amdhsa_enable_private_segment 0
		.amdhsa_system_sgpr_workgroup_id_x 1
		.amdhsa_system_sgpr_workgroup_id_y 0
		.amdhsa_system_sgpr_workgroup_id_z 0
		.amdhsa_system_sgpr_workgroup_info 0
		.amdhsa_system_vgpr_workitem_id 0
		.amdhsa_next_free_vgpr 20
		.amdhsa_next_free_sgpr 20
		.amdhsa_reserve_vcc 1
		.amdhsa_float_round_mode_32 0
		.amdhsa_float_round_mode_16_64 0
		.amdhsa_float_denorm_mode_32 3
		.amdhsa_float_denorm_mode_16_64 3
		.amdhsa_dx10_clamp 1
		.amdhsa_ieee_mode 1
		.amdhsa_fp16_overflow 0
		.amdhsa_workgroup_processor_mode 1
		.amdhsa_memory_ordered 1
		.amdhsa_forward_progress 0
		.amdhsa_shared_vgpr_count 0
		.amdhsa_exception_fp_ieee_invalid_op 0
		.amdhsa_exception_fp_denorm_src 0
		.amdhsa_exception_fp_ieee_div_zero 0
		.amdhsa_exception_fp_ieee_overflow 0
		.amdhsa_exception_fp_ieee_underflow 0
		.amdhsa_exception_fp_ieee_inexact 0
		.amdhsa_exception_int_div_zero 0
	.end_amdhsa_kernel
	.section	.text._ZN4vllm16ConcatMLAQKernelIN3c108BFloat16ELi512EEEvPT_PKS3_S6_iillllll,"axG",@progbits,_ZN4vllm16ConcatMLAQKernelIN3c108BFloat16ELi512EEEvPT_PKS3_S6_iillllll,comdat
.Lfunc_end67:
	.size	_ZN4vllm16ConcatMLAQKernelIN3c108BFloat16ELi512EEEvPT_PKS3_S6_iillllll, .Lfunc_end67-_ZN4vllm16ConcatMLAQKernelIN3c108BFloat16ELi512EEEvPT_PKS3_S6_iillllll
                                        ; -- End function
	.section	.AMDGPU.csdata,"",@progbits
; Kernel info:
; codeLenInByte = 748
; NumSgprs: 22
; NumVgprs: 20
; ScratchSize: 0
; MemoryBound: 0
; FloatMode: 240
; IeeeMode: 1
; LDSByteSize: 0 bytes/workgroup (compile time only)
; SGPRBlocks: 2
; VGPRBlocks: 2
; NumSGPRsForWavesPerEU: 22
; NumVGPRsForWavesPerEU: 20
; Occupancy: 16
; WaveLimiterHint : 0
; COMPUTE_PGM_RSRC2:SCRATCH_EN: 0
; COMPUTE_PGM_RSRC2:USER_SGPR: 15
; COMPUTE_PGM_RSRC2:TRAP_HANDLER: 0
; COMPUTE_PGM_RSRC2:TGID_X_EN: 1
; COMPUTE_PGM_RSRC2:TGID_Y_EN: 0
; COMPUTE_PGM_RSRC2:TGID_Z_EN: 0
; COMPUTE_PGM_RSRC2:TIDIG_COMP_CNT: 0
	.text
	.p2alignl 7, 3214868480
	.fill 96, 4, 3214868480
	.type	__const.__assert_fail.fmt,@object ; @__const.__assert_fail.fmt
	.section	.rodata.str1.16,"aMS",@progbits,1
	.p2align	4, 0x0
__const.__assert_fail.fmt:
	.asciz	"%s:%u: %s: Device-side assertion `%s' failed.\n"
	.size	__const.__assert_fail.fmt, 47

	.type	.str,@object                    ; @.str
	.section	.rodata.str1.1,"aMS",@progbits,1
.str:
	.asciz	"false"
	.size	.str, 6

	.type	.str.1,@object                  ; @.str.1
.str.1:
	.asciz	"/root/src/amdgpu-assembly/repos/vllm-project__vllm/csrc/libtorch_stable/../quantization/w8a8/fp8/amd/quant_utils_hip.cuh"
	.size	.str.1, 121

	.type	__PRETTY_FUNCTION__._ZN4vllm3fp814scaled_convertIhfLNS_18Fp8KVCacheDataTypeE0EEET_RKT0_f,@object ; @__PRETTY_FUNCTION__._ZN4vllm3fp814scaled_convertIhfLNS_18Fp8KVCacheDataTypeE0EEET_RKT0_f
__PRETTY_FUNCTION__._ZN4vllm3fp814scaled_convertIhfLNS_18Fp8KVCacheDataTypeE0EEET_RKT0_f:
	.asciz	"Tout vllm::fp8::scaled_convert(const Tin &, const float) [Tout = unsigned char, Tin = float, kv_dt = vllm::Fp8KVCacheDataType::kAuto]"
	.size	__PRETTY_FUNCTION__._ZN4vllm3fp814scaled_convertIhfLNS_18Fp8KVCacheDataTypeE0EEET_RKT0_f, 134

	.type	__PRETTY_FUNCTION__._ZN4vllm3fp814scaled_convertIhtLNS_18Fp8KVCacheDataTypeE0EEET_RKT0_f,@object ; @__PRETTY_FUNCTION__._ZN4vllm3fp814scaled_convertIhtLNS_18Fp8KVCacheDataTypeE0EEET_RKT0_f
__PRETTY_FUNCTION__._ZN4vllm3fp814scaled_convertIhtLNS_18Fp8KVCacheDataTypeE0EEET_RKT0_f:
	.asciz	"Tout vllm::fp8::scaled_convert(const Tin &, const float) [Tout = unsigned char, Tin = unsigned short, kv_dt = vllm::Fp8KVCacheDataType::kAuto]"
	.size	__PRETTY_FUNCTION__._ZN4vllm3fp814scaled_convertIhtLNS_18Fp8KVCacheDataTypeE0EEET_RKT0_f, 143

	.type	__PRETTY_FUNCTION__._ZN4vllm3fp814scaled_convertIh14__hip_bfloat16LNS_18Fp8KVCacheDataTypeE0EEET_RKT0_f,@object ; @__PRETTY_FUNCTION__._ZN4vllm3fp814scaled_convertIh14__hip_bfloat16LNS_18Fp8KVCacheDataTypeE0EEET_RKT0_f
__PRETTY_FUNCTION__._ZN4vllm3fp814scaled_convertIh14__hip_bfloat16LNS_18Fp8KVCacheDataTypeE0EEET_RKT0_f:
	.asciz	"Tout vllm::fp8::scaled_convert(const Tin &, const float) [Tout = unsigned char, Tin = __hip_bfloat16, kv_dt = vllm::Fp8KVCacheDataType::kAuto]"
	.size	__PRETTY_FUNCTION__._ZN4vllm3fp814scaled_convertIh14__hip_bfloat16LNS_18Fp8KVCacheDataTypeE0EEET_RKT0_f, 143

	.type	__PRETTY_FUNCTION__._ZN4vllm3fp814scaled_convertIfhLNS_18Fp8KVCacheDataTypeE0EEET_RKT0_f,@object ; @__PRETTY_FUNCTION__._ZN4vllm3fp814scaled_convertIfhLNS_18Fp8KVCacheDataTypeE0EEET_RKT0_f
__PRETTY_FUNCTION__._ZN4vllm3fp814scaled_convertIfhLNS_18Fp8KVCacheDataTypeE0EEET_RKT0_f:
	.asciz	"Tout vllm::fp8::scaled_convert(const Tin &, const float) [Tout = float, Tin = unsigned char, kv_dt = vllm::Fp8KVCacheDataType::kAuto]"
	.size	__PRETTY_FUNCTION__._ZN4vllm3fp814scaled_convertIfhLNS_18Fp8KVCacheDataTypeE0EEET_RKT0_f, 134

	.type	__PRETTY_FUNCTION__._ZN4vllm3fp814scaled_convertIthLNS_18Fp8KVCacheDataTypeE0EEET_RKT0_f,@object ; @__PRETTY_FUNCTION__._ZN4vllm3fp814scaled_convertIthLNS_18Fp8KVCacheDataTypeE0EEET_RKT0_f
__PRETTY_FUNCTION__._ZN4vllm3fp814scaled_convertIthLNS_18Fp8KVCacheDataTypeE0EEET_RKT0_f:
	.asciz	"Tout vllm::fp8::scaled_convert(const Tin &, const float) [Tout = unsigned short, Tin = unsigned char, kv_dt = vllm::Fp8KVCacheDataType::kAuto]"
	.size	__PRETTY_FUNCTION__._ZN4vllm3fp814scaled_convertIthLNS_18Fp8KVCacheDataTypeE0EEET_RKT0_f, 143

	.type	__PRETTY_FUNCTION__._ZN4vllm3fp814scaled_convertI14__hip_bfloat16hLNS_18Fp8KVCacheDataTypeE0EEET_RKT0_f,@object ; @__PRETTY_FUNCTION__._ZN4vllm3fp814scaled_convertI14__hip_bfloat16hLNS_18Fp8KVCacheDataTypeE0EEET_RKT0_f
__PRETTY_FUNCTION__._ZN4vllm3fp814scaled_convertI14__hip_bfloat16hLNS_18Fp8KVCacheDataTypeE0EEET_RKT0_f:
	.asciz	"Tout vllm::fp8::scaled_convert(const Tin &, const float) [Tout = __hip_bfloat16, Tin = unsigned char, kv_dt = vllm::Fp8KVCacheDataType::kAuto]"
	.size	__PRETTY_FUNCTION__._ZN4vllm3fp814scaled_convertI14__hip_bfloat16hLNS_18Fp8KVCacheDataTypeE0EEET_RKT0_f, 143

	.type	.str.2,@object                  ; @.str.2
.str.2:
	.asciz	"CTA_SIZE == blockDim.x"
	.size	.str.2, 23

	.type	.str.3,@object                  ; @.str.3
.str.3:
	.asciz	"/root/src/amdgpu-assembly/repos/vllm-project__vllm/csrc/libtorch_stable/cache_kernels.hip"
	.size	.str.3, 90

	.type	__PRETTY_FUNCTION__._ZN4vllm30gather_and_maybe_dequant_cacheIffLNS_18Fp8KVCacheDataTypeE0ELi576ELi64EEEvPKT0_PT_PKiS8_S8_iillllPKfS8_,@object ; @__PRETTY_FUNCTION__._ZN4vllm30gather_and_maybe_dequant_cacheIffLNS_18Fp8KVCacheDataTypeE0ELi576ELi64EEEvPKT0_PT_PKiS8_S8_iillllPKfS8_
__PRETTY_FUNCTION__._ZN4vllm30gather_and_maybe_dequant_cacheIffLNS_18Fp8KVCacheDataTypeE0ELi576ELi64EEEvPKT0_PT_PKiS8_S8_iillllPKfS8_:
	.asciz	"void vllm::gather_and_maybe_dequant_cache(const cache_t *__restrict, scalar_t *__restrict, const int32_t *__restrict, const int32_t *__restrict, const int32_t *__restrict, const int32_t, const int32_t, const int64_t, const int64_t, const int64_t, const int64_t, const float *__restrict, const int32_t *__restrict) [scalar_t = float, cache_t = float, kv_dt = vllm::Fp8KVCacheDataType::kAuto, ENTRY_SIZE = 576, CTA_SIZE = 64]"
	.size	__PRETTY_FUNCTION__._ZN4vllm30gather_and_maybe_dequant_cacheIffLNS_18Fp8KVCacheDataTypeE0ELi576ELi64EEEvPKT0_PT_PKiS8_S8_iillllPKfS8_, 424

	.type	__PRETTY_FUNCTION__._ZN4vllm30gather_and_maybe_dequant_cacheIttLNS_18Fp8KVCacheDataTypeE0ELi576ELi64EEEvPKT0_PT_PKiS8_S8_iillllPKfS8_,@object ; @__PRETTY_FUNCTION__._ZN4vllm30gather_and_maybe_dequant_cacheIttLNS_18Fp8KVCacheDataTypeE0ELi576ELi64EEEvPKT0_PT_PKiS8_S8_iillllPKfS8_
__PRETTY_FUNCTION__._ZN4vllm30gather_and_maybe_dequant_cacheIttLNS_18Fp8KVCacheDataTypeE0ELi576ELi64EEEvPKT0_PT_PKiS8_S8_iillllPKfS8_:
	.asciz	"void vllm::gather_and_maybe_dequant_cache(const cache_t *__restrict, scalar_t *__restrict, const int32_t *__restrict, const int32_t *__restrict, const int32_t *__restrict, const int32_t, const int32_t, const int64_t, const int64_t, const int64_t, const int64_t, const float *__restrict, const int32_t *__restrict) [scalar_t = unsigned short, cache_t = unsigned short, kv_dt = vllm::Fp8KVCacheDataType::kAuto, ENTRY_SIZE = 576, CTA_SIZE = 64]"
	.size	__PRETTY_FUNCTION__._ZN4vllm30gather_and_maybe_dequant_cacheIttLNS_18Fp8KVCacheDataTypeE0ELi576ELi64EEEvPKT0_PT_PKiS8_S8_iillllPKfS8_, 442

	.type	__PRETTY_FUNCTION__._ZN4vllm30gather_and_maybe_dequant_cacheI14__hip_bfloat16S1_LNS_18Fp8KVCacheDataTypeE0ELi576ELi64EEEvPKT0_PT_PKiS9_S9_iillllPKfS9_,@object ; @__PRETTY_FUNCTION__._ZN4vllm30gather_and_maybe_dequant_cacheI14__hip_bfloat16S1_LNS_18Fp8KVCacheDataTypeE0ELi576ELi64EEEvPKT0_PT_PKiS9_S9_iillllPKfS9_
__PRETTY_FUNCTION__._ZN4vllm30gather_and_maybe_dequant_cacheI14__hip_bfloat16S1_LNS_18Fp8KVCacheDataTypeE0ELi576ELi64EEEvPKT0_PT_PKiS9_S9_iillllPKfS9_:
	.asciz	"void vllm::gather_and_maybe_dequant_cache(const cache_t *__restrict, scalar_t *__restrict, const int32_t *__restrict, const int32_t *__restrict, const int32_t *__restrict, const int32_t, const int32_t, const int64_t, const int64_t, const int64_t, const int64_t, const float *__restrict, const int32_t *__restrict) [scalar_t = __hip_bfloat16, cache_t = __hip_bfloat16, kv_dt = vllm::Fp8KVCacheDataType::kAuto, ENTRY_SIZE = 576, CTA_SIZE = 64]"
	.size	__PRETTY_FUNCTION__._ZN4vllm30gather_and_maybe_dequant_cacheI14__hip_bfloat16S1_LNS_18Fp8KVCacheDataTypeE0ELi576ELi64EEEvPKT0_PT_PKiS9_S9_iillllPKfS9_, 442

	.type	__PRETTY_FUNCTION__._ZN4vllm30gather_and_maybe_dequant_cacheIfhLNS_18Fp8KVCacheDataTypeE1ELi576ELi64EEEvPKT0_PT_PKiS8_S8_iillllPKfS8_,@object ; @__PRETTY_FUNCTION__._ZN4vllm30gather_and_maybe_dequant_cacheIfhLNS_18Fp8KVCacheDataTypeE1ELi576ELi64EEEvPKT0_PT_PKiS8_S8_iillllPKfS8_
__PRETTY_FUNCTION__._ZN4vllm30gather_and_maybe_dequant_cacheIfhLNS_18Fp8KVCacheDataTypeE1ELi576ELi64EEEvPKT0_PT_PKiS8_S8_iillllPKfS8_:
	.asciz	"void vllm::gather_and_maybe_dequant_cache(const cache_t *__restrict, scalar_t *__restrict, const int32_t *__restrict, const int32_t *__restrict, const int32_t *__restrict, const int32_t, const int32_t, const int64_t, const int64_t, const int64_t, const int64_t, const float *__restrict, const int32_t *__restrict) [scalar_t = float, cache_t = unsigned char, kv_dt = vllm::Fp8KVCacheDataType::kFp8E4M3, ENTRY_SIZE = 576, CTA_SIZE = 64]"
	.size	__PRETTY_FUNCTION__._ZN4vllm30gather_and_maybe_dequant_cacheIfhLNS_18Fp8KVCacheDataTypeE1ELi576ELi64EEEvPKT0_PT_PKiS8_S8_iillllPKfS8_, 435

	.type	__PRETTY_FUNCTION__._ZN4vllm30gather_and_maybe_dequant_cacheIthLNS_18Fp8KVCacheDataTypeE1ELi576ELi64EEEvPKT0_PT_PKiS8_S8_iillllPKfS8_,@object ; @__PRETTY_FUNCTION__._ZN4vllm30gather_and_maybe_dequant_cacheIthLNS_18Fp8KVCacheDataTypeE1ELi576ELi64EEEvPKT0_PT_PKiS8_S8_iillllPKfS8_
__PRETTY_FUNCTION__._ZN4vllm30gather_and_maybe_dequant_cacheIthLNS_18Fp8KVCacheDataTypeE1ELi576ELi64EEEvPKT0_PT_PKiS8_S8_iillllPKfS8_:
	.asciz	"void vllm::gather_and_maybe_dequant_cache(const cache_t *__restrict, scalar_t *__restrict, const int32_t *__restrict, const int32_t *__restrict, const int32_t *__restrict, const int32_t, const int32_t, const int64_t, const int64_t, const int64_t, const int64_t, const float *__restrict, const int32_t *__restrict) [scalar_t = unsigned short, cache_t = unsigned char, kv_dt = vllm::Fp8KVCacheDataType::kFp8E4M3, ENTRY_SIZE = 576, CTA_SIZE = 64]"
	.size	__PRETTY_FUNCTION__._ZN4vllm30gather_and_maybe_dequant_cacheIthLNS_18Fp8KVCacheDataTypeE1ELi576ELi64EEEvPKT0_PT_PKiS8_S8_iillllPKfS8_, 444

	.type	__PRETTY_FUNCTION__._ZN4vllm30gather_and_maybe_dequant_cacheI14__hip_bfloat16hLNS_18Fp8KVCacheDataTypeE1ELi576ELi64EEEvPKT0_PT_PKiS9_S9_iillllPKfS9_,@object ; @__PRETTY_FUNCTION__._ZN4vllm30gather_and_maybe_dequant_cacheI14__hip_bfloat16hLNS_18Fp8KVCacheDataTypeE1ELi576ELi64EEEvPKT0_PT_PKiS9_S9_iillllPKfS9_
__PRETTY_FUNCTION__._ZN4vllm30gather_and_maybe_dequant_cacheI14__hip_bfloat16hLNS_18Fp8KVCacheDataTypeE1ELi576ELi64EEEvPKT0_PT_PKiS9_S9_iillllPKfS9_:
	.asciz	"void vllm::gather_and_maybe_dequant_cache(const cache_t *__restrict, scalar_t *__restrict, const int32_t *__restrict, const int32_t *__restrict, const int32_t *__restrict, const int32_t, const int32_t, const int64_t, const int64_t, const int64_t, const int64_t, const float *__restrict, const int32_t *__restrict) [scalar_t = __hip_bfloat16, cache_t = unsigned char, kv_dt = vllm::Fp8KVCacheDataType::kFp8E4M3, ENTRY_SIZE = 576, CTA_SIZE = 64]"
	.size	__PRETTY_FUNCTION__._ZN4vllm30gather_and_maybe_dequant_cacheI14__hip_bfloat16hLNS_18Fp8KVCacheDataTypeE1ELi576ELi64EEEvPKT0_PT_PKiS9_S9_iillllPKfS9_, 444

	.type	__PRETTY_FUNCTION__._ZN4vllm30gather_and_maybe_dequant_cacheIffLNS_18Fp8KVCacheDataTypeE0ELi320ELi64EEEvPKT0_PT_PKiS8_S8_iillllPKfS8_,@object ; @__PRETTY_FUNCTION__._ZN4vllm30gather_and_maybe_dequant_cacheIffLNS_18Fp8KVCacheDataTypeE0ELi320ELi64EEEvPKT0_PT_PKiS8_S8_iillllPKfS8_
__PRETTY_FUNCTION__._ZN4vllm30gather_and_maybe_dequant_cacheIffLNS_18Fp8KVCacheDataTypeE0ELi320ELi64EEEvPKT0_PT_PKiS8_S8_iillllPKfS8_:
	.asciz	"void vllm::gather_and_maybe_dequant_cache(const cache_t *__restrict, scalar_t *__restrict, const int32_t *__restrict, const int32_t *__restrict, const int32_t *__restrict, const int32_t, const int32_t, const int64_t, const int64_t, const int64_t, const int64_t, const float *__restrict, const int32_t *__restrict) [scalar_t = float, cache_t = float, kv_dt = vllm::Fp8KVCacheDataType::kAuto, ENTRY_SIZE = 320, CTA_SIZE = 64]"
	.size	__PRETTY_FUNCTION__._ZN4vllm30gather_and_maybe_dequant_cacheIffLNS_18Fp8KVCacheDataTypeE0ELi320ELi64EEEvPKT0_PT_PKiS8_S8_iillllPKfS8_, 424

	.type	__PRETTY_FUNCTION__._ZN4vllm30gather_and_maybe_dequant_cacheIttLNS_18Fp8KVCacheDataTypeE0ELi320ELi64EEEvPKT0_PT_PKiS8_S8_iillllPKfS8_,@object ; @__PRETTY_FUNCTION__._ZN4vllm30gather_and_maybe_dequant_cacheIttLNS_18Fp8KVCacheDataTypeE0ELi320ELi64EEEvPKT0_PT_PKiS8_S8_iillllPKfS8_
__PRETTY_FUNCTION__._ZN4vllm30gather_and_maybe_dequant_cacheIttLNS_18Fp8KVCacheDataTypeE0ELi320ELi64EEEvPKT0_PT_PKiS8_S8_iillllPKfS8_:
	.asciz	"void vllm::gather_and_maybe_dequant_cache(const cache_t *__restrict, scalar_t *__restrict, const int32_t *__restrict, const int32_t *__restrict, const int32_t *__restrict, const int32_t, const int32_t, const int64_t, const int64_t, const int64_t, const int64_t, const float *__restrict, const int32_t *__restrict) [scalar_t = unsigned short, cache_t = unsigned short, kv_dt = vllm::Fp8KVCacheDataType::kAuto, ENTRY_SIZE = 320, CTA_SIZE = 64]"
	.size	__PRETTY_FUNCTION__._ZN4vllm30gather_and_maybe_dequant_cacheIttLNS_18Fp8KVCacheDataTypeE0ELi320ELi64EEEvPKT0_PT_PKiS8_S8_iillllPKfS8_, 442

	.type	__PRETTY_FUNCTION__._ZN4vllm30gather_and_maybe_dequant_cacheI14__hip_bfloat16S1_LNS_18Fp8KVCacheDataTypeE0ELi320ELi64EEEvPKT0_PT_PKiS9_S9_iillllPKfS9_,@object ; @__PRETTY_FUNCTION__._ZN4vllm30gather_and_maybe_dequant_cacheI14__hip_bfloat16S1_LNS_18Fp8KVCacheDataTypeE0ELi320ELi64EEEvPKT0_PT_PKiS9_S9_iillllPKfS9_
__PRETTY_FUNCTION__._ZN4vllm30gather_and_maybe_dequant_cacheI14__hip_bfloat16S1_LNS_18Fp8KVCacheDataTypeE0ELi320ELi64EEEvPKT0_PT_PKiS9_S9_iillllPKfS9_:
	.asciz	"void vllm::gather_and_maybe_dequant_cache(const cache_t *__restrict, scalar_t *__restrict, const int32_t *__restrict, const int32_t *__restrict, const int32_t *__restrict, const int32_t, const int32_t, const int64_t, const int64_t, const int64_t, const int64_t, const float *__restrict, const int32_t *__restrict) [scalar_t = __hip_bfloat16, cache_t = __hip_bfloat16, kv_dt = vllm::Fp8KVCacheDataType::kAuto, ENTRY_SIZE = 320, CTA_SIZE = 64]"
	.size	__PRETTY_FUNCTION__._ZN4vllm30gather_and_maybe_dequant_cacheI14__hip_bfloat16S1_LNS_18Fp8KVCacheDataTypeE0ELi320ELi64EEEvPKT0_PT_PKiS9_S9_iillllPKfS9_, 442

	.type	__PRETTY_FUNCTION__._ZN4vllm30gather_and_maybe_dequant_cacheIfhLNS_18Fp8KVCacheDataTypeE1ELi320ELi64EEEvPKT0_PT_PKiS8_S8_iillllPKfS8_,@object ; @__PRETTY_FUNCTION__._ZN4vllm30gather_and_maybe_dequant_cacheIfhLNS_18Fp8KVCacheDataTypeE1ELi320ELi64EEEvPKT0_PT_PKiS8_S8_iillllPKfS8_
__PRETTY_FUNCTION__._ZN4vllm30gather_and_maybe_dequant_cacheIfhLNS_18Fp8KVCacheDataTypeE1ELi320ELi64EEEvPKT0_PT_PKiS8_S8_iillllPKfS8_:
	.asciz	"void vllm::gather_and_maybe_dequant_cache(const cache_t *__restrict, scalar_t *__restrict, const int32_t *__restrict, const int32_t *__restrict, const int32_t *__restrict, const int32_t, const int32_t, const int64_t, const int64_t, const int64_t, const int64_t, const float *__restrict, const int32_t *__restrict) [scalar_t = float, cache_t = unsigned char, kv_dt = vllm::Fp8KVCacheDataType::kFp8E4M3, ENTRY_SIZE = 320, CTA_SIZE = 64]"
	.size	__PRETTY_FUNCTION__._ZN4vllm30gather_and_maybe_dequant_cacheIfhLNS_18Fp8KVCacheDataTypeE1ELi320ELi64EEEvPKT0_PT_PKiS8_S8_iillllPKfS8_, 435

	.type	__PRETTY_FUNCTION__._ZN4vllm30gather_and_maybe_dequant_cacheIthLNS_18Fp8KVCacheDataTypeE1ELi320ELi64EEEvPKT0_PT_PKiS8_S8_iillllPKfS8_,@object ; @__PRETTY_FUNCTION__._ZN4vllm30gather_and_maybe_dequant_cacheIthLNS_18Fp8KVCacheDataTypeE1ELi320ELi64EEEvPKT0_PT_PKiS8_S8_iillllPKfS8_
__PRETTY_FUNCTION__._ZN4vllm30gather_and_maybe_dequant_cacheIthLNS_18Fp8KVCacheDataTypeE1ELi320ELi64EEEvPKT0_PT_PKiS8_S8_iillllPKfS8_:
	.asciz	"void vllm::gather_and_maybe_dequant_cache(const cache_t *__restrict, scalar_t *__restrict, const int32_t *__restrict, const int32_t *__restrict, const int32_t *__restrict, const int32_t, const int32_t, const int64_t, const int64_t, const int64_t, const int64_t, const float *__restrict, const int32_t *__restrict) [scalar_t = unsigned short, cache_t = unsigned char, kv_dt = vllm::Fp8KVCacheDataType::kFp8E4M3, ENTRY_SIZE = 320, CTA_SIZE = 64]"
	.size	__PRETTY_FUNCTION__._ZN4vllm30gather_and_maybe_dequant_cacheIthLNS_18Fp8KVCacheDataTypeE1ELi320ELi64EEEvPKT0_PT_PKiS8_S8_iillllPKfS8_, 444

	.type	__PRETTY_FUNCTION__._ZN4vllm30gather_and_maybe_dequant_cacheI14__hip_bfloat16hLNS_18Fp8KVCacheDataTypeE1ELi320ELi64EEEvPKT0_PT_PKiS9_S9_iillllPKfS9_,@object ; @__PRETTY_FUNCTION__._ZN4vllm30gather_and_maybe_dequant_cacheI14__hip_bfloat16hLNS_18Fp8KVCacheDataTypeE1ELi320ELi64EEEvPKT0_PT_PKiS9_S9_iillllPKfS9_
__PRETTY_FUNCTION__._ZN4vllm30gather_and_maybe_dequant_cacheI14__hip_bfloat16hLNS_18Fp8KVCacheDataTypeE1ELi320ELi64EEEvPKT0_PT_PKiS9_S9_iillllPKfS9_:
	.asciz	"void vllm::gather_and_maybe_dequant_cache(const cache_t *__restrict, scalar_t *__restrict, const int32_t *__restrict, const int32_t *__restrict, const int32_t *__restrict, const int32_t, const int32_t, const int64_t, const int64_t, const int64_t, const int64_t, const float *__restrict, const int32_t *__restrict) [scalar_t = __hip_bfloat16, cache_t = unsigned char, kv_dt = vllm::Fp8KVCacheDataType::kFp8E4M3, ENTRY_SIZE = 320, CTA_SIZE = 64]"
	.size	__PRETTY_FUNCTION__._ZN4vllm30gather_and_maybe_dequant_cacheI14__hip_bfloat16hLNS_18Fp8KVCacheDataTypeE1ELi320ELi64EEEvPKT0_PT_PKiS9_S9_iillllPKfS9_, 444

	.type	__PRETTY_FUNCTION__._ZN4vllm3fp814scaled_convertIffLNS_18Fp8KVCacheDataTypeE0EEET_RKT0_f,@object ; @__PRETTY_FUNCTION__._ZN4vllm3fp814scaled_convertIffLNS_18Fp8KVCacheDataTypeE0EEET_RKT0_f
__PRETTY_FUNCTION__._ZN4vllm3fp814scaled_convertIffLNS_18Fp8KVCacheDataTypeE0EEET_RKT0_f:
	.asciz	"Tout vllm::fp8::scaled_convert(const Tin &, const float) [Tout = float, Tin = float, kv_dt = vllm::Fp8KVCacheDataType::kAuto]"
	.size	__PRETTY_FUNCTION__._ZN4vllm3fp814scaled_convertIffLNS_18Fp8KVCacheDataTypeE0EEET_RKT0_f, 126

	.type	__PRETTY_FUNCTION__._ZN4vllm3fp814scaled_convertIttLNS_18Fp8KVCacheDataTypeE0EEET_RKT0_f,@object ; @__PRETTY_FUNCTION__._ZN4vllm3fp814scaled_convertIttLNS_18Fp8KVCacheDataTypeE0EEET_RKT0_f
__PRETTY_FUNCTION__._ZN4vllm3fp814scaled_convertIttLNS_18Fp8KVCacheDataTypeE0EEET_RKT0_f:
	.asciz	"Tout vllm::fp8::scaled_convert(const Tin &, const float) [Tout = unsigned short, Tin = unsigned short, kv_dt = vllm::Fp8KVCacheDataType::kAuto]"
	.size	__PRETTY_FUNCTION__._ZN4vllm3fp814scaled_convertIttLNS_18Fp8KVCacheDataTypeE0EEET_RKT0_f, 144

	.type	__PRETTY_FUNCTION__._ZN4vllm3fp814scaled_convertI14__hip_bfloat16S2_LNS_18Fp8KVCacheDataTypeE0EEET_RKT0_f,@object ; @__PRETTY_FUNCTION__._ZN4vllm3fp814scaled_convertI14__hip_bfloat16S2_LNS_18Fp8KVCacheDataTypeE0EEET_RKT0_f
__PRETTY_FUNCTION__._ZN4vllm3fp814scaled_convertI14__hip_bfloat16S2_LNS_18Fp8KVCacheDataTypeE0EEET_RKT0_f:
	.asciz	"Tout vllm::fp8::scaled_convert(const Tin &, const float) [Tout = __hip_bfloat16, Tin = __hip_bfloat16, kv_dt = vllm::Fp8KVCacheDataType::kAuto]"
	.size	__PRETTY_FUNCTION__._ZN4vllm3fp814scaled_convertI14__hip_bfloat16S2_LNS_18Fp8KVCacheDataTypeE0EEET_RKT0_f, 144

	.type	__hip_cuid_600efdb98e12471d,@object ; @__hip_cuid_600efdb98e12471d
	.section	.bss,"aw",@nobits
	.globl	__hip_cuid_600efdb98e12471d
__hip_cuid_600efdb98e12471d:
	.byte	0                               ; 0x0
	.size	__hip_cuid_600efdb98e12471d, 1

	.ident	"AMD clang version 19.0.0git (https://github.com/RadeonOpenCompute/llvm-project roc-6.4.0 25133 c7fe45cf4b819c5991fe208aaa96edf142730f1d)"
	.section	".note.GNU-stack","",@progbits
	.addrsig
	.addrsig_sym __hip_cuid_600efdb98e12471d
	.amdgpu_metadata
---
amdhsa.kernels:
  - .args:
      - .actual_access:  read_only
        .address_space:  global
        .offset:         0
        .size:           8
        .value_kind:     global_buffer
      - .actual_access:  write_only
        .address_space:  global
        .offset:         8
        .size:           8
        .value_kind:     global_buffer
      - .actual_access:  read_only
        .address_space:  global
        .offset:         16
        .size:           8
        .value_kind:     global_buffer
      - .actual_access:  read_only
        .address_space:  global
        .offset:         24
        .size:           8
        .value_kind:     global_buffer
      - .offset:         32
        .size:           4
        .value_kind:     by_value
      - .offset:         36
        .size:           4
        .value_kind:     by_value
      - .offset:         40
        .size:           4
        .value_kind:     by_value
      - .offset:         48
        .size:           8
        .value_kind:     by_value
      - .offset:         56
        .size:           8
        .value_kind:     by_value
      - .offset:         64
        .size:           8
        .value_kind:     by_value
      - .offset:         72
        .size:           8
        .value_kind:     by_value
      - .offset:         80
        .size:           4
        .value_kind:     hidden_block_count_x
      - .offset:         84
        .size:           4
        .value_kind:     hidden_block_count_y
      - .offset:         88
        .size:           4
        .value_kind:     hidden_block_count_z
      - .offset:         92
        .size:           2
        .value_kind:     hidden_group_size_x
      - .offset:         94
        .size:           2
        .value_kind:     hidden_group_size_y
      - .offset:         96
        .size:           2
        .value_kind:     hidden_group_size_z
      - .offset:         98
        .size:           2
        .value_kind:     hidden_remainder_x
      - .offset:         100
        .size:           2
        .value_kind:     hidden_remainder_y
      - .offset:         102
        .size:           2
        .value_kind:     hidden_remainder_z
      - .offset:         120
        .size:           8
        .value_kind:     hidden_global_offset_x
      - .offset:         128
        .size:           8
        .value_kind:     hidden_global_offset_y
      - .offset:         136
        .size:           8
        .value_kind:     hidden_global_offset_z
      - .offset:         144
        .size:           2
        .value_kind:     hidden_grid_dims
    .group_segment_fixed_size: 0
    .kernarg_segment_align: 8
    .kernarg_segment_size: 336
    .language:       OpenCL C
    .language_version:
      - 2
      - 0
    .max_flat_workgroup_size: 1024
    .name:           _ZN4vllm36cp_gather_and_upconvert_fp8_kv_cacheEPKhP14__hip_bfloat16PKiS5_iiillll
    .private_segment_fixed_size: 0
    .sgpr_count:     22
    .sgpr_spill_count: 0
    .symbol:         _ZN4vllm36cp_gather_and_upconvert_fp8_kv_cacheEPKhP14__hip_bfloat16PKiS5_iiillll.kd
    .uniform_work_group_size: 1
    .uses_dynamic_stack: false
    .vgpr_count:     28
    .vgpr_spill_count: 0
    .wavefront_size: 32
    .workgroup_processor_mode: 1
  - .args:
      - .address_space:  global
        .offset:         0
        .size:           8
        .value_kind:     global_buffer
      - .actual_access:  read_only
        .address_space:  global
        .offset:         8
        .size:           8
        .value_kind:     global_buffer
      - .actual_access:  write_only
        .address_space:  global
        .offset:         16
        .size:           8
        .value_kind:     global_buffer
      - .actual_access:  write_only
        .address_space:  global
        .offset:         24
        .size:           8
        .value_kind:     global_buffer
      - .actual_access:  read_only
        .address_space:  global
        .offset:         32
        .size:           8
        .value_kind:     global_buffer
      - .offset:         40
        .size:           4
        .value_kind:     by_value
      - .offset:         44
        .size:           4
        .value_kind:     by_value
      - .offset:         48
        .size:           4
        .value_kind:     by_value
      - .offset:         52
        .size:           4
        .value_kind:     by_value
      - .offset:         56
        .size:           4
        .value_kind:     by_value
      - .offset:         60
        .size:           4
        .value_kind:     by_value
      - .address_space:  global
        .offset:         64
        .size:           8
        .value_kind:     global_buffer
      - .address_space:  global
        .offset:         72
        .size:           8
        .value_kind:     global_buffer
    .group_segment_fixed_size: 0
    .kernarg_segment_align: 8
    .kernarg_segment_size: 80
    .language:       OpenCL C
    .language_version:
      - 2
      - 0
    .max_flat_workgroup_size: 1024
    .name:           _ZN4vllm24reshape_and_cache_kernelIffLNS_18Fp8KVCacheDataTypeE0EEEvPKT_S4_PT0_S6_PKliiiiiiPKfSA_
    .private_segment_fixed_size: 0
    .sgpr_count:     38
    .sgpr_spill_count: 0
    .symbol:         _ZN4vllm24reshape_and_cache_kernelIffLNS_18Fp8KVCacheDataTypeE0EEEvPKT_S4_PT0_S6_PKliiiiiiPKfSA_.kd
    .uniform_work_group_size: 1
    .uses_dynamic_stack: false
    .vgpr_count:     32
    .vgpr_spill_count: 0
    .wavefront_size: 32
    .workgroup_processor_mode: 1
  - .args:
      - .address_space:  global
        .offset:         0
        .size:           8
        .value_kind:     global_buffer
      - .actual_access:  read_only
        .address_space:  global
        .offset:         8
        .size:           8
        .value_kind:     global_buffer
      - .actual_access:  write_only
        .address_space:  global
        .offset:         16
        .size:           8
        .value_kind:     global_buffer
      - .actual_access:  write_only
        .address_space:  global
        .offset:         24
        .size:           8
        .value_kind:     global_buffer
      - .actual_access:  read_only
        .address_space:  global
        .offset:         32
        .size:           8
        .value_kind:     global_buffer
      - .offset:         40
        .size:           4
        .value_kind:     by_value
      - .offset:         44
        .size:           4
        .value_kind:     by_value
      - .offset:         48
        .size:           4
        .value_kind:     by_value
      - .offset:         52
        .size:           4
        .value_kind:     by_value
      - .offset:         56
        .size:           4
        .value_kind:     by_value
      - .offset:         60
        .size:           4
        .value_kind:     by_value
      - .address_space:  global
        .offset:         64
        .size:           8
        .value_kind:     global_buffer
      - .address_space:  global
        .offset:         72
        .size:           8
        .value_kind:     global_buffer
    .group_segment_fixed_size: 0
    .kernarg_segment_align: 8
    .kernarg_segment_size: 80
    .language:       OpenCL C
    .language_version:
      - 2
      - 0
    .max_flat_workgroup_size: 1024
    .name:           _ZN4vllm24reshape_and_cache_kernelIttLNS_18Fp8KVCacheDataTypeE0EEEvPKT_S4_PT0_S6_PKliiiiiiPKfSA_
    .private_segment_fixed_size: 0
    .sgpr_count:     42
    .sgpr_spill_count: 0
    .symbol:         _ZN4vllm24reshape_and_cache_kernelIttLNS_18Fp8KVCacheDataTypeE0EEEvPKT_S4_PT0_S6_PKliiiiiiPKfSA_.kd
    .uniform_work_group_size: 1
    .uses_dynamic_stack: false
    .vgpr_count:     31
    .vgpr_spill_count: 0
    .wavefront_size: 32
    .workgroup_processor_mode: 1
  - .args:
      - .address_space:  global
        .offset:         0
        .size:           8
        .value_kind:     global_buffer
      - .actual_access:  read_only
        .address_space:  global
        .offset:         8
        .size:           8
        .value_kind:     global_buffer
      - .actual_access:  write_only
        .address_space:  global
        .offset:         16
        .size:           8
        .value_kind:     global_buffer
      - .actual_access:  write_only
        .address_space:  global
        .offset:         24
        .size:           8
        .value_kind:     global_buffer
      - .actual_access:  read_only
        .address_space:  global
        .offset:         32
        .size:           8
        .value_kind:     global_buffer
      - .offset:         40
        .size:           4
        .value_kind:     by_value
      - .offset:         44
        .size:           4
        .value_kind:     by_value
      - .offset:         48
        .size:           4
        .value_kind:     by_value
      - .offset:         52
        .size:           4
        .value_kind:     by_value
      - .offset:         56
        .size:           4
        .value_kind:     by_value
      - .offset:         60
        .size:           4
        .value_kind:     by_value
      - .address_space:  global
        .offset:         64
        .size:           8
        .value_kind:     global_buffer
      - .address_space:  global
        .offset:         72
        .size:           8
        .value_kind:     global_buffer
    .group_segment_fixed_size: 0
    .kernarg_segment_align: 8
    .kernarg_segment_size: 80
    .language:       OpenCL C
    .language_version:
      - 2
      - 0
    .max_flat_workgroup_size: 1024
    .name:           _ZN4vllm24reshape_and_cache_kernelI14__hip_bfloat16S1_LNS_18Fp8KVCacheDataTypeE0EEEvPKT_S5_PT0_S7_PKliiiiiiPKfSB_
    .private_segment_fixed_size: 0
    .sgpr_count:     42
    .sgpr_spill_count: 0
    .symbol:         _ZN4vllm24reshape_and_cache_kernelI14__hip_bfloat16S1_LNS_18Fp8KVCacheDataTypeE0EEEvPKT_S5_PT0_S7_PKliiiiiiPKfSB_.kd
    .uniform_work_group_size: 1
    .uses_dynamic_stack: false
    .vgpr_count:     31
    .vgpr_spill_count: 0
    .wavefront_size: 32
    .workgroup_processor_mode: 1
  - .args:
      - .address_space:  global
        .offset:         0
        .size:           8
        .value_kind:     global_buffer
      - .actual_access:  read_only
        .address_space:  global
        .offset:         8
        .size:           8
        .value_kind:     global_buffer
      - .actual_access:  write_only
        .address_space:  global
        .offset:         16
        .size:           8
        .value_kind:     global_buffer
      - .actual_access:  write_only
        .address_space:  global
        .offset:         24
        .size:           8
        .value_kind:     global_buffer
      - .actual_access:  read_only
        .address_space:  global
        .offset:         32
        .size:           8
        .value_kind:     global_buffer
      - .offset:         40
        .size:           4
        .value_kind:     by_value
      - .offset:         44
        .size:           4
        .value_kind:     by_value
      - .offset:         48
        .size:           4
        .value_kind:     by_value
      - .offset:         52
        .size:           4
        .value_kind:     by_value
      - .offset:         56
        .size:           4
        .value_kind:     by_value
      - .offset:         60
        .size:           4
        .value_kind:     by_value
      - .address_space:  global
        .offset:         64
        .size:           8
        .value_kind:     global_buffer
      - .address_space:  global
        .offset:         72
        .size:           8
        .value_kind:     global_buffer
    .group_segment_fixed_size: 0
    .kernarg_segment_align: 8
    .kernarg_segment_size: 80
    .language:       OpenCL C
    .language_version:
      - 2
      - 0
    .max_flat_workgroup_size: 1024
    .name:           _ZN4vllm24reshape_and_cache_kernelIfhLNS_18Fp8KVCacheDataTypeE1EEEvPKT_S4_PT0_S6_PKliiiiiiPKfSA_
    .private_segment_fixed_size: 0
    .sgpr_count:     37
    .sgpr_spill_count: 0
    .symbol:         _ZN4vllm24reshape_and_cache_kernelIfhLNS_18Fp8KVCacheDataTypeE1EEEvPKT_S4_PT0_S6_PKliiiiiiPKfSA_.kd
    .uniform_work_group_size: 1
    .uses_dynamic_stack: false
    .vgpr_count:     32
    .vgpr_spill_count: 0
    .wavefront_size: 32
    .workgroup_processor_mode: 1
  - .args:
      - .address_space:  global
        .offset:         0
        .size:           8
        .value_kind:     global_buffer
      - .actual_access:  read_only
        .address_space:  global
        .offset:         8
        .size:           8
        .value_kind:     global_buffer
      - .actual_access:  write_only
        .address_space:  global
        .offset:         16
        .size:           8
        .value_kind:     global_buffer
      - .actual_access:  write_only
        .address_space:  global
        .offset:         24
        .size:           8
        .value_kind:     global_buffer
      - .actual_access:  read_only
        .address_space:  global
        .offset:         32
        .size:           8
        .value_kind:     global_buffer
      - .offset:         40
        .size:           4
        .value_kind:     by_value
      - .offset:         44
        .size:           4
        .value_kind:     by_value
      - .offset:         48
        .size:           4
        .value_kind:     by_value
      - .offset:         52
        .size:           4
        .value_kind:     by_value
      - .offset:         56
        .size:           4
        .value_kind:     by_value
      - .offset:         60
        .size:           4
        .value_kind:     by_value
      - .address_space:  global
        .offset:         64
        .size:           8
        .value_kind:     global_buffer
      - .address_space:  global
        .offset:         72
        .size:           8
        .value_kind:     global_buffer
    .group_segment_fixed_size: 0
    .kernarg_segment_align: 8
    .kernarg_segment_size: 80
    .language:       OpenCL C
    .language_version:
      - 2
      - 0
    .max_flat_workgroup_size: 1024
    .name:           _ZN4vllm24reshape_and_cache_kernelIthLNS_18Fp8KVCacheDataTypeE1EEEvPKT_S4_PT0_S6_PKliiiiiiPKfSA_
    .private_segment_fixed_size: 0
    .sgpr_count:     51
    .sgpr_spill_count: 0
    .symbol:         _ZN4vllm24reshape_and_cache_kernelIthLNS_18Fp8KVCacheDataTypeE1EEEvPKT_S4_PT0_S6_PKliiiiiiPKfSA_.kd
    .uniform_work_group_size: 1
    .uses_dynamic_stack: false
    .vgpr_count:     52
    .vgpr_spill_count: 0
    .wavefront_size: 32
    .workgroup_processor_mode: 1
  - .args:
      - .address_space:  global
        .offset:         0
        .size:           8
        .value_kind:     global_buffer
      - .actual_access:  read_only
        .address_space:  global
        .offset:         8
        .size:           8
        .value_kind:     global_buffer
      - .actual_access:  write_only
        .address_space:  global
        .offset:         16
        .size:           8
        .value_kind:     global_buffer
      - .actual_access:  write_only
        .address_space:  global
        .offset:         24
        .size:           8
        .value_kind:     global_buffer
      - .actual_access:  read_only
        .address_space:  global
        .offset:         32
        .size:           8
        .value_kind:     global_buffer
      - .offset:         40
        .size:           4
        .value_kind:     by_value
      - .offset:         44
        .size:           4
        .value_kind:     by_value
      - .offset:         48
        .size:           4
        .value_kind:     by_value
      - .offset:         52
        .size:           4
        .value_kind:     by_value
      - .offset:         56
        .size:           4
        .value_kind:     by_value
      - .offset:         60
        .size:           4
        .value_kind:     by_value
      - .address_space:  global
        .offset:         64
        .size:           8
        .value_kind:     global_buffer
      - .address_space:  global
        .offset:         72
        .size:           8
        .value_kind:     global_buffer
    .group_segment_fixed_size: 0
    .kernarg_segment_align: 8
    .kernarg_segment_size: 80
    .language:       OpenCL C
    .language_version:
      - 2
      - 0
    .max_flat_workgroup_size: 1024
    .name:           _ZN4vllm24reshape_and_cache_kernelI14__hip_bfloat16hLNS_18Fp8KVCacheDataTypeE1EEEvPKT_S5_PT0_S7_PKliiiiiiPKfSB_
    .private_segment_fixed_size: 0
    .sgpr_count:     50
    .sgpr_spill_count: 0
    .symbol:         _ZN4vllm24reshape_and_cache_kernelI14__hip_bfloat16hLNS_18Fp8KVCacheDataTypeE1EEEvPKT_S5_PT0_S7_PKliiiiiiPKfSB_.kd
    .uniform_work_group_size: 1
    .uses_dynamic_stack: false
    .vgpr_count:     53
    .vgpr_spill_count: 0
    .wavefront_size: 32
    .workgroup_processor_mode: 1
  - .args:
      - .address_space:  global
        .offset:         0
        .size:           8
        .value_kind:     global_buffer
      - .address_space:  global
        .offset:         8
        .size:           8
        .value_kind:     global_buffer
      - .actual_access:  write_only
        .address_space:  global
        .offset:         16
        .size:           8
        .value_kind:     global_buffer
      - .actual_access:  write_only
        .address_space:  global
        .offset:         24
        .size:           8
        .value_kind:     global_buffer
      - .actual_access:  read_only
        .address_space:  global
        .offset:         32
        .size:           8
        .value_kind:     global_buffer
      - .offset:         40
        .size:           8
        .value_kind:     by_value
      - .offset:         48
        .size:           8
        .value_kind:     by_value
      - .offset:         56
        .size:           8
        .value_kind:     by_value
      - .offset:         64
        .size:           8
        .value_kind:     by_value
      - .offset:         72
        .size:           8
        .value_kind:     by_value
      - .offset:         80
        .size:           4
        .value_kind:     by_value
      - .offset:         84
        .size:           4
        .value_kind:     by_value
      - .offset:         88
        .size:           4
        .value_kind:     by_value
      - .address_space:  global
        .offset:         96
        .size:           8
        .value_kind:     global_buffer
      - .address_space:  global
        .offset:         104
        .size:           8
        .value_kind:     global_buffer
      - .offset:         112
        .size:           4
        .value_kind:     by_value
      - .offset:         120
        .size:           4
        .value_kind:     hidden_block_count_x
      - .offset:         124
        .size:           4
        .value_kind:     hidden_block_count_y
      - .offset:         128
        .size:           4
        .value_kind:     hidden_block_count_z
      - .offset:         132
        .size:           2
        .value_kind:     hidden_group_size_x
      - .offset:         134
        .size:           2
        .value_kind:     hidden_group_size_y
      - .offset:         136
        .size:           2
        .value_kind:     hidden_group_size_z
      - .offset:         138
        .size:           2
        .value_kind:     hidden_remainder_x
      - .offset:         140
        .size:           2
        .value_kind:     hidden_remainder_y
      - .offset:         142
        .size:           2
        .value_kind:     hidden_remainder_z
      - .offset:         160
        .size:           8
        .value_kind:     hidden_global_offset_x
      - .offset:         168
        .size:           8
        .value_kind:     hidden_global_offset_y
      - .offset:         176
        .size:           8
        .value_kind:     hidden_global_offset_z
      - .offset:         184
        .size:           2
        .value_kind:     hidden_grid_dims
    .group_segment_fixed_size: 0
    .kernarg_segment_align: 8
    .kernarg_segment_size: 376
    .language:       OpenCL C
    .language_version:
      - 2
      - 0
    .max_flat_workgroup_size: 1024
    .name:           _ZN4vllm30reshape_and_cache_flash_kernelIffLNS_18Fp8KVCacheDataTypeE0EEEvPKT_S4_PT0_S6_PKlllllliiiPKfSA_i
    .private_segment_fixed_size: 0
    .sgpr_count:     49
    .sgpr_spill_count: 0
    .symbol:         _ZN4vllm30reshape_and_cache_flash_kernelIffLNS_18Fp8KVCacheDataTypeE0EEEvPKT_S4_PT0_S6_PKlllllliiiPKfSA_i.kd
    .uniform_work_group_size: 1
    .uses_dynamic_stack: false
    .vgpr_count:     40
    .vgpr_spill_count: 0
    .wavefront_size: 32
    .workgroup_processor_mode: 1
  - .args:
      - .address_space:  global
        .offset:         0
        .size:           8
        .value_kind:     global_buffer
      - .address_space:  global
        .offset:         8
        .size:           8
        .value_kind:     global_buffer
      - .actual_access:  write_only
        .address_space:  global
        .offset:         16
        .size:           8
        .value_kind:     global_buffer
      - .actual_access:  write_only
        .address_space:  global
        .offset:         24
        .size:           8
        .value_kind:     global_buffer
      - .actual_access:  read_only
        .address_space:  global
        .offset:         32
        .size:           8
        .value_kind:     global_buffer
      - .offset:         40
        .size:           8
        .value_kind:     by_value
      - .offset:         48
        .size:           8
        .value_kind:     by_value
      - .offset:         56
        .size:           8
        .value_kind:     by_value
      - .offset:         64
        .size:           8
        .value_kind:     by_value
      - .offset:         72
        .size:           8
        .value_kind:     by_value
      - .offset:         80
        .size:           4
        .value_kind:     by_value
      - .offset:         84
        .size:           4
        .value_kind:     by_value
      - .offset:         88
        .size:           4
        .value_kind:     by_value
      - .address_space:  global
        .offset:         96
        .size:           8
        .value_kind:     global_buffer
      - .address_space:  global
        .offset:         104
        .size:           8
        .value_kind:     global_buffer
      - .offset:         112
        .size:           4
        .value_kind:     by_value
      - .offset:         120
        .size:           4
        .value_kind:     hidden_block_count_x
      - .offset:         124
        .size:           4
        .value_kind:     hidden_block_count_y
      - .offset:         128
        .size:           4
        .value_kind:     hidden_block_count_z
      - .offset:         132
        .size:           2
        .value_kind:     hidden_group_size_x
      - .offset:         134
        .size:           2
        .value_kind:     hidden_group_size_y
      - .offset:         136
        .size:           2
        .value_kind:     hidden_group_size_z
      - .offset:         138
        .size:           2
        .value_kind:     hidden_remainder_x
      - .offset:         140
        .size:           2
        .value_kind:     hidden_remainder_y
      - .offset:         142
        .size:           2
        .value_kind:     hidden_remainder_z
      - .offset:         160
        .size:           8
        .value_kind:     hidden_global_offset_x
      - .offset:         168
        .size:           8
        .value_kind:     hidden_global_offset_y
      - .offset:         176
        .size:           8
        .value_kind:     hidden_global_offset_z
      - .offset:         184
        .size:           2
        .value_kind:     hidden_grid_dims
    .group_segment_fixed_size: 0
    .kernarg_segment_align: 8
    .kernarg_segment_size: 376
    .language:       OpenCL C
    .language_version:
      - 2
      - 0
    .max_flat_workgroup_size: 1024
    .name:           _ZN4vllm30reshape_and_cache_flash_kernelIttLNS_18Fp8KVCacheDataTypeE0EEEvPKT_S4_PT0_S6_PKlllllliiiPKfSA_i
    .private_segment_fixed_size: 0
    .sgpr_count:     50
    .sgpr_spill_count: 0
    .symbol:         _ZN4vllm30reshape_and_cache_flash_kernelIttLNS_18Fp8KVCacheDataTypeE0EEEvPKT_S4_PT0_S6_PKlllllliiiPKfSA_i.kd
    .uniform_work_group_size: 1
    .uses_dynamic_stack: false
    .vgpr_count:     48
    .vgpr_spill_count: 0
    .wavefront_size: 32
    .workgroup_processor_mode: 1
  - .args:
      - .address_space:  global
        .offset:         0
        .size:           8
        .value_kind:     global_buffer
      - .address_space:  global
        .offset:         8
        .size:           8
        .value_kind:     global_buffer
      - .actual_access:  write_only
        .address_space:  global
        .offset:         16
        .size:           8
        .value_kind:     global_buffer
      - .actual_access:  write_only
        .address_space:  global
        .offset:         24
        .size:           8
        .value_kind:     global_buffer
      - .actual_access:  read_only
        .address_space:  global
        .offset:         32
        .size:           8
        .value_kind:     global_buffer
      - .offset:         40
        .size:           8
        .value_kind:     by_value
      - .offset:         48
        .size:           8
        .value_kind:     by_value
      - .offset:         56
        .size:           8
        .value_kind:     by_value
      - .offset:         64
        .size:           8
        .value_kind:     by_value
      - .offset:         72
        .size:           8
        .value_kind:     by_value
      - .offset:         80
        .size:           4
        .value_kind:     by_value
      - .offset:         84
        .size:           4
        .value_kind:     by_value
      - .offset:         88
        .size:           4
        .value_kind:     by_value
      - .address_space:  global
        .offset:         96
        .size:           8
        .value_kind:     global_buffer
      - .address_space:  global
        .offset:         104
        .size:           8
        .value_kind:     global_buffer
      - .offset:         112
        .size:           4
        .value_kind:     by_value
      - .offset:         120
        .size:           4
        .value_kind:     hidden_block_count_x
      - .offset:         124
        .size:           4
        .value_kind:     hidden_block_count_y
      - .offset:         128
        .size:           4
        .value_kind:     hidden_block_count_z
      - .offset:         132
        .size:           2
        .value_kind:     hidden_group_size_x
      - .offset:         134
        .size:           2
        .value_kind:     hidden_group_size_y
      - .offset:         136
        .size:           2
        .value_kind:     hidden_group_size_z
      - .offset:         138
        .size:           2
        .value_kind:     hidden_remainder_x
      - .offset:         140
        .size:           2
        .value_kind:     hidden_remainder_y
      - .offset:         142
        .size:           2
        .value_kind:     hidden_remainder_z
      - .offset:         160
        .size:           8
        .value_kind:     hidden_global_offset_x
      - .offset:         168
        .size:           8
        .value_kind:     hidden_global_offset_y
      - .offset:         176
        .size:           8
        .value_kind:     hidden_global_offset_z
      - .offset:         184
        .size:           2
        .value_kind:     hidden_grid_dims
    .group_segment_fixed_size: 0
    .kernarg_segment_align: 8
    .kernarg_segment_size: 376
    .language:       OpenCL C
    .language_version:
      - 2
      - 0
    .max_flat_workgroup_size: 1024
    .name:           _ZN4vllm30reshape_and_cache_flash_kernelI14__hip_bfloat16S1_LNS_18Fp8KVCacheDataTypeE0EEEvPKT_S5_PT0_S7_PKlllllliiiPKfSB_i
    .private_segment_fixed_size: 0
    .sgpr_count:     50
    .sgpr_spill_count: 0
    .symbol:         _ZN4vllm30reshape_and_cache_flash_kernelI14__hip_bfloat16S1_LNS_18Fp8KVCacheDataTypeE0EEEvPKT_S5_PT0_S7_PKlllllliiiPKfSB_i.kd
    .uniform_work_group_size: 1
    .uses_dynamic_stack: false
    .vgpr_count:     48
    .vgpr_spill_count: 0
    .wavefront_size: 32
    .workgroup_processor_mode: 1
  - .args:
      - .address_space:  global
        .offset:         0
        .size:           8
        .value_kind:     global_buffer
      - .address_space:  global
        .offset:         8
        .size:           8
        .value_kind:     global_buffer
      - .actual_access:  write_only
        .address_space:  global
        .offset:         16
        .size:           8
        .value_kind:     global_buffer
      - .actual_access:  write_only
        .address_space:  global
        .offset:         24
        .size:           8
        .value_kind:     global_buffer
      - .actual_access:  read_only
        .address_space:  global
        .offset:         32
        .size:           8
        .value_kind:     global_buffer
      - .offset:         40
        .size:           8
        .value_kind:     by_value
      - .offset:         48
        .size:           8
        .value_kind:     by_value
      - .offset:         56
        .size:           8
        .value_kind:     by_value
      - .offset:         64
        .size:           8
        .value_kind:     by_value
      - .offset:         72
        .size:           8
        .value_kind:     by_value
      - .offset:         80
        .size:           4
        .value_kind:     by_value
      - .offset:         84
        .size:           4
        .value_kind:     by_value
      - .offset:         88
        .size:           4
        .value_kind:     by_value
      - .address_space:  global
        .offset:         96
        .size:           8
        .value_kind:     global_buffer
      - .address_space:  global
        .offset:         104
        .size:           8
        .value_kind:     global_buffer
      - .offset:         112
        .size:           4
        .value_kind:     by_value
      - .offset:         120
        .size:           4
        .value_kind:     hidden_block_count_x
      - .offset:         124
        .size:           4
        .value_kind:     hidden_block_count_y
      - .offset:         128
        .size:           4
        .value_kind:     hidden_block_count_z
      - .offset:         132
        .size:           2
        .value_kind:     hidden_group_size_x
      - .offset:         134
        .size:           2
        .value_kind:     hidden_group_size_y
      - .offset:         136
        .size:           2
        .value_kind:     hidden_group_size_z
      - .offset:         138
        .size:           2
        .value_kind:     hidden_remainder_x
      - .offset:         140
        .size:           2
        .value_kind:     hidden_remainder_y
      - .offset:         142
        .size:           2
        .value_kind:     hidden_remainder_z
      - .offset:         160
        .size:           8
        .value_kind:     hidden_global_offset_x
      - .offset:         168
        .size:           8
        .value_kind:     hidden_global_offset_y
      - .offset:         176
        .size:           8
        .value_kind:     hidden_global_offset_z
      - .offset:         184
        .size:           2
        .value_kind:     hidden_grid_dims
    .group_segment_fixed_size: 0
    .kernarg_segment_align: 8
    .kernarg_segment_size: 376
    .language:       OpenCL C
    .language_version:
      - 2
      - 0
    .max_flat_workgroup_size: 1024
    .name:           _ZN4vllm30reshape_and_cache_flash_kernelIfhLNS_18Fp8KVCacheDataTypeE1EEEvPKT_S4_PT0_S6_PKlllllliiiPKfSA_i
    .private_segment_fixed_size: 0
    .sgpr_count:     59
    .sgpr_spill_count: 0
    .symbol:         _ZN4vllm30reshape_and_cache_flash_kernelIfhLNS_18Fp8KVCacheDataTypeE1EEEvPKT_S4_PT0_S6_PKlllllliiiPKfSA_i.kd
    .uniform_work_group_size: 1
    .uses_dynamic_stack: false
    .vgpr_count:     54
    .vgpr_spill_count: 0
    .wavefront_size: 32
    .workgroup_processor_mode: 1
  - .args:
      - .address_space:  global
        .offset:         0
        .size:           8
        .value_kind:     global_buffer
      - .address_space:  global
        .offset:         8
        .size:           8
        .value_kind:     global_buffer
      - .actual_access:  write_only
        .address_space:  global
        .offset:         16
        .size:           8
        .value_kind:     global_buffer
      - .actual_access:  write_only
        .address_space:  global
        .offset:         24
        .size:           8
        .value_kind:     global_buffer
      - .actual_access:  read_only
        .address_space:  global
        .offset:         32
        .size:           8
        .value_kind:     global_buffer
      - .offset:         40
        .size:           8
        .value_kind:     by_value
      - .offset:         48
        .size:           8
        .value_kind:     by_value
      - .offset:         56
        .size:           8
        .value_kind:     by_value
      - .offset:         64
        .size:           8
        .value_kind:     by_value
      - .offset:         72
        .size:           8
        .value_kind:     by_value
      - .offset:         80
        .size:           4
        .value_kind:     by_value
      - .offset:         84
        .size:           4
        .value_kind:     by_value
      - .offset:         88
        .size:           4
        .value_kind:     by_value
      - .address_space:  global
        .offset:         96
        .size:           8
        .value_kind:     global_buffer
      - .address_space:  global
        .offset:         104
        .size:           8
        .value_kind:     global_buffer
      - .offset:         112
        .size:           4
        .value_kind:     by_value
      - .offset:         120
        .size:           4
        .value_kind:     hidden_block_count_x
      - .offset:         124
        .size:           4
        .value_kind:     hidden_block_count_y
      - .offset:         128
        .size:           4
        .value_kind:     hidden_block_count_z
      - .offset:         132
        .size:           2
        .value_kind:     hidden_group_size_x
      - .offset:         134
        .size:           2
        .value_kind:     hidden_group_size_y
      - .offset:         136
        .size:           2
        .value_kind:     hidden_group_size_z
      - .offset:         138
        .size:           2
        .value_kind:     hidden_remainder_x
      - .offset:         140
        .size:           2
        .value_kind:     hidden_remainder_y
      - .offset:         142
        .size:           2
        .value_kind:     hidden_remainder_z
      - .offset:         160
        .size:           8
        .value_kind:     hidden_global_offset_x
      - .offset:         168
        .size:           8
        .value_kind:     hidden_global_offset_y
      - .offset:         176
        .size:           8
        .value_kind:     hidden_global_offset_z
      - .offset:         184
        .size:           2
        .value_kind:     hidden_grid_dims
    .group_segment_fixed_size: 0
    .kernarg_segment_align: 8
    .kernarg_segment_size: 376
    .language:       OpenCL C
    .language_version:
      - 2
      - 0
    .max_flat_workgroup_size: 1024
    .name:           _ZN4vllm30reshape_and_cache_flash_kernelIthLNS_18Fp8KVCacheDataTypeE1EEEvPKT_S4_PT0_S6_PKlllllliiiPKfSA_i
    .private_segment_fixed_size: 0
    .sgpr_count:     59
    .sgpr_spill_count: 0
    .symbol:         _ZN4vllm30reshape_and_cache_flash_kernelIthLNS_18Fp8KVCacheDataTypeE1EEEvPKT_S4_PT0_S6_PKlllllliiiPKfSA_i.kd
    .uniform_work_group_size: 1
    .uses_dynamic_stack: false
    .vgpr_count:     54
    .vgpr_spill_count: 0
    .wavefront_size: 32
    .workgroup_processor_mode: 1
  - .args:
      - .address_space:  global
        .offset:         0
        .size:           8
        .value_kind:     global_buffer
      - .address_space:  global
        .offset:         8
        .size:           8
        .value_kind:     global_buffer
      - .actual_access:  write_only
        .address_space:  global
        .offset:         16
        .size:           8
        .value_kind:     global_buffer
      - .actual_access:  write_only
        .address_space:  global
        .offset:         24
        .size:           8
        .value_kind:     global_buffer
      - .actual_access:  read_only
        .address_space:  global
        .offset:         32
        .size:           8
        .value_kind:     global_buffer
      - .offset:         40
        .size:           8
        .value_kind:     by_value
      - .offset:         48
        .size:           8
        .value_kind:     by_value
      - .offset:         56
        .size:           8
        .value_kind:     by_value
      - .offset:         64
        .size:           8
        .value_kind:     by_value
      - .offset:         72
        .size:           8
        .value_kind:     by_value
      - .offset:         80
        .size:           4
        .value_kind:     by_value
      - .offset:         84
        .size:           4
        .value_kind:     by_value
      - .offset:         88
        .size:           4
        .value_kind:     by_value
      - .address_space:  global
        .offset:         96
        .size:           8
        .value_kind:     global_buffer
      - .address_space:  global
        .offset:         104
        .size:           8
        .value_kind:     global_buffer
      - .offset:         112
        .size:           4
        .value_kind:     by_value
      - .offset:         120
        .size:           4
        .value_kind:     hidden_block_count_x
      - .offset:         124
        .size:           4
        .value_kind:     hidden_block_count_y
      - .offset:         128
        .size:           4
        .value_kind:     hidden_block_count_z
      - .offset:         132
        .size:           2
        .value_kind:     hidden_group_size_x
      - .offset:         134
        .size:           2
        .value_kind:     hidden_group_size_y
      - .offset:         136
        .size:           2
        .value_kind:     hidden_group_size_z
      - .offset:         138
        .size:           2
        .value_kind:     hidden_remainder_x
      - .offset:         140
        .size:           2
        .value_kind:     hidden_remainder_y
      - .offset:         142
        .size:           2
        .value_kind:     hidden_remainder_z
      - .offset:         160
        .size:           8
        .value_kind:     hidden_global_offset_x
      - .offset:         168
        .size:           8
        .value_kind:     hidden_global_offset_y
      - .offset:         176
        .size:           8
        .value_kind:     hidden_global_offset_z
      - .offset:         184
        .size:           2
        .value_kind:     hidden_grid_dims
    .group_segment_fixed_size: 0
    .kernarg_segment_align: 8
    .kernarg_segment_size: 376
    .language:       OpenCL C
    .language_version:
      - 2
      - 0
    .max_flat_workgroup_size: 1024
    .name:           _ZN4vllm30reshape_and_cache_flash_kernelI14__hip_bfloat16hLNS_18Fp8KVCacheDataTypeE1EEEvPKT_S5_PT0_S7_PKlllllliiiPKfSB_i
    .private_segment_fixed_size: 0
    .sgpr_count:     59
    .sgpr_spill_count: 0
    .symbol:         _ZN4vllm30reshape_and_cache_flash_kernelI14__hip_bfloat16hLNS_18Fp8KVCacheDataTypeE1EEEvPKT_S5_PT0_S7_PKlllllliiiPKfSB_i.kd
    .uniform_work_group_size: 1
    .uses_dynamic_stack: false
    .vgpr_count:     54
    .vgpr_spill_count: 0
    .wavefront_size: 32
    .workgroup_processor_mode: 1
  - .args:
      - .actual_access:  read_only
        .address_space:  global
        .offset:         0
        .size:           8
        .value_kind:     global_buffer
      - .actual_access:  read_only
        .address_space:  global
        .offset:         8
        .size:           8
        .value_kind:     global_buffer
      - .actual_access:  write_only
        .address_space:  global
        .offset:         16
        .size:           8
        .value_kind:     global_buffer
      - .actual_access:  read_only
        .address_space:  global
        .offset:         24
        .size:           8
        .value_kind:     global_buffer
      - .offset:         32
        .size:           4
        .value_kind:     by_value
      - .offset:         36
        .size:           4
        .value_kind:     by_value
      - .offset:         40
        .size:           4
        .value_kind:     by_value
      - .offset:         44
        .size:           4
        .value_kind:     by_value
      - .offset:         48
        .size:           4
        .value_kind:     by_value
      - .offset:         52
        .size:           4
        .value_kind:     by_value
      - .offset:         56
        .size:           4
        .value_kind:     by_value
      - .address_space:  global
        .offset:         64
        .size:           8
        .value_kind:     global_buffer
    .group_segment_fixed_size: 0
    .kernarg_segment_align: 8
    .kernarg_segment_size: 72
    .language:       OpenCL C
    .language_version:
      - 2
      - 0
    .max_flat_workgroup_size: 1024
    .name:           _ZN4vllm30concat_and_cache_ds_mla_kernelIffLNS_18Fp8KVCacheDataTypeE0EEEvPKT_S4_PT0_PKliiiiiiiPKf
    .private_segment_fixed_size: 0
    .sgpr_count:     29
    .sgpr_spill_count: 0
    .symbol:         _ZN4vllm30concat_and_cache_ds_mla_kernelIffLNS_18Fp8KVCacheDataTypeE0EEEvPKT_S4_PT0_PKliiiiiiiPKf.kd
    .uniform_work_group_size: 1
    .uses_dynamic_stack: false
    .vgpr_count:     4
    .vgpr_spill_count: 0
    .wavefront_size: 32
    .workgroup_processor_mode: 1
  - .args:
      - .actual_access:  read_only
        .address_space:  global
        .offset:         0
        .size:           8
        .value_kind:     global_buffer
      - .actual_access:  read_only
        .address_space:  global
        .offset:         8
        .size:           8
        .value_kind:     global_buffer
      - .actual_access:  write_only
        .address_space:  global
        .offset:         16
        .size:           8
        .value_kind:     global_buffer
      - .actual_access:  read_only
        .address_space:  global
        .offset:         24
        .size:           8
        .value_kind:     global_buffer
      - .offset:         32
        .size:           4
        .value_kind:     by_value
      - .offset:         36
        .size:           4
        .value_kind:     by_value
      - .offset:         40
        .size:           4
        .value_kind:     by_value
      - .offset:         44
        .size:           4
        .value_kind:     by_value
      - .offset:         48
        .size:           4
        .value_kind:     by_value
      - .offset:         52
        .size:           4
        .value_kind:     by_value
      - .offset:         56
        .size:           4
        .value_kind:     by_value
      - .address_space:  global
        .offset:         64
        .size:           8
        .value_kind:     global_buffer
    .group_segment_fixed_size: 0
    .kernarg_segment_align: 8
    .kernarg_segment_size: 72
    .language:       OpenCL C
    .language_version:
      - 2
      - 0
    .max_flat_workgroup_size: 1024
    .name:           _ZN4vllm30concat_and_cache_ds_mla_kernelIttLNS_18Fp8KVCacheDataTypeE0EEEvPKT_S4_PT0_PKliiiiiiiPKf
    .private_segment_fixed_size: 0
    .sgpr_count:     27
    .sgpr_spill_count: 0
    .symbol:         _ZN4vllm30concat_and_cache_ds_mla_kernelIttLNS_18Fp8KVCacheDataTypeE0EEEvPKT_S4_PT0_PKliiiiiiiPKf.kd
    .uniform_work_group_size: 1
    .uses_dynamic_stack: false
    .vgpr_count:     20
    .vgpr_spill_count: 0
    .wavefront_size: 32
    .workgroup_processor_mode: 1
  - .args:
      - .actual_access:  read_only
        .address_space:  global
        .offset:         0
        .size:           8
        .value_kind:     global_buffer
      - .actual_access:  read_only
        .address_space:  global
        .offset:         8
        .size:           8
        .value_kind:     global_buffer
      - .actual_access:  write_only
        .address_space:  global
        .offset:         16
        .size:           8
        .value_kind:     global_buffer
      - .actual_access:  read_only
        .address_space:  global
        .offset:         24
        .size:           8
        .value_kind:     global_buffer
      - .offset:         32
        .size:           4
        .value_kind:     by_value
      - .offset:         36
        .size:           4
        .value_kind:     by_value
      - .offset:         40
        .size:           4
        .value_kind:     by_value
      - .offset:         44
        .size:           4
        .value_kind:     by_value
      - .offset:         48
        .size:           4
        .value_kind:     by_value
      - .offset:         52
        .size:           4
        .value_kind:     by_value
      - .offset:         56
        .size:           4
        .value_kind:     by_value
      - .address_space:  global
        .offset:         64
        .size:           8
        .value_kind:     global_buffer
    .group_segment_fixed_size: 0
    .kernarg_segment_align: 8
    .kernarg_segment_size: 72
    .language:       OpenCL C
    .language_version:
      - 2
      - 0
    .max_flat_workgroup_size: 1024
    .name:           _ZN4vllm30concat_and_cache_ds_mla_kernelI14__hip_bfloat16S1_LNS_18Fp8KVCacheDataTypeE0EEEvPKT_S5_PT0_PKliiiiiiiPKf
    .private_segment_fixed_size: 0
    .sgpr_count:     27
    .sgpr_spill_count: 0
    .symbol:         _ZN4vllm30concat_and_cache_ds_mla_kernelI14__hip_bfloat16S1_LNS_18Fp8KVCacheDataTypeE0EEEvPKT_S5_PT0_PKliiiiiiiPKf.kd
    .uniform_work_group_size: 1
    .uses_dynamic_stack: false
    .vgpr_count:     19
    .vgpr_spill_count: 0
    .wavefront_size: 32
    .workgroup_processor_mode: 1
  - .args:
      - .actual_access:  read_only
        .address_space:  global
        .offset:         0
        .size:           8
        .value_kind:     global_buffer
      - .actual_access:  read_only
        .address_space:  global
        .offset:         8
        .size:           8
        .value_kind:     global_buffer
      - .actual_access:  write_only
        .address_space:  global
        .offset:         16
        .size:           8
        .value_kind:     global_buffer
      - .actual_access:  read_only
        .address_space:  global
        .offset:         24
        .size:           8
        .value_kind:     global_buffer
      - .offset:         32
        .size:           4
        .value_kind:     by_value
      - .offset:         36
        .size:           4
        .value_kind:     by_value
      - .offset:         40
        .size:           4
        .value_kind:     by_value
      - .offset:         44
        .size:           4
        .value_kind:     by_value
      - .offset:         48
        .size:           4
        .value_kind:     by_value
      - .offset:         52
        .size:           4
        .value_kind:     by_value
      - .offset:         56
        .size:           4
        .value_kind:     by_value
      - .address_space:  global
        .offset:         64
        .size:           8
        .value_kind:     global_buffer
    .group_segment_fixed_size: 0
    .kernarg_segment_align: 8
    .kernarg_segment_size: 72
    .language:       OpenCL C
    .language_version:
      - 2
      - 0
    .max_flat_workgroup_size: 1024
    .name:           _ZN4vllm30concat_and_cache_ds_mla_kernelIfhLNS_18Fp8KVCacheDataTypeE1EEEvPKT_S4_PT0_PKliiiiiiiPKf
    .private_segment_fixed_size: 0
    .sgpr_count:     29
    .sgpr_spill_count: 0
    .symbol:         _ZN4vllm30concat_and_cache_ds_mla_kernelIfhLNS_18Fp8KVCacheDataTypeE1EEEvPKT_S4_PT0_PKliiiiiiiPKf.kd
    .uniform_work_group_size: 1
    .uses_dynamic_stack: false
    .vgpr_count:     4
    .vgpr_spill_count: 0
    .wavefront_size: 32
    .workgroup_processor_mode: 1
  - .args:
      - .actual_access:  read_only
        .address_space:  global
        .offset:         0
        .size:           8
        .value_kind:     global_buffer
      - .actual_access:  read_only
        .address_space:  global
        .offset:         8
        .size:           8
        .value_kind:     global_buffer
      - .actual_access:  write_only
        .address_space:  global
        .offset:         16
        .size:           8
        .value_kind:     global_buffer
      - .actual_access:  read_only
        .address_space:  global
        .offset:         24
        .size:           8
        .value_kind:     global_buffer
      - .offset:         32
        .size:           4
        .value_kind:     by_value
      - .offset:         36
        .size:           4
        .value_kind:     by_value
      - .offset:         40
        .size:           4
        .value_kind:     by_value
      - .offset:         44
        .size:           4
        .value_kind:     by_value
      - .offset:         48
        .size:           4
        .value_kind:     by_value
      - .offset:         52
        .size:           4
        .value_kind:     by_value
      - .offset:         56
        .size:           4
        .value_kind:     by_value
      - .address_space:  global
        .offset:         64
        .size:           8
        .value_kind:     global_buffer
    .group_segment_fixed_size: 0
    .kernarg_segment_align: 8
    .kernarg_segment_size: 72
    .language:       OpenCL C
    .language_version:
      - 2
      - 0
    .max_flat_workgroup_size: 1024
    .name:           _ZN4vllm30concat_and_cache_ds_mla_kernelIthLNS_18Fp8KVCacheDataTypeE1EEEvPKT_S4_PT0_PKliiiiiiiPKf
    .private_segment_fixed_size: 0
    .sgpr_count:     27
    .sgpr_spill_count: 0
    .symbol:         _ZN4vllm30concat_and_cache_ds_mla_kernelIthLNS_18Fp8KVCacheDataTypeE1EEEvPKT_S4_PT0_PKliiiiiiiPKf.kd
    .uniform_work_group_size: 1
    .uses_dynamic_stack: false
    .vgpr_count:     20
    .vgpr_spill_count: 0
    .wavefront_size: 32
    .workgroup_processor_mode: 1
  - .args:
      - .actual_access:  read_only
        .address_space:  global
        .offset:         0
        .size:           8
        .value_kind:     global_buffer
      - .actual_access:  read_only
        .address_space:  global
        .offset:         8
        .size:           8
        .value_kind:     global_buffer
      - .actual_access:  write_only
        .address_space:  global
        .offset:         16
        .size:           8
        .value_kind:     global_buffer
      - .actual_access:  read_only
        .address_space:  global
        .offset:         24
        .size:           8
        .value_kind:     global_buffer
      - .offset:         32
        .size:           4
        .value_kind:     by_value
      - .offset:         36
        .size:           4
        .value_kind:     by_value
      - .offset:         40
        .size:           4
        .value_kind:     by_value
      - .offset:         44
        .size:           4
        .value_kind:     by_value
      - .offset:         48
        .size:           4
        .value_kind:     by_value
      - .offset:         52
        .size:           4
        .value_kind:     by_value
      - .offset:         56
        .size:           4
        .value_kind:     by_value
      - .address_space:  global
        .offset:         64
        .size:           8
        .value_kind:     global_buffer
    .group_segment_fixed_size: 0
    .kernarg_segment_align: 8
    .kernarg_segment_size: 72
    .language:       OpenCL C
    .language_version:
      - 2
      - 0
    .max_flat_workgroup_size: 1024
    .name:           _ZN4vllm30concat_and_cache_ds_mla_kernelI14__hip_bfloat16hLNS_18Fp8KVCacheDataTypeE1EEEvPKT_S5_PT0_PKliiiiiiiPKf
    .private_segment_fixed_size: 0
    .sgpr_count:     27
    .sgpr_spill_count: 0
    .symbol:         _ZN4vllm30concat_and_cache_ds_mla_kernelI14__hip_bfloat16hLNS_18Fp8KVCacheDataTypeE1EEEvPKT_S5_PT0_PKliiiiiiiPKf.kd
    .uniform_work_group_size: 1
    .uses_dynamic_stack: false
    .vgpr_count:     19
    .vgpr_spill_count: 0
    .wavefront_size: 32
    .workgroup_processor_mode: 1
  - .args:
      - .actual_access:  read_only
        .address_space:  global
        .offset:         0
        .size:           8
        .value_kind:     global_buffer
      - .actual_access:  read_only
        .address_space:  global
        .offset:         8
        .size:           8
        .value_kind:     global_buffer
      - .actual_access:  write_only
        .address_space:  global
        .offset:         16
        .size:           8
        .value_kind:     global_buffer
      - .actual_access:  read_only
        .address_space:  global
        .offset:         24
        .size:           8
        .value_kind:     global_buffer
      - .offset:         32
        .size:           4
        .value_kind:     by_value
      - .offset:         36
        .size:           4
        .value_kind:     by_value
      - .offset:         40
        .size:           4
        .value_kind:     by_value
      - .offset:         44
        .size:           4
        .value_kind:     by_value
      - .offset:         48
        .size:           4
        .value_kind:     by_value
      - .offset:         52
        .size:           4
        .value_kind:     by_value
      - .offset:         56
        .size:           4
        .value_kind:     by_value
      - .address_space:  global
        .offset:         64
        .size:           8
        .value_kind:     global_buffer
      - .offset:         72
        .size:           4
        .value_kind:     hidden_block_count_x
      - .offset:         76
        .size:           4
        .value_kind:     hidden_block_count_y
      - .offset:         80
        .size:           4
        .value_kind:     hidden_block_count_z
      - .offset:         84
        .size:           2
        .value_kind:     hidden_group_size_x
      - .offset:         86
        .size:           2
        .value_kind:     hidden_group_size_y
      - .offset:         88
        .size:           2
        .value_kind:     hidden_group_size_z
      - .offset:         90
        .size:           2
        .value_kind:     hidden_remainder_x
      - .offset:         92
        .size:           2
        .value_kind:     hidden_remainder_y
      - .offset:         94
        .size:           2
        .value_kind:     hidden_remainder_z
      - .offset:         112
        .size:           8
        .value_kind:     hidden_global_offset_x
      - .offset:         120
        .size:           8
        .value_kind:     hidden_global_offset_y
      - .offset:         128
        .size:           8
        .value_kind:     hidden_global_offset_z
      - .offset:         136
        .size:           2
        .value_kind:     hidden_grid_dims
    .group_segment_fixed_size: 0
    .kernarg_segment_align: 8
    .kernarg_segment_size: 328
    .language:       OpenCL C
    .language_version:
      - 2
      - 0
    .max_flat_workgroup_size: 1024
    .name:           _ZN4vllm27concat_and_cache_mla_kernelIffLNS_18Fp8KVCacheDataTypeE0EEEvPKT_S4_PT0_PKliiiiiiiPKf
    .private_segment_fixed_size: 0
    .sgpr_count:     33
    .sgpr_spill_count: 0
    .symbol:         _ZN4vllm27concat_and_cache_mla_kernelIffLNS_18Fp8KVCacheDataTypeE0EEEvPKT_S4_PT0_PKliiiiiiiPKf.kd
    .uniform_work_group_size: 1
    .uses_dynamic_stack: false
    .vgpr_count:     6
    .vgpr_spill_count: 0
    .wavefront_size: 32
    .workgroup_processor_mode: 1
  - .args:
      - .actual_access:  read_only
        .address_space:  global
        .offset:         0
        .size:           8
        .value_kind:     global_buffer
      - .actual_access:  read_only
        .address_space:  global
        .offset:         8
        .size:           8
        .value_kind:     global_buffer
      - .actual_access:  write_only
        .address_space:  global
        .offset:         16
        .size:           8
        .value_kind:     global_buffer
      - .actual_access:  read_only
        .address_space:  global
        .offset:         24
        .size:           8
        .value_kind:     global_buffer
      - .offset:         32
        .size:           4
        .value_kind:     by_value
      - .offset:         36
        .size:           4
        .value_kind:     by_value
      - .offset:         40
        .size:           4
        .value_kind:     by_value
      - .offset:         44
        .size:           4
        .value_kind:     by_value
      - .offset:         48
        .size:           4
        .value_kind:     by_value
      - .offset:         52
        .size:           4
        .value_kind:     by_value
      - .offset:         56
        .size:           4
        .value_kind:     by_value
      - .address_space:  global
        .offset:         64
        .size:           8
        .value_kind:     global_buffer
      - .offset:         72
        .size:           4
        .value_kind:     hidden_block_count_x
      - .offset:         76
        .size:           4
        .value_kind:     hidden_block_count_y
      - .offset:         80
        .size:           4
        .value_kind:     hidden_block_count_z
      - .offset:         84
        .size:           2
        .value_kind:     hidden_group_size_x
      - .offset:         86
        .size:           2
        .value_kind:     hidden_group_size_y
      - .offset:         88
        .size:           2
        .value_kind:     hidden_group_size_z
      - .offset:         90
        .size:           2
        .value_kind:     hidden_remainder_x
      - .offset:         92
        .size:           2
        .value_kind:     hidden_remainder_y
      - .offset:         94
        .size:           2
        .value_kind:     hidden_remainder_z
      - .offset:         112
        .size:           8
        .value_kind:     hidden_global_offset_x
      - .offset:         120
        .size:           8
        .value_kind:     hidden_global_offset_y
      - .offset:         128
        .size:           8
        .value_kind:     hidden_global_offset_z
      - .offset:         136
        .size:           2
        .value_kind:     hidden_grid_dims
    .group_segment_fixed_size: 0
    .kernarg_segment_align: 8
    .kernarg_segment_size: 328
    .language:       OpenCL C
    .language_version:
      - 2
      - 0
    .max_flat_workgroup_size: 1024
    .name:           _ZN4vllm27concat_and_cache_mla_kernelIttLNS_18Fp8KVCacheDataTypeE0EEEvPKT_S4_PT0_PKliiiiiiiPKf
    .private_segment_fixed_size: 0
    .sgpr_count:     33
    .sgpr_spill_count: 0
    .symbol:         _ZN4vllm27concat_and_cache_mla_kernelIttLNS_18Fp8KVCacheDataTypeE0EEEvPKT_S4_PT0_PKliiiiiiiPKf.kd
    .uniform_work_group_size: 1
    .uses_dynamic_stack: false
    .vgpr_count:     6
    .vgpr_spill_count: 0
    .wavefront_size: 32
    .workgroup_processor_mode: 1
  - .args:
      - .actual_access:  read_only
        .address_space:  global
        .offset:         0
        .size:           8
        .value_kind:     global_buffer
      - .actual_access:  read_only
        .address_space:  global
        .offset:         8
        .size:           8
        .value_kind:     global_buffer
      - .actual_access:  write_only
        .address_space:  global
        .offset:         16
        .size:           8
        .value_kind:     global_buffer
      - .actual_access:  read_only
        .address_space:  global
        .offset:         24
        .size:           8
        .value_kind:     global_buffer
      - .offset:         32
        .size:           4
        .value_kind:     by_value
      - .offset:         36
        .size:           4
        .value_kind:     by_value
      - .offset:         40
        .size:           4
        .value_kind:     by_value
      - .offset:         44
        .size:           4
        .value_kind:     by_value
      - .offset:         48
        .size:           4
        .value_kind:     by_value
      - .offset:         52
        .size:           4
        .value_kind:     by_value
      - .offset:         56
        .size:           4
        .value_kind:     by_value
      - .address_space:  global
        .offset:         64
        .size:           8
        .value_kind:     global_buffer
      - .offset:         72
        .size:           4
        .value_kind:     hidden_block_count_x
      - .offset:         76
        .size:           4
        .value_kind:     hidden_block_count_y
      - .offset:         80
        .size:           4
        .value_kind:     hidden_block_count_z
      - .offset:         84
        .size:           2
        .value_kind:     hidden_group_size_x
      - .offset:         86
        .size:           2
        .value_kind:     hidden_group_size_y
      - .offset:         88
        .size:           2
        .value_kind:     hidden_group_size_z
      - .offset:         90
        .size:           2
        .value_kind:     hidden_remainder_x
      - .offset:         92
        .size:           2
        .value_kind:     hidden_remainder_y
      - .offset:         94
        .size:           2
        .value_kind:     hidden_remainder_z
      - .offset:         112
        .size:           8
        .value_kind:     hidden_global_offset_x
      - .offset:         120
        .size:           8
        .value_kind:     hidden_global_offset_y
      - .offset:         128
        .size:           8
        .value_kind:     hidden_global_offset_z
      - .offset:         136
        .size:           2
        .value_kind:     hidden_grid_dims
    .group_segment_fixed_size: 0
    .kernarg_segment_align: 8
    .kernarg_segment_size: 328
    .language:       OpenCL C
    .language_version:
      - 2
      - 0
    .max_flat_workgroup_size: 1024
    .name:           _ZN4vllm27concat_and_cache_mla_kernelI14__hip_bfloat16S1_LNS_18Fp8KVCacheDataTypeE0EEEvPKT_S5_PT0_PKliiiiiiiPKf
    .private_segment_fixed_size: 0
    .sgpr_count:     33
    .sgpr_spill_count: 0
    .symbol:         _ZN4vllm27concat_and_cache_mla_kernelI14__hip_bfloat16S1_LNS_18Fp8KVCacheDataTypeE0EEEvPKT_S5_PT0_PKliiiiiiiPKf.kd
    .uniform_work_group_size: 1
    .uses_dynamic_stack: false
    .vgpr_count:     6
    .vgpr_spill_count: 0
    .wavefront_size: 32
    .workgroup_processor_mode: 1
  - .args:
      - .actual_access:  read_only
        .address_space:  global
        .offset:         0
        .size:           8
        .value_kind:     global_buffer
      - .actual_access:  read_only
        .address_space:  global
        .offset:         8
        .size:           8
        .value_kind:     global_buffer
      - .actual_access:  write_only
        .address_space:  global
        .offset:         16
        .size:           8
        .value_kind:     global_buffer
      - .actual_access:  read_only
        .address_space:  global
        .offset:         24
        .size:           8
        .value_kind:     global_buffer
      - .offset:         32
        .size:           4
        .value_kind:     by_value
      - .offset:         36
        .size:           4
        .value_kind:     by_value
      - .offset:         40
        .size:           4
        .value_kind:     by_value
      - .offset:         44
        .size:           4
        .value_kind:     by_value
      - .offset:         48
        .size:           4
        .value_kind:     by_value
      - .offset:         52
        .size:           4
        .value_kind:     by_value
      - .offset:         56
        .size:           4
        .value_kind:     by_value
      - .address_space:  global
        .offset:         64
        .size:           8
        .value_kind:     global_buffer
      - .offset:         72
        .size:           4
        .value_kind:     hidden_block_count_x
      - .offset:         76
        .size:           4
        .value_kind:     hidden_block_count_y
      - .offset:         80
        .size:           4
        .value_kind:     hidden_block_count_z
      - .offset:         84
        .size:           2
        .value_kind:     hidden_group_size_x
      - .offset:         86
        .size:           2
        .value_kind:     hidden_group_size_y
      - .offset:         88
        .size:           2
        .value_kind:     hidden_group_size_z
      - .offset:         90
        .size:           2
        .value_kind:     hidden_remainder_x
      - .offset:         92
        .size:           2
        .value_kind:     hidden_remainder_y
      - .offset:         94
        .size:           2
        .value_kind:     hidden_remainder_z
      - .offset:         112
        .size:           8
        .value_kind:     hidden_global_offset_x
      - .offset:         120
        .size:           8
        .value_kind:     hidden_global_offset_y
      - .offset:         128
        .size:           8
        .value_kind:     hidden_global_offset_z
      - .offset:         136
        .size:           2
        .value_kind:     hidden_grid_dims
    .group_segment_fixed_size: 0
    .kernarg_segment_align: 8
    .kernarg_segment_size: 328
    .language:       OpenCL C
    .language_version:
      - 2
      - 0
    .max_flat_workgroup_size: 1024
    .name:           _ZN4vllm27concat_and_cache_mla_kernelIfhLNS_18Fp8KVCacheDataTypeE1EEEvPKT_S4_PT0_PKliiiiiiiPKf
    .private_segment_fixed_size: 0
    .sgpr_count:     38
    .sgpr_spill_count: 0
    .symbol:         _ZN4vllm27concat_and_cache_mla_kernelIfhLNS_18Fp8KVCacheDataTypeE1EEEvPKT_S4_PT0_PKliiiiiiiPKf.kd
    .uniform_work_group_size: 1
    .uses_dynamic_stack: false
    .vgpr_count:     14
    .vgpr_spill_count: 0
    .wavefront_size: 32
    .workgroup_processor_mode: 1
  - .args:
      - .actual_access:  read_only
        .address_space:  global
        .offset:         0
        .size:           8
        .value_kind:     global_buffer
      - .actual_access:  read_only
        .address_space:  global
        .offset:         8
        .size:           8
        .value_kind:     global_buffer
      - .actual_access:  write_only
        .address_space:  global
        .offset:         16
        .size:           8
        .value_kind:     global_buffer
      - .actual_access:  read_only
        .address_space:  global
        .offset:         24
        .size:           8
        .value_kind:     global_buffer
      - .offset:         32
        .size:           4
        .value_kind:     by_value
      - .offset:         36
        .size:           4
        .value_kind:     by_value
      - .offset:         40
        .size:           4
        .value_kind:     by_value
      - .offset:         44
        .size:           4
        .value_kind:     by_value
      - .offset:         48
        .size:           4
        .value_kind:     by_value
      - .offset:         52
        .size:           4
        .value_kind:     by_value
      - .offset:         56
        .size:           4
        .value_kind:     by_value
      - .address_space:  global
        .offset:         64
        .size:           8
        .value_kind:     global_buffer
      - .offset:         72
        .size:           4
        .value_kind:     hidden_block_count_x
      - .offset:         76
        .size:           4
        .value_kind:     hidden_block_count_y
      - .offset:         80
        .size:           4
        .value_kind:     hidden_block_count_z
      - .offset:         84
        .size:           2
        .value_kind:     hidden_group_size_x
      - .offset:         86
        .size:           2
        .value_kind:     hidden_group_size_y
      - .offset:         88
        .size:           2
        .value_kind:     hidden_group_size_z
      - .offset:         90
        .size:           2
        .value_kind:     hidden_remainder_x
      - .offset:         92
        .size:           2
        .value_kind:     hidden_remainder_y
      - .offset:         94
        .size:           2
        .value_kind:     hidden_remainder_z
      - .offset:         112
        .size:           8
        .value_kind:     hidden_global_offset_x
      - .offset:         120
        .size:           8
        .value_kind:     hidden_global_offset_y
      - .offset:         128
        .size:           8
        .value_kind:     hidden_global_offset_z
      - .offset:         136
        .size:           2
        .value_kind:     hidden_grid_dims
    .group_segment_fixed_size: 0
    .kernarg_segment_align: 8
    .kernarg_segment_size: 328
    .language:       OpenCL C
    .language_version:
      - 2
      - 0
    .max_flat_workgroup_size: 1024
    .name:           _ZN4vllm27concat_and_cache_mla_kernelIthLNS_18Fp8KVCacheDataTypeE1EEEvPKT_S4_PT0_PKliiiiiiiPKf
    .private_segment_fixed_size: 0
    .sgpr_count:     38
    .sgpr_spill_count: 0
    .symbol:         _ZN4vllm27concat_and_cache_mla_kernelIthLNS_18Fp8KVCacheDataTypeE1EEEvPKT_S4_PT0_PKliiiiiiiPKf.kd
    .uniform_work_group_size: 1
    .uses_dynamic_stack: false
    .vgpr_count:     14
    .vgpr_spill_count: 0
    .wavefront_size: 32
    .workgroup_processor_mode: 1
  - .args:
      - .actual_access:  read_only
        .address_space:  global
        .offset:         0
        .size:           8
        .value_kind:     global_buffer
      - .actual_access:  read_only
        .address_space:  global
        .offset:         8
        .size:           8
        .value_kind:     global_buffer
      - .actual_access:  write_only
        .address_space:  global
        .offset:         16
        .size:           8
        .value_kind:     global_buffer
      - .actual_access:  read_only
        .address_space:  global
        .offset:         24
        .size:           8
        .value_kind:     global_buffer
      - .offset:         32
        .size:           4
        .value_kind:     by_value
      - .offset:         36
        .size:           4
        .value_kind:     by_value
      - .offset:         40
        .size:           4
        .value_kind:     by_value
      - .offset:         44
        .size:           4
        .value_kind:     by_value
      - .offset:         48
        .size:           4
        .value_kind:     by_value
      - .offset:         52
        .size:           4
        .value_kind:     by_value
      - .offset:         56
        .size:           4
        .value_kind:     by_value
      - .address_space:  global
        .offset:         64
        .size:           8
        .value_kind:     global_buffer
      - .offset:         72
        .size:           4
        .value_kind:     hidden_block_count_x
      - .offset:         76
        .size:           4
        .value_kind:     hidden_block_count_y
      - .offset:         80
        .size:           4
        .value_kind:     hidden_block_count_z
      - .offset:         84
        .size:           2
        .value_kind:     hidden_group_size_x
      - .offset:         86
        .size:           2
        .value_kind:     hidden_group_size_y
      - .offset:         88
        .size:           2
        .value_kind:     hidden_group_size_z
      - .offset:         90
        .size:           2
        .value_kind:     hidden_remainder_x
      - .offset:         92
        .size:           2
        .value_kind:     hidden_remainder_y
      - .offset:         94
        .size:           2
        .value_kind:     hidden_remainder_z
      - .offset:         112
        .size:           8
        .value_kind:     hidden_global_offset_x
      - .offset:         120
        .size:           8
        .value_kind:     hidden_global_offset_y
      - .offset:         128
        .size:           8
        .value_kind:     hidden_global_offset_z
      - .offset:         136
        .size:           2
        .value_kind:     hidden_grid_dims
    .group_segment_fixed_size: 0
    .kernarg_segment_align: 8
    .kernarg_segment_size: 328
    .language:       OpenCL C
    .language_version:
      - 2
      - 0
    .max_flat_workgroup_size: 1024
    .name:           _ZN4vllm27concat_and_cache_mla_kernelI14__hip_bfloat16hLNS_18Fp8KVCacheDataTypeE1EEEvPKT_S5_PT0_PKliiiiiiiPKf
    .private_segment_fixed_size: 0
    .sgpr_count:     38
    .sgpr_spill_count: 0
    .symbol:         _ZN4vllm27concat_and_cache_mla_kernelI14__hip_bfloat16hLNS_18Fp8KVCacheDataTypeE1EEEvPKT_S5_PT0_PKliiiiiiiPKf.kd
    .uniform_work_group_size: 1
    .uses_dynamic_stack: false
    .vgpr_count:     14
    .vgpr_spill_count: 0
    .wavefront_size: 32
    .workgroup_processor_mode: 1
  - .args:
      - .actual_access:  read_only
        .address_space:  global
        .offset:         0
        .size:           8
        .value_kind:     global_buffer
      - .actual_access:  read_only
        .address_space:  global
        .offset:         8
        .size:           8
        .value_kind:     global_buffer
      - .offset:         16
        .size:           4
        .value_kind:     by_value
      - .offset:         24
        .size:           8
        .value_kind:     by_value
      - .offset:         32
        .size:           4
        .value_kind:     hidden_block_count_x
      - .offset:         36
        .size:           4
        .value_kind:     hidden_block_count_y
      - .offset:         40
        .size:           4
        .value_kind:     hidden_block_count_z
      - .offset:         44
        .size:           2
        .value_kind:     hidden_group_size_x
      - .offset:         46
        .size:           2
        .value_kind:     hidden_group_size_y
      - .offset:         48
        .size:           2
        .value_kind:     hidden_group_size_z
      - .offset:         50
        .size:           2
        .value_kind:     hidden_remainder_x
      - .offset:         52
        .size:           2
        .value_kind:     hidden_remainder_y
      - .offset:         54
        .size:           2
        .value_kind:     hidden_remainder_z
      - .offset:         72
        .size:           8
        .value_kind:     hidden_global_offset_x
      - .offset:         80
        .size:           8
        .value_kind:     hidden_global_offset_y
      - .offset:         88
        .size:           8
        .value_kind:     hidden_global_offset_z
      - .offset:         96
        .size:           2
        .value_kind:     hidden_grid_dims
      - .offset:         112
        .size:           8
        .value_kind:     hidden_hostcall_buffer
    .group_segment_fixed_size: 0
    .kernarg_segment_align: 8
    .kernarg_segment_size: 288
    .language:       OpenCL C
    .language_version:
      - 2
      - 0
    .max_flat_workgroup_size: 1024
    .name:           _ZN4vllm18convert_fp8_kernelIhfLNS_18Fp8KVCacheDataTypeE0EEEvPKT0_PT_fl
    .private_segment_fixed_size: 64
    .sgpr_count:     36
    .sgpr_spill_count: 0
    .symbol:         _ZN4vllm18convert_fp8_kernelIhfLNS_18Fp8KVCacheDataTypeE0EEEvPKT0_PT_fl.kd
    .uniform_work_group_size: 1
    .uses_dynamic_stack: false
    .vgpr_count:     53
    .vgpr_spill_count: 0
    .wavefront_size: 32
    .workgroup_processor_mode: 1
  - .args:
      - .actual_access:  read_only
        .address_space:  global
        .offset:         0
        .size:           8
        .value_kind:     global_buffer
      - .actual_access:  read_only
        .address_space:  global
        .offset:         8
        .size:           8
        .value_kind:     global_buffer
      - .offset:         16
        .size:           4
        .value_kind:     by_value
      - .offset:         24
        .size:           8
        .value_kind:     by_value
      - .offset:         32
        .size:           4
        .value_kind:     hidden_block_count_x
      - .offset:         36
        .size:           4
        .value_kind:     hidden_block_count_y
      - .offset:         40
        .size:           4
        .value_kind:     hidden_block_count_z
      - .offset:         44
        .size:           2
        .value_kind:     hidden_group_size_x
      - .offset:         46
        .size:           2
        .value_kind:     hidden_group_size_y
      - .offset:         48
        .size:           2
        .value_kind:     hidden_group_size_z
      - .offset:         50
        .size:           2
        .value_kind:     hidden_remainder_x
      - .offset:         52
        .size:           2
        .value_kind:     hidden_remainder_y
      - .offset:         54
        .size:           2
        .value_kind:     hidden_remainder_z
      - .offset:         72
        .size:           8
        .value_kind:     hidden_global_offset_x
      - .offset:         80
        .size:           8
        .value_kind:     hidden_global_offset_y
      - .offset:         88
        .size:           8
        .value_kind:     hidden_global_offset_z
      - .offset:         96
        .size:           2
        .value_kind:     hidden_grid_dims
      - .offset:         112
        .size:           8
        .value_kind:     hidden_hostcall_buffer
    .group_segment_fixed_size: 0
    .kernarg_segment_align: 8
    .kernarg_segment_size: 288
    .language:       OpenCL C
    .language_version:
      - 2
      - 0
    .max_flat_workgroup_size: 1024
    .name:           _ZN4vllm18convert_fp8_kernelIhtLNS_18Fp8KVCacheDataTypeE0EEEvPKT0_PT_fl
    .private_segment_fixed_size: 64
    .sgpr_count:     36
    .sgpr_spill_count: 0
    .symbol:         _ZN4vllm18convert_fp8_kernelIhtLNS_18Fp8KVCacheDataTypeE0EEEvPKT0_PT_fl.kd
    .uniform_work_group_size: 1
    .uses_dynamic_stack: false
    .vgpr_count:     53
    .vgpr_spill_count: 0
    .wavefront_size: 32
    .workgroup_processor_mode: 1
  - .args:
      - .actual_access:  read_only
        .address_space:  global
        .offset:         0
        .size:           8
        .value_kind:     global_buffer
      - .actual_access:  read_only
        .address_space:  global
        .offset:         8
        .size:           8
        .value_kind:     global_buffer
      - .offset:         16
        .size:           4
        .value_kind:     by_value
      - .offset:         24
        .size:           8
        .value_kind:     by_value
      - .offset:         32
        .size:           4
        .value_kind:     hidden_block_count_x
      - .offset:         36
        .size:           4
        .value_kind:     hidden_block_count_y
      - .offset:         40
        .size:           4
        .value_kind:     hidden_block_count_z
      - .offset:         44
        .size:           2
        .value_kind:     hidden_group_size_x
      - .offset:         46
        .size:           2
        .value_kind:     hidden_group_size_y
      - .offset:         48
        .size:           2
        .value_kind:     hidden_group_size_z
      - .offset:         50
        .size:           2
        .value_kind:     hidden_remainder_x
      - .offset:         52
        .size:           2
        .value_kind:     hidden_remainder_y
      - .offset:         54
        .size:           2
        .value_kind:     hidden_remainder_z
      - .offset:         72
        .size:           8
        .value_kind:     hidden_global_offset_x
      - .offset:         80
        .size:           8
        .value_kind:     hidden_global_offset_y
      - .offset:         88
        .size:           8
        .value_kind:     hidden_global_offset_z
      - .offset:         96
        .size:           2
        .value_kind:     hidden_grid_dims
      - .offset:         112
        .size:           8
        .value_kind:     hidden_hostcall_buffer
    .group_segment_fixed_size: 0
    .kernarg_segment_align: 8
    .kernarg_segment_size: 288
    .language:       OpenCL C
    .language_version:
      - 2
      - 0
    .max_flat_workgroup_size: 1024
    .name:           _ZN4vllm18convert_fp8_kernelIh14__hip_bfloat16LNS_18Fp8KVCacheDataTypeE0EEEvPKT0_PT_fl
    .private_segment_fixed_size: 64
    .sgpr_count:     36
    .sgpr_spill_count: 0
    .symbol:         _ZN4vllm18convert_fp8_kernelIh14__hip_bfloat16LNS_18Fp8KVCacheDataTypeE0EEEvPKT0_PT_fl.kd
    .uniform_work_group_size: 1
    .uses_dynamic_stack: false
    .vgpr_count:     53
    .vgpr_spill_count: 0
    .wavefront_size: 32
    .workgroup_processor_mode: 1
  - .args:
      - .actual_access:  read_only
        .address_space:  global
        .offset:         0
        .size:           8
        .value_kind:     global_buffer
      - .actual_access:  read_only
        .address_space:  global
        .offset:         8
        .size:           8
        .value_kind:     global_buffer
      - .offset:         16
        .size:           4
        .value_kind:     by_value
      - .offset:         24
        .size:           8
        .value_kind:     by_value
      - .offset:         32
        .size:           4
        .value_kind:     hidden_block_count_x
      - .offset:         36
        .size:           4
        .value_kind:     hidden_block_count_y
      - .offset:         40
        .size:           4
        .value_kind:     hidden_block_count_z
      - .offset:         44
        .size:           2
        .value_kind:     hidden_group_size_x
      - .offset:         46
        .size:           2
        .value_kind:     hidden_group_size_y
      - .offset:         48
        .size:           2
        .value_kind:     hidden_group_size_z
      - .offset:         50
        .size:           2
        .value_kind:     hidden_remainder_x
      - .offset:         52
        .size:           2
        .value_kind:     hidden_remainder_y
      - .offset:         54
        .size:           2
        .value_kind:     hidden_remainder_z
      - .offset:         72
        .size:           8
        .value_kind:     hidden_global_offset_x
      - .offset:         80
        .size:           8
        .value_kind:     hidden_global_offset_y
      - .offset:         88
        .size:           8
        .value_kind:     hidden_global_offset_z
      - .offset:         96
        .size:           2
        .value_kind:     hidden_grid_dims
      - .offset:         112
        .size:           8
        .value_kind:     hidden_hostcall_buffer
    .group_segment_fixed_size: 0
    .kernarg_segment_align: 8
    .kernarg_segment_size: 288
    .language:       OpenCL C
    .language_version:
      - 2
      - 0
    .max_flat_workgroup_size: 1024
    .name:           _ZN4vllm18convert_fp8_kernelIfhLNS_18Fp8KVCacheDataTypeE0EEEvPKT0_PT_fl
    .private_segment_fixed_size: 64
    .sgpr_count:     36
    .sgpr_spill_count: 0
    .symbol:         _ZN4vllm18convert_fp8_kernelIfhLNS_18Fp8KVCacheDataTypeE0EEEvPKT0_PT_fl.kd
    .uniform_work_group_size: 1
    .uses_dynamic_stack: false
    .vgpr_count:     53
    .vgpr_spill_count: 0
    .wavefront_size: 32
    .workgroup_processor_mode: 1
  - .args:
      - .actual_access:  read_only
        .address_space:  global
        .offset:         0
        .size:           8
        .value_kind:     global_buffer
      - .actual_access:  read_only
        .address_space:  global
        .offset:         8
        .size:           8
        .value_kind:     global_buffer
      - .offset:         16
        .size:           4
        .value_kind:     by_value
      - .offset:         24
        .size:           8
        .value_kind:     by_value
      - .offset:         32
        .size:           4
        .value_kind:     hidden_block_count_x
      - .offset:         36
        .size:           4
        .value_kind:     hidden_block_count_y
      - .offset:         40
        .size:           4
        .value_kind:     hidden_block_count_z
      - .offset:         44
        .size:           2
        .value_kind:     hidden_group_size_x
      - .offset:         46
        .size:           2
        .value_kind:     hidden_group_size_y
      - .offset:         48
        .size:           2
        .value_kind:     hidden_group_size_z
      - .offset:         50
        .size:           2
        .value_kind:     hidden_remainder_x
      - .offset:         52
        .size:           2
        .value_kind:     hidden_remainder_y
      - .offset:         54
        .size:           2
        .value_kind:     hidden_remainder_z
      - .offset:         72
        .size:           8
        .value_kind:     hidden_global_offset_x
      - .offset:         80
        .size:           8
        .value_kind:     hidden_global_offset_y
      - .offset:         88
        .size:           8
        .value_kind:     hidden_global_offset_z
      - .offset:         96
        .size:           2
        .value_kind:     hidden_grid_dims
      - .offset:         112
        .size:           8
        .value_kind:     hidden_hostcall_buffer
    .group_segment_fixed_size: 0
    .kernarg_segment_align: 8
    .kernarg_segment_size: 288
    .language:       OpenCL C
    .language_version:
      - 2
      - 0
    .max_flat_workgroup_size: 1024
    .name:           _ZN4vllm18convert_fp8_kernelIthLNS_18Fp8KVCacheDataTypeE0EEEvPKT0_PT_fl
    .private_segment_fixed_size: 64
    .sgpr_count:     36
    .sgpr_spill_count: 0
    .symbol:         _ZN4vllm18convert_fp8_kernelIthLNS_18Fp8KVCacheDataTypeE0EEEvPKT0_PT_fl.kd
    .uniform_work_group_size: 1
    .uses_dynamic_stack: false
    .vgpr_count:     53
    .vgpr_spill_count: 0
    .wavefront_size: 32
    .workgroup_processor_mode: 1
  - .args:
      - .actual_access:  read_only
        .address_space:  global
        .offset:         0
        .size:           8
        .value_kind:     global_buffer
      - .actual_access:  read_only
        .address_space:  global
        .offset:         8
        .size:           8
        .value_kind:     global_buffer
      - .offset:         16
        .size:           4
        .value_kind:     by_value
      - .offset:         24
        .size:           8
        .value_kind:     by_value
      - .offset:         32
        .size:           4
        .value_kind:     hidden_block_count_x
      - .offset:         36
        .size:           4
        .value_kind:     hidden_block_count_y
      - .offset:         40
        .size:           4
        .value_kind:     hidden_block_count_z
      - .offset:         44
        .size:           2
        .value_kind:     hidden_group_size_x
      - .offset:         46
        .size:           2
        .value_kind:     hidden_group_size_y
      - .offset:         48
        .size:           2
        .value_kind:     hidden_group_size_z
      - .offset:         50
        .size:           2
        .value_kind:     hidden_remainder_x
      - .offset:         52
        .size:           2
        .value_kind:     hidden_remainder_y
      - .offset:         54
        .size:           2
        .value_kind:     hidden_remainder_z
      - .offset:         72
        .size:           8
        .value_kind:     hidden_global_offset_x
      - .offset:         80
        .size:           8
        .value_kind:     hidden_global_offset_y
      - .offset:         88
        .size:           8
        .value_kind:     hidden_global_offset_z
      - .offset:         96
        .size:           2
        .value_kind:     hidden_grid_dims
      - .offset:         112
        .size:           8
        .value_kind:     hidden_hostcall_buffer
    .group_segment_fixed_size: 0
    .kernarg_segment_align: 8
    .kernarg_segment_size: 288
    .language:       OpenCL C
    .language_version:
      - 2
      - 0
    .max_flat_workgroup_size: 1024
    .name:           _ZN4vllm18convert_fp8_kernelI14__hip_bfloat16hLNS_18Fp8KVCacheDataTypeE0EEEvPKT0_PT_fl
    .private_segment_fixed_size: 64
    .sgpr_count:     36
    .sgpr_spill_count: 0
    .symbol:         _ZN4vllm18convert_fp8_kernelI14__hip_bfloat16hLNS_18Fp8KVCacheDataTypeE0EEEvPKT0_PT_fl.kd
    .uniform_work_group_size: 1
    .uses_dynamic_stack: false
    .vgpr_count:     53
    .vgpr_spill_count: 0
    .wavefront_size: 32
    .workgroup_processor_mode: 1
  - .args:
      - .actual_access:  read_only
        .address_space:  global
        .offset:         0
        .size:           8
        .value_kind:     global_buffer
      - .actual_access:  write_only
        .address_space:  global
        .offset:         8
        .size:           8
        .value_kind:     global_buffer
      - .offset:         16
        .size:           4
        .value_kind:     by_value
      - .offset:         24
        .size:           8
        .value_kind:     by_value
      - .offset:         32
        .size:           4
        .value_kind:     hidden_block_count_x
      - .offset:         36
        .size:           4
        .value_kind:     hidden_block_count_y
      - .offset:         40
        .size:           4
        .value_kind:     hidden_block_count_z
      - .offset:         44
        .size:           2
        .value_kind:     hidden_group_size_x
      - .offset:         46
        .size:           2
        .value_kind:     hidden_group_size_y
      - .offset:         48
        .size:           2
        .value_kind:     hidden_group_size_z
      - .offset:         50
        .size:           2
        .value_kind:     hidden_remainder_x
      - .offset:         52
        .size:           2
        .value_kind:     hidden_remainder_y
      - .offset:         54
        .size:           2
        .value_kind:     hidden_remainder_z
      - .offset:         72
        .size:           8
        .value_kind:     hidden_global_offset_x
      - .offset:         80
        .size:           8
        .value_kind:     hidden_global_offset_y
      - .offset:         88
        .size:           8
        .value_kind:     hidden_global_offset_z
      - .offset:         96
        .size:           2
        .value_kind:     hidden_grid_dims
    .group_segment_fixed_size: 0
    .kernarg_segment_align: 8
    .kernarg_segment_size: 288
    .language:       OpenCL C
    .language_version:
      - 2
      - 0
    .max_flat_workgroup_size: 1024
    .name:           _ZN4vllm18convert_fp8_kernelIhfLNS_18Fp8KVCacheDataTypeE1EEEvPKT0_PT_fl
    .private_segment_fixed_size: 0
    .sgpr_count:     18
    .sgpr_spill_count: 0
    .symbol:         _ZN4vllm18convert_fp8_kernelIhfLNS_18Fp8KVCacheDataTypeE1EEEvPKT0_PT_fl.kd
    .uniform_work_group_size: 1
    .uses_dynamic_stack: false
    .vgpr_count:     14
    .vgpr_spill_count: 0
    .wavefront_size: 32
    .workgroup_processor_mode: 1
  - .args:
      - .actual_access:  read_only
        .address_space:  global
        .offset:         0
        .size:           8
        .value_kind:     global_buffer
      - .actual_access:  write_only
        .address_space:  global
        .offset:         8
        .size:           8
        .value_kind:     global_buffer
      - .offset:         16
        .size:           4
        .value_kind:     by_value
      - .offset:         24
        .size:           8
        .value_kind:     by_value
      - .offset:         32
        .size:           4
        .value_kind:     hidden_block_count_x
      - .offset:         36
        .size:           4
        .value_kind:     hidden_block_count_y
      - .offset:         40
        .size:           4
        .value_kind:     hidden_block_count_z
      - .offset:         44
        .size:           2
        .value_kind:     hidden_group_size_x
      - .offset:         46
        .size:           2
        .value_kind:     hidden_group_size_y
      - .offset:         48
        .size:           2
        .value_kind:     hidden_group_size_z
      - .offset:         50
        .size:           2
        .value_kind:     hidden_remainder_x
      - .offset:         52
        .size:           2
        .value_kind:     hidden_remainder_y
      - .offset:         54
        .size:           2
        .value_kind:     hidden_remainder_z
      - .offset:         72
        .size:           8
        .value_kind:     hidden_global_offset_x
      - .offset:         80
        .size:           8
        .value_kind:     hidden_global_offset_y
      - .offset:         88
        .size:           8
        .value_kind:     hidden_global_offset_z
      - .offset:         96
        .size:           2
        .value_kind:     hidden_grid_dims
    .group_segment_fixed_size: 0
    .kernarg_segment_align: 8
    .kernarg_segment_size: 288
    .language:       OpenCL C
    .language_version:
      - 2
      - 0
    .max_flat_workgroup_size: 1024
    .name:           _ZN4vllm18convert_fp8_kernelIhtLNS_18Fp8KVCacheDataTypeE1EEEvPKT0_PT_fl
    .private_segment_fixed_size: 0
    .sgpr_count:     18
    .sgpr_spill_count: 0
    .symbol:         _ZN4vllm18convert_fp8_kernelIhtLNS_18Fp8KVCacheDataTypeE1EEEvPKT0_PT_fl.kd
    .uniform_work_group_size: 1
    .uses_dynamic_stack: false
    .vgpr_count:     14
    .vgpr_spill_count: 0
    .wavefront_size: 32
    .workgroup_processor_mode: 1
  - .args:
      - .actual_access:  read_only
        .address_space:  global
        .offset:         0
        .size:           8
        .value_kind:     global_buffer
      - .actual_access:  write_only
        .address_space:  global
        .offset:         8
        .size:           8
        .value_kind:     global_buffer
      - .offset:         16
        .size:           4
        .value_kind:     by_value
      - .offset:         24
        .size:           8
        .value_kind:     by_value
      - .offset:         32
        .size:           4
        .value_kind:     hidden_block_count_x
      - .offset:         36
        .size:           4
        .value_kind:     hidden_block_count_y
      - .offset:         40
        .size:           4
        .value_kind:     hidden_block_count_z
      - .offset:         44
        .size:           2
        .value_kind:     hidden_group_size_x
      - .offset:         46
        .size:           2
        .value_kind:     hidden_group_size_y
      - .offset:         48
        .size:           2
        .value_kind:     hidden_group_size_z
      - .offset:         50
        .size:           2
        .value_kind:     hidden_remainder_x
      - .offset:         52
        .size:           2
        .value_kind:     hidden_remainder_y
      - .offset:         54
        .size:           2
        .value_kind:     hidden_remainder_z
      - .offset:         72
        .size:           8
        .value_kind:     hidden_global_offset_x
      - .offset:         80
        .size:           8
        .value_kind:     hidden_global_offset_y
      - .offset:         88
        .size:           8
        .value_kind:     hidden_global_offset_z
      - .offset:         96
        .size:           2
        .value_kind:     hidden_grid_dims
    .group_segment_fixed_size: 0
    .kernarg_segment_align: 8
    .kernarg_segment_size: 288
    .language:       OpenCL C
    .language_version:
      - 2
      - 0
    .max_flat_workgroup_size: 1024
    .name:           _ZN4vllm18convert_fp8_kernelIh14__hip_bfloat16LNS_18Fp8KVCacheDataTypeE1EEEvPKT0_PT_fl
    .private_segment_fixed_size: 0
    .sgpr_count:     18
    .sgpr_spill_count: 0
    .symbol:         _ZN4vllm18convert_fp8_kernelIh14__hip_bfloat16LNS_18Fp8KVCacheDataTypeE1EEEvPKT0_PT_fl.kd
    .uniform_work_group_size: 1
    .uses_dynamic_stack: false
    .vgpr_count:     14
    .vgpr_spill_count: 0
    .wavefront_size: 32
    .workgroup_processor_mode: 1
  - .args:
      - .actual_access:  read_only
        .address_space:  global
        .offset:         0
        .size:           8
        .value_kind:     global_buffer
      - .actual_access:  write_only
        .address_space:  global
        .offset:         8
        .size:           8
        .value_kind:     global_buffer
      - .offset:         16
        .size:           4
        .value_kind:     by_value
      - .offset:         24
        .size:           8
        .value_kind:     by_value
      - .offset:         32
        .size:           4
        .value_kind:     hidden_block_count_x
      - .offset:         36
        .size:           4
        .value_kind:     hidden_block_count_y
      - .offset:         40
        .size:           4
        .value_kind:     hidden_block_count_z
      - .offset:         44
        .size:           2
        .value_kind:     hidden_group_size_x
      - .offset:         46
        .size:           2
        .value_kind:     hidden_group_size_y
      - .offset:         48
        .size:           2
        .value_kind:     hidden_group_size_z
      - .offset:         50
        .size:           2
        .value_kind:     hidden_remainder_x
      - .offset:         52
        .size:           2
        .value_kind:     hidden_remainder_y
      - .offset:         54
        .size:           2
        .value_kind:     hidden_remainder_z
      - .offset:         72
        .size:           8
        .value_kind:     hidden_global_offset_x
      - .offset:         80
        .size:           8
        .value_kind:     hidden_global_offset_y
      - .offset:         88
        .size:           8
        .value_kind:     hidden_global_offset_z
      - .offset:         96
        .size:           2
        .value_kind:     hidden_grid_dims
    .group_segment_fixed_size: 0
    .kernarg_segment_align: 8
    .kernarg_segment_size: 288
    .language:       OpenCL C
    .language_version:
      - 2
      - 0
    .max_flat_workgroup_size: 1024
    .name:           _ZN4vllm18convert_fp8_kernelIfhLNS_18Fp8KVCacheDataTypeE1EEEvPKT0_PT_fl
    .private_segment_fixed_size: 0
    .sgpr_count:     18
    .sgpr_spill_count: 0
    .symbol:         _ZN4vllm18convert_fp8_kernelIfhLNS_18Fp8KVCacheDataTypeE1EEEvPKT0_PT_fl.kd
    .uniform_work_group_size: 1
    .uses_dynamic_stack: false
    .vgpr_count:     9
    .vgpr_spill_count: 0
    .wavefront_size: 32
    .workgroup_processor_mode: 1
  - .args:
      - .actual_access:  read_only
        .address_space:  global
        .offset:         0
        .size:           8
        .value_kind:     global_buffer
      - .actual_access:  write_only
        .address_space:  global
        .offset:         8
        .size:           8
        .value_kind:     global_buffer
      - .offset:         16
        .size:           4
        .value_kind:     by_value
      - .offset:         24
        .size:           8
        .value_kind:     by_value
      - .offset:         32
        .size:           4
        .value_kind:     hidden_block_count_x
      - .offset:         36
        .size:           4
        .value_kind:     hidden_block_count_y
      - .offset:         40
        .size:           4
        .value_kind:     hidden_block_count_z
      - .offset:         44
        .size:           2
        .value_kind:     hidden_group_size_x
      - .offset:         46
        .size:           2
        .value_kind:     hidden_group_size_y
      - .offset:         48
        .size:           2
        .value_kind:     hidden_group_size_z
      - .offset:         50
        .size:           2
        .value_kind:     hidden_remainder_x
      - .offset:         52
        .size:           2
        .value_kind:     hidden_remainder_y
      - .offset:         54
        .size:           2
        .value_kind:     hidden_remainder_z
      - .offset:         72
        .size:           8
        .value_kind:     hidden_global_offset_x
      - .offset:         80
        .size:           8
        .value_kind:     hidden_global_offset_y
      - .offset:         88
        .size:           8
        .value_kind:     hidden_global_offset_z
      - .offset:         96
        .size:           2
        .value_kind:     hidden_grid_dims
    .group_segment_fixed_size: 0
    .kernarg_segment_align: 8
    .kernarg_segment_size: 288
    .language:       OpenCL C
    .language_version:
      - 2
      - 0
    .max_flat_workgroup_size: 1024
    .name:           _ZN4vllm18convert_fp8_kernelIthLNS_18Fp8KVCacheDataTypeE1EEEvPKT0_PT_fl
    .private_segment_fixed_size: 0
    .sgpr_count:     18
    .sgpr_spill_count: 0
    .symbol:         _ZN4vllm18convert_fp8_kernelIthLNS_18Fp8KVCacheDataTypeE1EEEvPKT0_PT_fl.kd
    .uniform_work_group_size: 1
    .uses_dynamic_stack: false
    .vgpr_count:     9
    .vgpr_spill_count: 0
    .wavefront_size: 32
    .workgroup_processor_mode: 1
  - .args:
      - .actual_access:  read_only
        .address_space:  global
        .offset:         0
        .size:           8
        .value_kind:     global_buffer
      - .actual_access:  write_only
        .address_space:  global
        .offset:         8
        .size:           8
        .value_kind:     global_buffer
      - .offset:         16
        .size:           4
        .value_kind:     by_value
      - .offset:         24
        .size:           8
        .value_kind:     by_value
      - .offset:         32
        .size:           4
        .value_kind:     hidden_block_count_x
      - .offset:         36
        .size:           4
        .value_kind:     hidden_block_count_y
      - .offset:         40
        .size:           4
        .value_kind:     hidden_block_count_z
      - .offset:         44
        .size:           2
        .value_kind:     hidden_group_size_x
      - .offset:         46
        .size:           2
        .value_kind:     hidden_group_size_y
      - .offset:         48
        .size:           2
        .value_kind:     hidden_group_size_z
      - .offset:         50
        .size:           2
        .value_kind:     hidden_remainder_x
      - .offset:         52
        .size:           2
        .value_kind:     hidden_remainder_y
      - .offset:         54
        .size:           2
        .value_kind:     hidden_remainder_z
      - .offset:         72
        .size:           8
        .value_kind:     hidden_global_offset_x
      - .offset:         80
        .size:           8
        .value_kind:     hidden_global_offset_y
      - .offset:         88
        .size:           8
        .value_kind:     hidden_global_offset_z
      - .offset:         96
        .size:           2
        .value_kind:     hidden_grid_dims
    .group_segment_fixed_size: 0
    .kernarg_segment_align: 8
    .kernarg_segment_size: 288
    .language:       OpenCL C
    .language_version:
      - 2
      - 0
    .max_flat_workgroup_size: 1024
    .name:           _ZN4vllm18convert_fp8_kernelI14__hip_bfloat16hLNS_18Fp8KVCacheDataTypeE1EEEvPKT0_PT_fl
    .private_segment_fixed_size: 0
    .sgpr_count:     18
    .sgpr_spill_count: 0
    .symbol:         _ZN4vllm18convert_fp8_kernelI14__hip_bfloat16hLNS_18Fp8KVCacheDataTypeE1EEEvPKT0_PT_fl.kd
    .uniform_work_group_size: 1
    .uses_dynamic_stack: false
    .vgpr_count:     9
    .vgpr_spill_count: 0
    .wavefront_size: 32
    .workgroup_processor_mode: 1
  - .args:
      - .actual_access:  read_only
        .address_space:  global
        .offset:         0
        .size:           8
        .value_kind:     global_buffer
      - .actual_access:  write_only
        .address_space:  global
        .offset:         8
        .size:           8
        .value_kind:     global_buffer
      - .actual_access:  read_only
        .address_space:  global
        .offset:         16
        .size:           8
        .value_kind:     global_buffer
      - .actual_access:  read_only
        .address_space:  global
        .offset:         24
        .size:           8
        .value_kind:     global_buffer
      - .actual_access:  read_only
        .address_space:  global
        .offset:         32
        .size:           8
        .value_kind:     global_buffer
      - .offset:         40
        .size:           4
        .value_kind:     by_value
      - .offset:         44
        .size:           4
        .value_kind:     by_value
      - .offset:         48
        .size:           8
        .value_kind:     by_value
      - .offset:         56
        .size:           8
        .value_kind:     by_value
      - .offset:         64
        .size:           8
        .value_kind:     by_value
      - .offset:         72
        .size:           8
        .value_kind:     by_value
      - .actual_access:  read_only
        .address_space:  global
        .offset:         80
        .size:           8
        .value_kind:     global_buffer
      - .actual_access:  read_only
        .address_space:  global
        .offset:         88
        .size:           8
        .value_kind:     global_buffer
      - .offset:         96
        .size:           4
        .value_kind:     hidden_block_count_x
      - .offset:         100
        .size:           4
        .value_kind:     hidden_block_count_y
      - .offset:         104
        .size:           4
        .value_kind:     hidden_block_count_z
      - .offset:         108
        .size:           2
        .value_kind:     hidden_group_size_x
      - .offset:         110
        .size:           2
        .value_kind:     hidden_group_size_y
      - .offset:         112
        .size:           2
        .value_kind:     hidden_group_size_z
      - .offset:         114
        .size:           2
        .value_kind:     hidden_remainder_x
      - .offset:         116
        .size:           2
        .value_kind:     hidden_remainder_y
      - .offset:         118
        .size:           2
        .value_kind:     hidden_remainder_z
      - .offset:         136
        .size:           8
        .value_kind:     hidden_global_offset_x
      - .offset:         144
        .size:           8
        .value_kind:     hidden_global_offset_y
      - .offset:         152
        .size:           8
        .value_kind:     hidden_global_offset_z
      - .offset:         160
        .size:           2
        .value_kind:     hidden_grid_dims
      - .offset:         176
        .size:           8
        .value_kind:     hidden_hostcall_buffer
    .group_segment_fixed_size: 0
    .kernarg_segment_align: 8
    .kernarg_segment_size: 352
    .language:       OpenCL C
    .language_version:
      - 2
      - 0
    .max_flat_workgroup_size: 1024
    .name:           _ZN4vllm30gather_and_maybe_dequant_cacheIffLNS_18Fp8KVCacheDataTypeE0ELi576ELi64EEEvPKT0_PT_PKiS8_S8_iillllPKfS8_
    .private_segment_fixed_size: 64
    .sgpr_count:     38
    .sgpr_spill_count: 0
    .symbol:         _ZN4vllm30gather_and_maybe_dequant_cacheIffLNS_18Fp8KVCacheDataTypeE0ELi576ELi64EEEvPKT0_PT_PKiS8_S8_iillllPKfS8_.kd
    .uniform_work_group_size: 1
    .uses_dynamic_stack: false
    .vgpr_count:     53
    .vgpr_spill_count: 0
    .wavefront_size: 32
    .workgroup_processor_mode: 1
  - .args:
      - .actual_access:  read_only
        .address_space:  global
        .offset:         0
        .size:           8
        .value_kind:     global_buffer
      - .actual_access:  write_only
        .address_space:  global
        .offset:         8
        .size:           8
        .value_kind:     global_buffer
      - .actual_access:  read_only
        .address_space:  global
        .offset:         16
        .size:           8
        .value_kind:     global_buffer
      - .actual_access:  read_only
        .address_space:  global
        .offset:         24
        .size:           8
        .value_kind:     global_buffer
      - .actual_access:  read_only
        .address_space:  global
        .offset:         32
        .size:           8
        .value_kind:     global_buffer
      - .offset:         40
        .size:           4
        .value_kind:     by_value
      - .offset:         44
        .size:           4
        .value_kind:     by_value
      - .offset:         48
        .size:           8
        .value_kind:     by_value
      - .offset:         56
        .size:           8
        .value_kind:     by_value
      - .offset:         64
        .size:           8
        .value_kind:     by_value
      - .offset:         72
        .size:           8
        .value_kind:     by_value
      - .actual_access:  read_only
        .address_space:  global
        .offset:         80
        .size:           8
        .value_kind:     global_buffer
      - .actual_access:  read_only
        .address_space:  global
        .offset:         88
        .size:           8
        .value_kind:     global_buffer
      - .offset:         96
        .size:           4
        .value_kind:     hidden_block_count_x
      - .offset:         100
        .size:           4
        .value_kind:     hidden_block_count_y
      - .offset:         104
        .size:           4
        .value_kind:     hidden_block_count_z
      - .offset:         108
        .size:           2
        .value_kind:     hidden_group_size_x
      - .offset:         110
        .size:           2
        .value_kind:     hidden_group_size_y
      - .offset:         112
        .size:           2
        .value_kind:     hidden_group_size_z
      - .offset:         114
        .size:           2
        .value_kind:     hidden_remainder_x
      - .offset:         116
        .size:           2
        .value_kind:     hidden_remainder_y
      - .offset:         118
        .size:           2
        .value_kind:     hidden_remainder_z
      - .offset:         136
        .size:           8
        .value_kind:     hidden_global_offset_x
      - .offset:         144
        .size:           8
        .value_kind:     hidden_global_offset_y
      - .offset:         152
        .size:           8
        .value_kind:     hidden_global_offset_z
      - .offset:         160
        .size:           2
        .value_kind:     hidden_grid_dims
      - .offset:         176
        .size:           8
        .value_kind:     hidden_hostcall_buffer
    .group_segment_fixed_size: 0
    .kernarg_segment_align: 8
    .kernarg_segment_size: 352
    .language:       OpenCL C
    .language_version:
      - 2
      - 0
    .max_flat_workgroup_size: 1024
    .name:           _ZN4vllm30gather_and_maybe_dequant_cacheIttLNS_18Fp8KVCacheDataTypeE0ELi576ELi64EEEvPKT0_PT_PKiS8_S8_iillllPKfS8_
    .private_segment_fixed_size: 64
    .sgpr_count:     38
    .sgpr_spill_count: 0
    .symbol:         _ZN4vllm30gather_and_maybe_dequant_cacheIttLNS_18Fp8KVCacheDataTypeE0ELi576ELi64EEEvPKT0_PT_PKiS8_S8_iillllPKfS8_.kd
    .uniform_work_group_size: 1
    .uses_dynamic_stack: false
    .vgpr_count:     53
    .vgpr_spill_count: 0
    .wavefront_size: 32
    .workgroup_processor_mode: 1
  - .args:
      - .actual_access:  read_only
        .address_space:  global
        .offset:         0
        .size:           8
        .value_kind:     global_buffer
      - .actual_access:  write_only
        .address_space:  global
        .offset:         8
        .size:           8
        .value_kind:     global_buffer
      - .actual_access:  read_only
        .address_space:  global
        .offset:         16
        .size:           8
        .value_kind:     global_buffer
      - .actual_access:  read_only
        .address_space:  global
        .offset:         24
        .size:           8
        .value_kind:     global_buffer
      - .actual_access:  read_only
        .address_space:  global
        .offset:         32
        .size:           8
        .value_kind:     global_buffer
      - .offset:         40
        .size:           4
        .value_kind:     by_value
      - .offset:         44
        .size:           4
        .value_kind:     by_value
      - .offset:         48
        .size:           8
        .value_kind:     by_value
      - .offset:         56
        .size:           8
        .value_kind:     by_value
      - .offset:         64
        .size:           8
        .value_kind:     by_value
      - .offset:         72
        .size:           8
        .value_kind:     by_value
      - .actual_access:  read_only
        .address_space:  global
        .offset:         80
        .size:           8
        .value_kind:     global_buffer
      - .actual_access:  read_only
        .address_space:  global
        .offset:         88
        .size:           8
        .value_kind:     global_buffer
      - .offset:         96
        .size:           4
        .value_kind:     hidden_block_count_x
      - .offset:         100
        .size:           4
        .value_kind:     hidden_block_count_y
      - .offset:         104
        .size:           4
        .value_kind:     hidden_block_count_z
      - .offset:         108
        .size:           2
        .value_kind:     hidden_group_size_x
      - .offset:         110
        .size:           2
        .value_kind:     hidden_group_size_y
      - .offset:         112
        .size:           2
        .value_kind:     hidden_group_size_z
      - .offset:         114
        .size:           2
        .value_kind:     hidden_remainder_x
      - .offset:         116
        .size:           2
        .value_kind:     hidden_remainder_y
      - .offset:         118
        .size:           2
        .value_kind:     hidden_remainder_z
      - .offset:         136
        .size:           8
        .value_kind:     hidden_global_offset_x
      - .offset:         144
        .size:           8
        .value_kind:     hidden_global_offset_y
      - .offset:         152
        .size:           8
        .value_kind:     hidden_global_offset_z
      - .offset:         160
        .size:           2
        .value_kind:     hidden_grid_dims
      - .offset:         176
        .size:           8
        .value_kind:     hidden_hostcall_buffer
    .group_segment_fixed_size: 0
    .kernarg_segment_align: 8
    .kernarg_segment_size: 352
    .language:       OpenCL C
    .language_version:
      - 2
      - 0
    .max_flat_workgroup_size: 1024
    .name:           _ZN4vllm30gather_and_maybe_dequant_cacheI14__hip_bfloat16S1_LNS_18Fp8KVCacheDataTypeE0ELi576ELi64EEEvPKT0_PT_PKiS9_S9_iillllPKfS9_
    .private_segment_fixed_size: 64
    .sgpr_count:     38
    .sgpr_spill_count: 0
    .symbol:         _ZN4vllm30gather_and_maybe_dequant_cacheI14__hip_bfloat16S1_LNS_18Fp8KVCacheDataTypeE0ELi576ELi64EEEvPKT0_PT_PKiS9_S9_iillllPKfS9_.kd
    .uniform_work_group_size: 1
    .uses_dynamic_stack: false
    .vgpr_count:     53
    .vgpr_spill_count: 0
    .wavefront_size: 32
    .workgroup_processor_mode: 1
  - .args:
      - .actual_access:  read_only
        .address_space:  global
        .offset:         0
        .size:           8
        .value_kind:     global_buffer
      - .actual_access:  write_only
        .address_space:  global
        .offset:         8
        .size:           8
        .value_kind:     global_buffer
      - .actual_access:  read_only
        .address_space:  global
        .offset:         16
        .size:           8
        .value_kind:     global_buffer
      - .actual_access:  read_only
        .address_space:  global
        .offset:         24
        .size:           8
        .value_kind:     global_buffer
      - .actual_access:  read_only
        .address_space:  global
        .offset:         32
        .size:           8
        .value_kind:     global_buffer
      - .offset:         40
        .size:           4
        .value_kind:     by_value
      - .offset:         44
        .size:           4
        .value_kind:     by_value
      - .offset:         48
        .size:           8
        .value_kind:     by_value
      - .offset:         56
        .size:           8
        .value_kind:     by_value
      - .offset:         64
        .size:           8
        .value_kind:     by_value
      - .offset:         72
        .size:           8
        .value_kind:     by_value
      - .actual_access:  read_only
        .address_space:  global
        .offset:         80
        .size:           8
        .value_kind:     global_buffer
      - .actual_access:  read_only
        .address_space:  global
        .offset:         88
        .size:           8
        .value_kind:     global_buffer
      - .offset:         96
        .size:           4
        .value_kind:     hidden_block_count_x
      - .offset:         100
        .size:           4
        .value_kind:     hidden_block_count_y
      - .offset:         104
        .size:           4
        .value_kind:     hidden_block_count_z
      - .offset:         108
        .size:           2
        .value_kind:     hidden_group_size_x
      - .offset:         110
        .size:           2
        .value_kind:     hidden_group_size_y
      - .offset:         112
        .size:           2
        .value_kind:     hidden_group_size_z
      - .offset:         114
        .size:           2
        .value_kind:     hidden_remainder_x
      - .offset:         116
        .size:           2
        .value_kind:     hidden_remainder_y
      - .offset:         118
        .size:           2
        .value_kind:     hidden_remainder_z
      - .offset:         136
        .size:           8
        .value_kind:     hidden_global_offset_x
      - .offset:         144
        .size:           8
        .value_kind:     hidden_global_offset_y
      - .offset:         152
        .size:           8
        .value_kind:     hidden_global_offset_z
      - .offset:         160
        .size:           2
        .value_kind:     hidden_grid_dims
      - .offset:         176
        .size:           8
        .value_kind:     hidden_hostcall_buffer
    .group_segment_fixed_size: 0
    .kernarg_segment_align: 8
    .kernarg_segment_size: 352
    .language:       OpenCL C
    .language_version:
      - 2
      - 0
    .max_flat_workgroup_size: 1024
    .name:           _ZN4vllm30gather_and_maybe_dequant_cacheIfhLNS_18Fp8KVCacheDataTypeE1ELi576ELi64EEEvPKT0_PT_PKiS8_S8_iillllPKfS8_
    .private_segment_fixed_size: 64
    .sgpr_count:     38
    .sgpr_spill_count: 0
    .symbol:         _ZN4vllm30gather_and_maybe_dequant_cacheIfhLNS_18Fp8KVCacheDataTypeE1ELi576ELi64EEEvPKT0_PT_PKiS8_S8_iillllPKfS8_.kd
    .uniform_work_group_size: 1
    .uses_dynamic_stack: false
    .vgpr_count:     53
    .vgpr_spill_count: 0
    .wavefront_size: 32
    .workgroup_processor_mode: 1
  - .args:
      - .actual_access:  read_only
        .address_space:  global
        .offset:         0
        .size:           8
        .value_kind:     global_buffer
      - .actual_access:  write_only
        .address_space:  global
        .offset:         8
        .size:           8
        .value_kind:     global_buffer
      - .actual_access:  read_only
        .address_space:  global
        .offset:         16
        .size:           8
        .value_kind:     global_buffer
      - .actual_access:  read_only
        .address_space:  global
        .offset:         24
        .size:           8
        .value_kind:     global_buffer
      - .actual_access:  read_only
        .address_space:  global
        .offset:         32
        .size:           8
        .value_kind:     global_buffer
      - .offset:         40
        .size:           4
        .value_kind:     by_value
      - .offset:         44
        .size:           4
        .value_kind:     by_value
      - .offset:         48
        .size:           8
        .value_kind:     by_value
      - .offset:         56
        .size:           8
        .value_kind:     by_value
      - .offset:         64
        .size:           8
        .value_kind:     by_value
      - .offset:         72
        .size:           8
        .value_kind:     by_value
      - .actual_access:  read_only
        .address_space:  global
        .offset:         80
        .size:           8
        .value_kind:     global_buffer
      - .actual_access:  read_only
        .address_space:  global
        .offset:         88
        .size:           8
        .value_kind:     global_buffer
      - .offset:         96
        .size:           4
        .value_kind:     hidden_block_count_x
      - .offset:         100
        .size:           4
        .value_kind:     hidden_block_count_y
      - .offset:         104
        .size:           4
        .value_kind:     hidden_block_count_z
      - .offset:         108
        .size:           2
        .value_kind:     hidden_group_size_x
      - .offset:         110
        .size:           2
        .value_kind:     hidden_group_size_y
      - .offset:         112
        .size:           2
        .value_kind:     hidden_group_size_z
      - .offset:         114
        .size:           2
        .value_kind:     hidden_remainder_x
      - .offset:         116
        .size:           2
        .value_kind:     hidden_remainder_y
      - .offset:         118
        .size:           2
        .value_kind:     hidden_remainder_z
      - .offset:         136
        .size:           8
        .value_kind:     hidden_global_offset_x
      - .offset:         144
        .size:           8
        .value_kind:     hidden_global_offset_y
      - .offset:         152
        .size:           8
        .value_kind:     hidden_global_offset_z
      - .offset:         160
        .size:           2
        .value_kind:     hidden_grid_dims
      - .offset:         176
        .size:           8
        .value_kind:     hidden_hostcall_buffer
    .group_segment_fixed_size: 0
    .kernarg_segment_align: 8
    .kernarg_segment_size: 352
    .language:       OpenCL C
    .language_version:
      - 2
      - 0
    .max_flat_workgroup_size: 1024
    .name:           _ZN4vllm30gather_and_maybe_dequant_cacheIthLNS_18Fp8KVCacheDataTypeE1ELi576ELi64EEEvPKT0_PT_PKiS8_S8_iillllPKfS8_
    .private_segment_fixed_size: 64
    .sgpr_count:     40
    .sgpr_spill_count: 0
    .symbol:         _ZN4vllm30gather_and_maybe_dequant_cacheIthLNS_18Fp8KVCacheDataTypeE1ELi576ELi64EEEvPKT0_PT_PKiS8_S8_iillllPKfS8_.kd
    .uniform_work_group_size: 1
    .uses_dynamic_stack: false
    .vgpr_count:     53
    .vgpr_spill_count: 0
    .wavefront_size: 32
    .workgroup_processor_mode: 1
  - .args:
      - .actual_access:  read_only
        .address_space:  global
        .offset:         0
        .size:           8
        .value_kind:     global_buffer
      - .actual_access:  write_only
        .address_space:  global
        .offset:         8
        .size:           8
        .value_kind:     global_buffer
      - .actual_access:  read_only
        .address_space:  global
        .offset:         16
        .size:           8
        .value_kind:     global_buffer
      - .actual_access:  read_only
        .address_space:  global
        .offset:         24
        .size:           8
        .value_kind:     global_buffer
      - .actual_access:  read_only
        .address_space:  global
        .offset:         32
        .size:           8
        .value_kind:     global_buffer
      - .offset:         40
        .size:           4
        .value_kind:     by_value
      - .offset:         44
        .size:           4
        .value_kind:     by_value
      - .offset:         48
        .size:           8
        .value_kind:     by_value
      - .offset:         56
        .size:           8
        .value_kind:     by_value
      - .offset:         64
        .size:           8
        .value_kind:     by_value
      - .offset:         72
        .size:           8
        .value_kind:     by_value
      - .actual_access:  read_only
        .address_space:  global
        .offset:         80
        .size:           8
        .value_kind:     global_buffer
      - .actual_access:  read_only
        .address_space:  global
        .offset:         88
        .size:           8
        .value_kind:     global_buffer
      - .offset:         96
        .size:           4
        .value_kind:     hidden_block_count_x
      - .offset:         100
        .size:           4
        .value_kind:     hidden_block_count_y
      - .offset:         104
        .size:           4
        .value_kind:     hidden_block_count_z
      - .offset:         108
        .size:           2
        .value_kind:     hidden_group_size_x
      - .offset:         110
        .size:           2
        .value_kind:     hidden_group_size_y
      - .offset:         112
        .size:           2
        .value_kind:     hidden_group_size_z
      - .offset:         114
        .size:           2
        .value_kind:     hidden_remainder_x
      - .offset:         116
        .size:           2
        .value_kind:     hidden_remainder_y
      - .offset:         118
        .size:           2
        .value_kind:     hidden_remainder_z
      - .offset:         136
        .size:           8
        .value_kind:     hidden_global_offset_x
      - .offset:         144
        .size:           8
        .value_kind:     hidden_global_offset_y
      - .offset:         152
        .size:           8
        .value_kind:     hidden_global_offset_z
      - .offset:         160
        .size:           2
        .value_kind:     hidden_grid_dims
      - .offset:         176
        .size:           8
        .value_kind:     hidden_hostcall_buffer
    .group_segment_fixed_size: 0
    .kernarg_segment_align: 8
    .kernarg_segment_size: 352
    .language:       OpenCL C
    .language_version:
      - 2
      - 0
    .max_flat_workgroup_size: 1024
    .name:           _ZN4vllm30gather_and_maybe_dequant_cacheI14__hip_bfloat16hLNS_18Fp8KVCacheDataTypeE1ELi576ELi64EEEvPKT0_PT_PKiS9_S9_iillllPKfS9_
    .private_segment_fixed_size: 64
    .sgpr_count:     40
    .sgpr_spill_count: 0
    .symbol:         _ZN4vllm30gather_and_maybe_dequant_cacheI14__hip_bfloat16hLNS_18Fp8KVCacheDataTypeE1ELi576ELi64EEEvPKT0_PT_PKiS9_S9_iillllPKfS9_.kd
    .uniform_work_group_size: 1
    .uses_dynamic_stack: false
    .vgpr_count:     53
    .vgpr_spill_count: 0
    .wavefront_size: 32
    .workgroup_processor_mode: 1
  - .args:
      - .actual_access:  read_only
        .address_space:  global
        .offset:         0
        .size:           8
        .value_kind:     global_buffer
      - .actual_access:  write_only
        .address_space:  global
        .offset:         8
        .size:           8
        .value_kind:     global_buffer
      - .actual_access:  read_only
        .address_space:  global
        .offset:         16
        .size:           8
        .value_kind:     global_buffer
      - .actual_access:  read_only
        .address_space:  global
        .offset:         24
        .size:           8
        .value_kind:     global_buffer
      - .actual_access:  read_only
        .address_space:  global
        .offset:         32
        .size:           8
        .value_kind:     global_buffer
      - .offset:         40
        .size:           4
        .value_kind:     by_value
      - .offset:         44
        .size:           4
        .value_kind:     by_value
      - .offset:         48
        .size:           8
        .value_kind:     by_value
      - .offset:         56
        .size:           8
        .value_kind:     by_value
      - .offset:         64
        .size:           8
        .value_kind:     by_value
      - .offset:         72
        .size:           8
        .value_kind:     by_value
      - .actual_access:  read_only
        .address_space:  global
        .offset:         80
        .size:           8
        .value_kind:     global_buffer
      - .actual_access:  read_only
        .address_space:  global
        .offset:         88
        .size:           8
        .value_kind:     global_buffer
      - .offset:         96
        .size:           4
        .value_kind:     hidden_block_count_x
      - .offset:         100
        .size:           4
        .value_kind:     hidden_block_count_y
      - .offset:         104
        .size:           4
        .value_kind:     hidden_block_count_z
      - .offset:         108
        .size:           2
        .value_kind:     hidden_group_size_x
      - .offset:         110
        .size:           2
        .value_kind:     hidden_group_size_y
      - .offset:         112
        .size:           2
        .value_kind:     hidden_group_size_z
      - .offset:         114
        .size:           2
        .value_kind:     hidden_remainder_x
      - .offset:         116
        .size:           2
        .value_kind:     hidden_remainder_y
      - .offset:         118
        .size:           2
        .value_kind:     hidden_remainder_z
      - .offset:         136
        .size:           8
        .value_kind:     hidden_global_offset_x
      - .offset:         144
        .size:           8
        .value_kind:     hidden_global_offset_y
      - .offset:         152
        .size:           8
        .value_kind:     hidden_global_offset_z
      - .offset:         160
        .size:           2
        .value_kind:     hidden_grid_dims
      - .offset:         176
        .size:           8
        .value_kind:     hidden_hostcall_buffer
    .group_segment_fixed_size: 0
    .kernarg_segment_align: 8
    .kernarg_segment_size: 352
    .language:       OpenCL C
    .language_version:
      - 2
      - 0
    .max_flat_workgroup_size: 1024
    .name:           _ZN4vllm30gather_and_maybe_dequant_cacheIffLNS_18Fp8KVCacheDataTypeE0ELi320ELi64EEEvPKT0_PT_PKiS8_S8_iillllPKfS8_
    .private_segment_fixed_size: 64
    .sgpr_count:     38
    .sgpr_spill_count: 0
    .symbol:         _ZN4vllm30gather_and_maybe_dequant_cacheIffLNS_18Fp8KVCacheDataTypeE0ELi320ELi64EEEvPKT0_PT_PKiS8_S8_iillllPKfS8_.kd
    .uniform_work_group_size: 1
    .uses_dynamic_stack: false
    .vgpr_count:     53
    .vgpr_spill_count: 0
    .wavefront_size: 32
    .workgroup_processor_mode: 1
  - .args:
      - .actual_access:  read_only
        .address_space:  global
        .offset:         0
        .size:           8
        .value_kind:     global_buffer
      - .actual_access:  write_only
        .address_space:  global
        .offset:         8
        .size:           8
        .value_kind:     global_buffer
      - .actual_access:  read_only
        .address_space:  global
        .offset:         16
        .size:           8
        .value_kind:     global_buffer
      - .actual_access:  read_only
        .address_space:  global
        .offset:         24
        .size:           8
        .value_kind:     global_buffer
      - .actual_access:  read_only
        .address_space:  global
        .offset:         32
        .size:           8
        .value_kind:     global_buffer
      - .offset:         40
        .size:           4
        .value_kind:     by_value
      - .offset:         44
        .size:           4
        .value_kind:     by_value
      - .offset:         48
        .size:           8
        .value_kind:     by_value
      - .offset:         56
        .size:           8
        .value_kind:     by_value
      - .offset:         64
        .size:           8
        .value_kind:     by_value
      - .offset:         72
        .size:           8
        .value_kind:     by_value
      - .actual_access:  read_only
        .address_space:  global
        .offset:         80
        .size:           8
        .value_kind:     global_buffer
      - .actual_access:  read_only
        .address_space:  global
        .offset:         88
        .size:           8
        .value_kind:     global_buffer
      - .offset:         96
        .size:           4
        .value_kind:     hidden_block_count_x
      - .offset:         100
        .size:           4
        .value_kind:     hidden_block_count_y
      - .offset:         104
        .size:           4
        .value_kind:     hidden_block_count_z
      - .offset:         108
        .size:           2
        .value_kind:     hidden_group_size_x
      - .offset:         110
        .size:           2
        .value_kind:     hidden_group_size_y
      - .offset:         112
        .size:           2
        .value_kind:     hidden_group_size_z
      - .offset:         114
        .size:           2
        .value_kind:     hidden_remainder_x
      - .offset:         116
        .size:           2
        .value_kind:     hidden_remainder_y
      - .offset:         118
        .size:           2
        .value_kind:     hidden_remainder_z
      - .offset:         136
        .size:           8
        .value_kind:     hidden_global_offset_x
      - .offset:         144
        .size:           8
        .value_kind:     hidden_global_offset_y
      - .offset:         152
        .size:           8
        .value_kind:     hidden_global_offset_z
      - .offset:         160
        .size:           2
        .value_kind:     hidden_grid_dims
      - .offset:         176
        .size:           8
        .value_kind:     hidden_hostcall_buffer
    .group_segment_fixed_size: 0
    .kernarg_segment_align: 8
    .kernarg_segment_size: 352
    .language:       OpenCL C
    .language_version:
      - 2
      - 0
    .max_flat_workgroup_size: 1024
    .name:           _ZN4vllm30gather_and_maybe_dequant_cacheIttLNS_18Fp8KVCacheDataTypeE0ELi320ELi64EEEvPKT0_PT_PKiS8_S8_iillllPKfS8_
    .private_segment_fixed_size: 64
    .sgpr_count:     38
    .sgpr_spill_count: 0
    .symbol:         _ZN4vllm30gather_and_maybe_dequant_cacheIttLNS_18Fp8KVCacheDataTypeE0ELi320ELi64EEEvPKT0_PT_PKiS8_S8_iillllPKfS8_.kd
    .uniform_work_group_size: 1
    .uses_dynamic_stack: false
    .vgpr_count:     53
    .vgpr_spill_count: 0
    .wavefront_size: 32
    .workgroup_processor_mode: 1
  - .args:
      - .actual_access:  read_only
        .address_space:  global
        .offset:         0
        .size:           8
        .value_kind:     global_buffer
      - .actual_access:  write_only
        .address_space:  global
        .offset:         8
        .size:           8
        .value_kind:     global_buffer
      - .actual_access:  read_only
        .address_space:  global
        .offset:         16
        .size:           8
        .value_kind:     global_buffer
      - .actual_access:  read_only
        .address_space:  global
        .offset:         24
        .size:           8
        .value_kind:     global_buffer
      - .actual_access:  read_only
        .address_space:  global
        .offset:         32
        .size:           8
        .value_kind:     global_buffer
      - .offset:         40
        .size:           4
        .value_kind:     by_value
      - .offset:         44
        .size:           4
        .value_kind:     by_value
      - .offset:         48
        .size:           8
        .value_kind:     by_value
      - .offset:         56
        .size:           8
        .value_kind:     by_value
      - .offset:         64
        .size:           8
        .value_kind:     by_value
      - .offset:         72
        .size:           8
        .value_kind:     by_value
      - .actual_access:  read_only
        .address_space:  global
        .offset:         80
        .size:           8
        .value_kind:     global_buffer
      - .actual_access:  read_only
        .address_space:  global
        .offset:         88
        .size:           8
        .value_kind:     global_buffer
      - .offset:         96
        .size:           4
        .value_kind:     hidden_block_count_x
      - .offset:         100
        .size:           4
        .value_kind:     hidden_block_count_y
      - .offset:         104
        .size:           4
        .value_kind:     hidden_block_count_z
      - .offset:         108
        .size:           2
        .value_kind:     hidden_group_size_x
      - .offset:         110
        .size:           2
        .value_kind:     hidden_group_size_y
      - .offset:         112
        .size:           2
        .value_kind:     hidden_group_size_z
      - .offset:         114
        .size:           2
        .value_kind:     hidden_remainder_x
      - .offset:         116
        .size:           2
        .value_kind:     hidden_remainder_y
      - .offset:         118
        .size:           2
        .value_kind:     hidden_remainder_z
      - .offset:         136
        .size:           8
        .value_kind:     hidden_global_offset_x
      - .offset:         144
        .size:           8
        .value_kind:     hidden_global_offset_y
      - .offset:         152
        .size:           8
        .value_kind:     hidden_global_offset_z
      - .offset:         160
        .size:           2
        .value_kind:     hidden_grid_dims
      - .offset:         176
        .size:           8
        .value_kind:     hidden_hostcall_buffer
    .group_segment_fixed_size: 0
    .kernarg_segment_align: 8
    .kernarg_segment_size: 352
    .language:       OpenCL C
    .language_version:
      - 2
      - 0
    .max_flat_workgroup_size: 1024
    .name:           _ZN4vllm30gather_and_maybe_dequant_cacheI14__hip_bfloat16S1_LNS_18Fp8KVCacheDataTypeE0ELi320ELi64EEEvPKT0_PT_PKiS9_S9_iillllPKfS9_
    .private_segment_fixed_size: 64
    .sgpr_count:     38
    .sgpr_spill_count: 0
    .symbol:         _ZN4vllm30gather_and_maybe_dequant_cacheI14__hip_bfloat16S1_LNS_18Fp8KVCacheDataTypeE0ELi320ELi64EEEvPKT0_PT_PKiS9_S9_iillllPKfS9_.kd
    .uniform_work_group_size: 1
    .uses_dynamic_stack: false
    .vgpr_count:     53
    .vgpr_spill_count: 0
    .wavefront_size: 32
    .workgroup_processor_mode: 1
  - .args:
      - .actual_access:  read_only
        .address_space:  global
        .offset:         0
        .size:           8
        .value_kind:     global_buffer
      - .actual_access:  write_only
        .address_space:  global
        .offset:         8
        .size:           8
        .value_kind:     global_buffer
      - .actual_access:  read_only
        .address_space:  global
        .offset:         16
        .size:           8
        .value_kind:     global_buffer
      - .actual_access:  read_only
        .address_space:  global
        .offset:         24
        .size:           8
        .value_kind:     global_buffer
      - .actual_access:  read_only
        .address_space:  global
        .offset:         32
        .size:           8
        .value_kind:     global_buffer
      - .offset:         40
        .size:           4
        .value_kind:     by_value
      - .offset:         44
        .size:           4
        .value_kind:     by_value
      - .offset:         48
        .size:           8
        .value_kind:     by_value
      - .offset:         56
        .size:           8
        .value_kind:     by_value
      - .offset:         64
        .size:           8
        .value_kind:     by_value
      - .offset:         72
        .size:           8
        .value_kind:     by_value
      - .actual_access:  read_only
        .address_space:  global
        .offset:         80
        .size:           8
        .value_kind:     global_buffer
      - .actual_access:  read_only
        .address_space:  global
        .offset:         88
        .size:           8
        .value_kind:     global_buffer
      - .offset:         96
        .size:           4
        .value_kind:     hidden_block_count_x
      - .offset:         100
        .size:           4
        .value_kind:     hidden_block_count_y
      - .offset:         104
        .size:           4
        .value_kind:     hidden_block_count_z
      - .offset:         108
        .size:           2
        .value_kind:     hidden_group_size_x
      - .offset:         110
        .size:           2
        .value_kind:     hidden_group_size_y
      - .offset:         112
        .size:           2
        .value_kind:     hidden_group_size_z
      - .offset:         114
        .size:           2
        .value_kind:     hidden_remainder_x
      - .offset:         116
        .size:           2
        .value_kind:     hidden_remainder_y
      - .offset:         118
        .size:           2
        .value_kind:     hidden_remainder_z
      - .offset:         136
        .size:           8
        .value_kind:     hidden_global_offset_x
      - .offset:         144
        .size:           8
        .value_kind:     hidden_global_offset_y
      - .offset:         152
        .size:           8
        .value_kind:     hidden_global_offset_z
      - .offset:         160
        .size:           2
        .value_kind:     hidden_grid_dims
      - .offset:         176
        .size:           8
        .value_kind:     hidden_hostcall_buffer
    .group_segment_fixed_size: 0
    .kernarg_segment_align: 8
    .kernarg_segment_size: 352
    .language:       OpenCL C
    .language_version:
      - 2
      - 0
    .max_flat_workgroup_size: 1024
    .name:           _ZN4vllm30gather_and_maybe_dequant_cacheIfhLNS_18Fp8KVCacheDataTypeE1ELi320ELi64EEEvPKT0_PT_PKiS8_S8_iillllPKfS8_
    .private_segment_fixed_size: 64
    .sgpr_count:     38
    .sgpr_spill_count: 0
    .symbol:         _ZN4vllm30gather_and_maybe_dequant_cacheIfhLNS_18Fp8KVCacheDataTypeE1ELi320ELi64EEEvPKT0_PT_PKiS8_S8_iillllPKfS8_.kd
    .uniform_work_group_size: 1
    .uses_dynamic_stack: false
    .vgpr_count:     53
    .vgpr_spill_count: 0
    .wavefront_size: 32
    .workgroup_processor_mode: 1
  - .args:
      - .actual_access:  read_only
        .address_space:  global
        .offset:         0
        .size:           8
        .value_kind:     global_buffer
      - .actual_access:  write_only
        .address_space:  global
        .offset:         8
        .size:           8
        .value_kind:     global_buffer
      - .actual_access:  read_only
        .address_space:  global
        .offset:         16
        .size:           8
        .value_kind:     global_buffer
      - .actual_access:  read_only
        .address_space:  global
        .offset:         24
        .size:           8
        .value_kind:     global_buffer
      - .actual_access:  read_only
        .address_space:  global
        .offset:         32
        .size:           8
        .value_kind:     global_buffer
      - .offset:         40
        .size:           4
        .value_kind:     by_value
      - .offset:         44
        .size:           4
        .value_kind:     by_value
      - .offset:         48
        .size:           8
        .value_kind:     by_value
      - .offset:         56
        .size:           8
        .value_kind:     by_value
      - .offset:         64
        .size:           8
        .value_kind:     by_value
      - .offset:         72
        .size:           8
        .value_kind:     by_value
      - .actual_access:  read_only
        .address_space:  global
        .offset:         80
        .size:           8
        .value_kind:     global_buffer
      - .actual_access:  read_only
        .address_space:  global
        .offset:         88
        .size:           8
        .value_kind:     global_buffer
      - .offset:         96
        .size:           4
        .value_kind:     hidden_block_count_x
      - .offset:         100
        .size:           4
        .value_kind:     hidden_block_count_y
      - .offset:         104
        .size:           4
        .value_kind:     hidden_block_count_z
      - .offset:         108
        .size:           2
        .value_kind:     hidden_group_size_x
      - .offset:         110
        .size:           2
        .value_kind:     hidden_group_size_y
      - .offset:         112
        .size:           2
        .value_kind:     hidden_group_size_z
      - .offset:         114
        .size:           2
        .value_kind:     hidden_remainder_x
      - .offset:         116
        .size:           2
        .value_kind:     hidden_remainder_y
      - .offset:         118
        .size:           2
        .value_kind:     hidden_remainder_z
      - .offset:         136
        .size:           8
        .value_kind:     hidden_global_offset_x
      - .offset:         144
        .size:           8
        .value_kind:     hidden_global_offset_y
      - .offset:         152
        .size:           8
        .value_kind:     hidden_global_offset_z
      - .offset:         160
        .size:           2
        .value_kind:     hidden_grid_dims
      - .offset:         176
        .size:           8
        .value_kind:     hidden_hostcall_buffer
    .group_segment_fixed_size: 0
    .kernarg_segment_align: 8
    .kernarg_segment_size: 352
    .language:       OpenCL C
    .language_version:
      - 2
      - 0
    .max_flat_workgroup_size: 1024
    .name:           _ZN4vllm30gather_and_maybe_dequant_cacheIthLNS_18Fp8KVCacheDataTypeE1ELi320ELi64EEEvPKT0_PT_PKiS8_S8_iillllPKfS8_
    .private_segment_fixed_size: 64
    .sgpr_count:     42
    .sgpr_spill_count: 0
    .symbol:         _ZN4vllm30gather_and_maybe_dequant_cacheIthLNS_18Fp8KVCacheDataTypeE1ELi320ELi64EEEvPKT0_PT_PKiS8_S8_iillllPKfS8_.kd
    .uniform_work_group_size: 1
    .uses_dynamic_stack: false
    .vgpr_count:     53
    .vgpr_spill_count: 0
    .wavefront_size: 32
    .workgroup_processor_mode: 1
  - .args:
      - .actual_access:  read_only
        .address_space:  global
        .offset:         0
        .size:           8
        .value_kind:     global_buffer
      - .actual_access:  write_only
        .address_space:  global
        .offset:         8
        .size:           8
        .value_kind:     global_buffer
      - .actual_access:  read_only
        .address_space:  global
        .offset:         16
        .size:           8
        .value_kind:     global_buffer
      - .actual_access:  read_only
        .address_space:  global
        .offset:         24
        .size:           8
        .value_kind:     global_buffer
      - .actual_access:  read_only
        .address_space:  global
        .offset:         32
        .size:           8
        .value_kind:     global_buffer
      - .offset:         40
        .size:           4
        .value_kind:     by_value
      - .offset:         44
        .size:           4
        .value_kind:     by_value
      - .offset:         48
        .size:           8
        .value_kind:     by_value
      - .offset:         56
        .size:           8
        .value_kind:     by_value
      - .offset:         64
        .size:           8
        .value_kind:     by_value
      - .offset:         72
        .size:           8
        .value_kind:     by_value
      - .actual_access:  read_only
        .address_space:  global
        .offset:         80
        .size:           8
        .value_kind:     global_buffer
      - .actual_access:  read_only
        .address_space:  global
        .offset:         88
        .size:           8
        .value_kind:     global_buffer
      - .offset:         96
        .size:           4
        .value_kind:     hidden_block_count_x
      - .offset:         100
        .size:           4
        .value_kind:     hidden_block_count_y
      - .offset:         104
        .size:           4
        .value_kind:     hidden_block_count_z
      - .offset:         108
        .size:           2
        .value_kind:     hidden_group_size_x
      - .offset:         110
        .size:           2
        .value_kind:     hidden_group_size_y
      - .offset:         112
        .size:           2
        .value_kind:     hidden_group_size_z
      - .offset:         114
        .size:           2
        .value_kind:     hidden_remainder_x
      - .offset:         116
        .size:           2
        .value_kind:     hidden_remainder_y
      - .offset:         118
        .size:           2
        .value_kind:     hidden_remainder_z
      - .offset:         136
        .size:           8
        .value_kind:     hidden_global_offset_x
      - .offset:         144
        .size:           8
        .value_kind:     hidden_global_offset_y
      - .offset:         152
        .size:           8
        .value_kind:     hidden_global_offset_z
      - .offset:         160
        .size:           2
        .value_kind:     hidden_grid_dims
      - .offset:         176
        .size:           8
        .value_kind:     hidden_hostcall_buffer
    .group_segment_fixed_size: 0
    .kernarg_segment_align: 8
    .kernarg_segment_size: 352
    .language:       OpenCL C
    .language_version:
      - 2
      - 0
    .max_flat_workgroup_size: 1024
    .name:           _ZN4vllm30gather_and_maybe_dequant_cacheI14__hip_bfloat16hLNS_18Fp8KVCacheDataTypeE1ELi320ELi64EEEvPKT0_PT_PKiS9_S9_iillllPKfS9_
    .private_segment_fixed_size: 64
    .sgpr_count:     42
    .sgpr_spill_count: 0
    .symbol:         _ZN4vllm30gather_and_maybe_dequant_cacheI14__hip_bfloat16hLNS_18Fp8KVCacheDataTypeE1ELi320ELi64EEEvPKT0_PT_PKiS9_S9_iillllPKfS9_.kd
    .uniform_work_group_size: 1
    .uses_dynamic_stack: false
    .vgpr_count:     53
    .vgpr_spill_count: 0
    .wavefront_size: 32
    .workgroup_processor_mode: 1
  - .args:
      - .actual_access:  read_only
        .address_space:  global
        .offset:         0
        .size:           8
        .value_kind:     global_buffer
      - .actual_access:  write_only
        .address_space:  global
        .offset:         8
        .size:           8
        .value_kind:     global_buffer
      - .actual_access:  read_only
        .address_space:  global
        .offset:         16
        .size:           8
        .value_kind:     global_buffer
      - .actual_access:  read_only
        .address_space:  global
        .offset:         24
        .size:           8
        .value_kind:     global_buffer
      - .offset:         32
        .size:           4
        .value_kind:     by_value
      - .offset:         36
        .size:           4
        .value_kind:     by_value
      - .offset:         40
        .size:           8
        .value_kind:     by_value
      - .offset:         48
        .size:           8
        .value_kind:     by_value
      - .offset:         56
        .size:           8
        .value_kind:     by_value
      - .offset:         64
        .size:           8
        .value_kind:     by_value
      - .actual_access:  read_only
        .address_space:  global
        .offset:         72
        .size:           8
        .value_kind:     global_buffer
      - .offset:         80
        .size:           4
        .value_kind:     hidden_block_count_x
      - .offset:         84
        .size:           4
        .value_kind:     hidden_block_count_y
      - .offset:         88
        .size:           4
        .value_kind:     hidden_block_count_z
      - .offset:         92
        .size:           2
        .value_kind:     hidden_group_size_x
      - .offset:         94
        .size:           2
        .value_kind:     hidden_group_size_y
      - .offset:         96
        .size:           2
        .value_kind:     hidden_group_size_z
      - .offset:         98
        .size:           2
        .value_kind:     hidden_remainder_x
      - .offset:         100
        .size:           2
        .value_kind:     hidden_remainder_y
      - .offset:         102
        .size:           2
        .value_kind:     hidden_remainder_z
      - .offset:         120
        .size:           8
        .value_kind:     hidden_global_offset_x
      - .offset:         128
        .size:           8
        .value_kind:     hidden_global_offset_y
      - .offset:         136
        .size:           8
        .value_kind:     hidden_global_offset_z
      - .offset:         144
        .size:           2
        .value_kind:     hidden_grid_dims
    .group_segment_fixed_size: 0
    .kernarg_segment_align: 8
    .kernarg_segment_size: 336
    .language:       OpenCL C
    .language_version:
      - 2
      - 0
    .max_flat_workgroup_size: 1024
    .name:           _ZN4vllm15cp_gather_cacheIjEEvPKT_PS1_PKiS6_iillllS6_
    .private_segment_fixed_size: 0
    .sgpr_count:     32
    .sgpr_spill_count: 0
    .symbol:         _ZN4vllm15cp_gather_cacheIjEEvPKT_PS1_PKiS6_iillllS6_.kd
    .uniform_work_group_size: 1
    .uses_dynamic_stack: false
    .vgpr_count:     6
    .vgpr_spill_count: 0
    .wavefront_size: 32
    .workgroup_processor_mode: 1
  - .args:
      - .actual_access:  read_only
        .address_space:  global
        .offset:         0
        .size:           8
        .value_kind:     global_buffer
      - .actual_access:  write_only
        .address_space:  global
        .offset:         8
        .size:           8
        .value_kind:     global_buffer
      - .actual_access:  read_only
        .address_space:  global
        .offset:         16
        .size:           8
        .value_kind:     global_buffer
      - .actual_access:  read_only
        .address_space:  global
        .offset:         24
        .size:           8
        .value_kind:     global_buffer
      - .offset:         32
        .size:           4
        .value_kind:     by_value
      - .offset:         36
        .size:           4
        .value_kind:     by_value
      - .offset:         40
        .size:           8
        .value_kind:     by_value
      - .offset:         48
        .size:           8
        .value_kind:     by_value
      - .offset:         56
        .size:           8
        .value_kind:     by_value
      - .offset:         64
        .size:           8
        .value_kind:     by_value
      - .actual_access:  read_only
        .address_space:  global
        .offset:         72
        .size:           8
        .value_kind:     global_buffer
      - .offset:         80
        .size:           4
        .value_kind:     hidden_block_count_x
      - .offset:         84
        .size:           4
        .value_kind:     hidden_block_count_y
      - .offset:         88
        .size:           4
        .value_kind:     hidden_block_count_z
      - .offset:         92
        .size:           2
        .value_kind:     hidden_group_size_x
      - .offset:         94
        .size:           2
        .value_kind:     hidden_group_size_y
      - .offset:         96
        .size:           2
        .value_kind:     hidden_group_size_z
      - .offset:         98
        .size:           2
        .value_kind:     hidden_remainder_x
      - .offset:         100
        .size:           2
        .value_kind:     hidden_remainder_y
      - .offset:         102
        .size:           2
        .value_kind:     hidden_remainder_z
      - .offset:         120
        .size:           8
        .value_kind:     hidden_global_offset_x
      - .offset:         128
        .size:           8
        .value_kind:     hidden_global_offset_y
      - .offset:         136
        .size:           8
        .value_kind:     hidden_global_offset_z
      - .offset:         144
        .size:           2
        .value_kind:     hidden_grid_dims
    .group_segment_fixed_size: 0
    .kernarg_segment_align: 8
    .kernarg_segment_size: 336
    .language:       OpenCL C
    .language_version:
      - 2
      - 0
    .max_flat_workgroup_size: 1024
    .name:           _ZN4vllm15cp_gather_cacheItEEvPKT_PS1_PKiS6_iillllS6_
    .private_segment_fixed_size: 0
    .sgpr_count:     32
    .sgpr_spill_count: 0
    .symbol:         _ZN4vllm15cp_gather_cacheItEEvPKT_PS1_PKiS6_iillllS6_.kd
    .uniform_work_group_size: 1
    .uses_dynamic_stack: false
    .vgpr_count:     6
    .vgpr_spill_count: 0
    .wavefront_size: 32
    .workgroup_processor_mode: 1
  - .args:
      - .actual_access:  read_only
        .address_space:  global
        .offset:         0
        .size:           8
        .value_kind:     global_buffer
      - .actual_access:  write_only
        .address_space:  global
        .offset:         8
        .size:           8
        .value_kind:     global_buffer
      - .actual_access:  read_only
        .address_space:  global
        .offset:         16
        .size:           8
        .value_kind:     global_buffer
      - .actual_access:  read_only
        .address_space:  global
        .offset:         24
        .size:           8
        .value_kind:     global_buffer
      - .offset:         32
        .size:           4
        .value_kind:     by_value
      - .offset:         36
        .size:           4
        .value_kind:     by_value
      - .offset:         40
        .size:           8
        .value_kind:     by_value
      - .offset:         48
        .size:           8
        .value_kind:     by_value
      - .offset:         56
        .size:           8
        .value_kind:     by_value
      - .offset:         64
        .size:           8
        .value_kind:     by_value
      - .actual_access:  read_only
        .address_space:  global
        .offset:         72
        .size:           8
        .value_kind:     global_buffer
      - .offset:         80
        .size:           4
        .value_kind:     hidden_block_count_x
      - .offset:         84
        .size:           4
        .value_kind:     hidden_block_count_y
      - .offset:         88
        .size:           4
        .value_kind:     hidden_block_count_z
      - .offset:         92
        .size:           2
        .value_kind:     hidden_group_size_x
      - .offset:         94
        .size:           2
        .value_kind:     hidden_group_size_y
      - .offset:         96
        .size:           2
        .value_kind:     hidden_group_size_z
      - .offset:         98
        .size:           2
        .value_kind:     hidden_remainder_x
      - .offset:         100
        .size:           2
        .value_kind:     hidden_remainder_y
      - .offset:         102
        .size:           2
        .value_kind:     hidden_remainder_z
      - .offset:         120
        .size:           8
        .value_kind:     hidden_global_offset_x
      - .offset:         128
        .size:           8
        .value_kind:     hidden_global_offset_y
      - .offset:         136
        .size:           8
        .value_kind:     hidden_global_offset_z
      - .offset:         144
        .size:           2
        .value_kind:     hidden_grid_dims
    .group_segment_fixed_size: 0
    .kernarg_segment_align: 8
    .kernarg_segment_size: 336
    .language:       OpenCL C
    .language_version:
      - 2
      - 0
    .max_flat_workgroup_size: 1024
    .name:           _ZN4vllm15cp_gather_cacheIhEEvPKT_PS1_PKiS6_iillllS6_
    .private_segment_fixed_size: 0
    .sgpr_count:     33
    .sgpr_spill_count: 0
    .symbol:         _ZN4vllm15cp_gather_cacheIhEEvPKT_PS1_PKiS6_iillllS6_.kd
    .uniform_work_group_size: 1
    .uses_dynamic_stack: false
    .vgpr_count:     6
    .vgpr_spill_count: 0
    .wavefront_size: 32
    .workgroup_processor_mode: 1
  - .args:
      - .actual_access:  read_only
        .address_space:  global
        .offset:         0
        .size:           8
        .value_kind:     global_buffer
      - .actual_access:  read_only
        .address_space:  global
        .offset:         8
        .size:           8
        .value_kind:     global_buffer
      - .actual_access:  read_only
        .address_space:  global
        .offset:         16
        .size:           8
        .value_kind:     global_buffer
      - .offset:         24
        .size:           4
        .value_kind:     by_value
      - .offset:         28
        .size:           4
        .value_kind:     by_value
      - .offset:         32
        .size:           4
        .value_kind:     by_value
      - .offset:         36
        .size:           4
        .value_kind:     by_value
      - .offset:         40
        .size:           1
        .value_kind:     by_value
      - .offset:         48
        .size:           4
        .value_kind:     hidden_block_count_x
      - .offset:         52
        .size:           4
        .value_kind:     hidden_block_count_y
      - .offset:         56
        .size:           4
        .value_kind:     hidden_block_count_z
      - .offset:         60
        .size:           2
        .value_kind:     hidden_group_size_x
      - .offset:         62
        .size:           2
        .value_kind:     hidden_group_size_y
      - .offset:         64
        .size:           2
        .value_kind:     hidden_group_size_z
      - .offset:         66
        .size:           2
        .value_kind:     hidden_remainder_x
      - .offset:         68
        .size:           2
        .value_kind:     hidden_remainder_y
      - .offset:         70
        .size:           2
        .value_kind:     hidden_remainder_z
      - .offset:         88
        .size:           8
        .value_kind:     hidden_global_offset_x
      - .offset:         96
        .size:           8
        .value_kind:     hidden_global_offset_y
      - .offset:         104
        .size:           8
        .value_kind:     hidden_global_offset_z
      - .offset:         112
        .size:           2
        .value_kind:     hidden_grid_dims
      - .offset:         128
        .size:           8
        .value_kind:     hidden_hostcall_buffer
    .group_segment_fixed_size: 0
    .kernarg_segment_align: 8
    .kernarg_segment_size: 304
    .language:       OpenCL C
    .language_version:
      - 2
      - 0
    .max_flat_workgroup_size: 1024
    .name:           _ZN4vllm32indexer_k_quant_and_cache_kernelIffLNS_18Fp8KVCacheDataTypeE0EEEvPKT_PT0_PKliiiib
    .private_segment_fixed_size: 64
    .sgpr_count:     36
    .sgpr_spill_count: 0
    .symbol:         _ZN4vllm32indexer_k_quant_and_cache_kernelIffLNS_18Fp8KVCacheDataTypeE0EEEvPKT_PT0_PKliiiib.kd
    .uniform_work_group_size: 1
    .uses_dynamic_stack: false
    .vgpr_count:     53
    .vgpr_spill_count: 0
    .wavefront_size: 32
    .workgroup_processor_mode: 1
  - .args:
      - .actual_access:  read_only
        .address_space:  global
        .offset:         0
        .size:           8
        .value_kind:     global_buffer
      - .actual_access:  read_only
        .address_space:  global
        .offset:         8
        .size:           8
        .value_kind:     global_buffer
      - .actual_access:  read_only
        .address_space:  global
        .offset:         16
        .size:           8
        .value_kind:     global_buffer
      - .offset:         24
        .size:           4
        .value_kind:     by_value
      - .offset:         28
        .size:           4
        .value_kind:     by_value
      - .offset:         32
        .size:           4
        .value_kind:     by_value
      - .offset:         36
        .size:           4
        .value_kind:     by_value
      - .offset:         40
        .size:           1
        .value_kind:     by_value
      - .offset:         48
        .size:           4
        .value_kind:     hidden_block_count_x
      - .offset:         52
        .size:           4
        .value_kind:     hidden_block_count_y
      - .offset:         56
        .size:           4
        .value_kind:     hidden_block_count_z
      - .offset:         60
        .size:           2
        .value_kind:     hidden_group_size_x
      - .offset:         62
        .size:           2
        .value_kind:     hidden_group_size_y
      - .offset:         64
        .size:           2
        .value_kind:     hidden_group_size_z
      - .offset:         66
        .size:           2
        .value_kind:     hidden_remainder_x
      - .offset:         68
        .size:           2
        .value_kind:     hidden_remainder_y
      - .offset:         70
        .size:           2
        .value_kind:     hidden_remainder_z
      - .offset:         88
        .size:           8
        .value_kind:     hidden_global_offset_x
      - .offset:         96
        .size:           8
        .value_kind:     hidden_global_offset_y
      - .offset:         104
        .size:           8
        .value_kind:     hidden_global_offset_z
      - .offset:         112
        .size:           2
        .value_kind:     hidden_grid_dims
      - .offset:         128
        .size:           8
        .value_kind:     hidden_hostcall_buffer
    .group_segment_fixed_size: 0
    .kernarg_segment_align: 8
    .kernarg_segment_size: 304
    .language:       OpenCL C
    .language_version:
      - 2
      - 0
    .max_flat_workgroup_size: 1024
    .name:           _ZN4vllm32indexer_k_quant_and_cache_kernelIttLNS_18Fp8KVCacheDataTypeE0EEEvPKT_PT0_PKliiiib
    .private_segment_fixed_size: 64
    .sgpr_count:     36
    .sgpr_spill_count: 0
    .symbol:         _ZN4vllm32indexer_k_quant_and_cache_kernelIttLNS_18Fp8KVCacheDataTypeE0EEEvPKT_PT0_PKliiiib.kd
    .uniform_work_group_size: 1
    .uses_dynamic_stack: false
    .vgpr_count:     53
    .vgpr_spill_count: 0
    .wavefront_size: 32
    .workgroup_processor_mode: 1
  - .args:
      - .actual_access:  read_only
        .address_space:  global
        .offset:         0
        .size:           8
        .value_kind:     global_buffer
      - .actual_access:  read_only
        .address_space:  global
        .offset:         8
        .size:           8
        .value_kind:     global_buffer
      - .actual_access:  read_only
        .address_space:  global
        .offset:         16
        .size:           8
        .value_kind:     global_buffer
      - .offset:         24
        .size:           4
        .value_kind:     by_value
      - .offset:         28
        .size:           4
        .value_kind:     by_value
      - .offset:         32
        .size:           4
        .value_kind:     by_value
      - .offset:         36
        .size:           4
        .value_kind:     by_value
      - .offset:         40
        .size:           1
        .value_kind:     by_value
      - .offset:         48
        .size:           4
        .value_kind:     hidden_block_count_x
      - .offset:         52
        .size:           4
        .value_kind:     hidden_block_count_y
      - .offset:         56
        .size:           4
        .value_kind:     hidden_block_count_z
      - .offset:         60
        .size:           2
        .value_kind:     hidden_group_size_x
      - .offset:         62
        .size:           2
        .value_kind:     hidden_group_size_y
      - .offset:         64
        .size:           2
        .value_kind:     hidden_group_size_z
      - .offset:         66
        .size:           2
        .value_kind:     hidden_remainder_x
      - .offset:         68
        .size:           2
        .value_kind:     hidden_remainder_y
      - .offset:         70
        .size:           2
        .value_kind:     hidden_remainder_z
      - .offset:         88
        .size:           8
        .value_kind:     hidden_global_offset_x
      - .offset:         96
        .size:           8
        .value_kind:     hidden_global_offset_y
      - .offset:         104
        .size:           8
        .value_kind:     hidden_global_offset_z
      - .offset:         112
        .size:           2
        .value_kind:     hidden_grid_dims
      - .offset:         128
        .size:           8
        .value_kind:     hidden_hostcall_buffer
    .group_segment_fixed_size: 0
    .kernarg_segment_align: 8
    .kernarg_segment_size: 304
    .language:       OpenCL C
    .language_version:
      - 2
      - 0
    .max_flat_workgroup_size: 1024
    .name:           _ZN4vllm32indexer_k_quant_and_cache_kernelI14__hip_bfloat16S1_LNS_18Fp8KVCacheDataTypeE0EEEvPKT_PT0_PKliiiib
    .private_segment_fixed_size: 64
    .sgpr_count:     36
    .sgpr_spill_count: 0
    .symbol:         _ZN4vllm32indexer_k_quant_and_cache_kernelI14__hip_bfloat16S1_LNS_18Fp8KVCacheDataTypeE0EEEvPKT_PT0_PKliiiib.kd
    .uniform_work_group_size: 1
    .uses_dynamic_stack: false
    .vgpr_count:     53
    .vgpr_spill_count: 0
    .wavefront_size: 32
    .workgroup_processor_mode: 1
  - .args:
      - .actual_access:  read_only
        .address_space:  global
        .offset:         0
        .size:           8
        .value_kind:     global_buffer
      - .actual_access:  read_only
        .address_space:  global
        .offset:         8
        .size:           8
        .value_kind:     global_buffer
      - .actual_access:  read_only
        .address_space:  global
        .offset:         16
        .size:           8
        .value_kind:     global_buffer
      - .offset:         24
        .size:           4
        .value_kind:     by_value
      - .offset:         28
        .size:           4
        .value_kind:     by_value
      - .offset:         32
        .size:           4
        .value_kind:     by_value
      - .offset:         36
        .size:           4
        .value_kind:     by_value
      - .offset:         40
        .size:           1
        .value_kind:     by_value
      - .offset:         48
        .size:           4
        .value_kind:     hidden_block_count_x
      - .offset:         52
        .size:           4
        .value_kind:     hidden_block_count_y
      - .offset:         56
        .size:           4
        .value_kind:     hidden_block_count_z
      - .offset:         60
        .size:           2
        .value_kind:     hidden_group_size_x
      - .offset:         62
        .size:           2
        .value_kind:     hidden_group_size_y
      - .offset:         64
        .size:           2
        .value_kind:     hidden_group_size_z
      - .offset:         66
        .size:           2
        .value_kind:     hidden_remainder_x
      - .offset:         68
        .size:           2
        .value_kind:     hidden_remainder_y
      - .offset:         70
        .size:           2
        .value_kind:     hidden_remainder_z
      - .offset:         88
        .size:           8
        .value_kind:     hidden_global_offset_x
      - .offset:         96
        .size:           8
        .value_kind:     hidden_global_offset_y
      - .offset:         104
        .size:           8
        .value_kind:     hidden_global_offset_z
      - .offset:         112
        .size:           2
        .value_kind:     hidden_grid_dims
    .group_segment_fixed_size: 0
    .kernarg_segment_align: 8
    .kernarg_segment_size: 304
    .language:       OpenCL C
    .language_version:
      - 2
      - 0
    .max_flat_workgroup_size: 1024
    .name:           _ZN4vllm32indexer_k_quant_and_cache_kernelIfhLNS_18Fp8KVCacheDataTypeE1EEEvPKT_PT0_PKliiiib
    .private_segment_fixed_size: 0
    .sgpr_count:     0
    .sgpr_spill_count: 0
    .symbol:         _ZN4vllm32indexer_k_quant_and_cache_kernelIfhLNS_18Fp8KVCacheDataTypeE1EEEvPKT_PT0_PKliiiib.kd
    .uniform_work_group_size: 1
    .uses_dynamic_stack: false
    .vgpr_count:     0
    .vgpr_spill_count: 0
    .wavefront_size: 32
    .workgroup_processor_mode: 1
  - .args:
      - .actual_access:  read_only
        .address_space:  global
        .offset:         0
        .size:           8
        .value_kind:     global_buffer
      - .actual_access:  write_only
        .address_space:  global
        .offset:         8
        .size:           8
        .value_kind:     global_buffer
      - .actual_access:  read_only
        .address_space:  global
        .offset:         16
        .size:           8
        .value_kind:     global_buffer
      - .offset:         24
        .size:           4
        .value_kind:     by_value
      - .offset:         28
        .size:           4
        .value_kind:     by_value
      - .offset:         32
        .size:           4
        .value_kind:     by_value
      - .offset:         36
        .size:           4
        .value_kind:     by_value
      - .offset:         40
        .size:           1
        .value_kind:     by_value
      - .offset:         48
        .size:           4
        .value_kind:     hidden_block_count_x
      - .offset:         52
        .size:           4
        .value_kind:     hidden_block_count_y
      - .offset:         56
        .size:           4
        .value_kind:     hidden_block_count_z
      - .offset:         60
        .size:           2
        .value_kind:     hidden_group_size_x
      - .offset:         62
        .size:           2
        .value_kind:     hidden_group_size_y
      - .offset:         64
        .size:           2
        .value_kind:     hidden_group_size_z
      - .offset:         66
        .size:           2
        .value_kind:     hidden_remainder_x
      - .offset:         68
        .size:           2
        .value_kind:     hidden_remainder_y
      - .offset:         70
        .size:           2
        .value_kind:     hidden_remainder_z
      - .offset:         88
        .size:           8
        .value_kind:     hidden_global_offset_x
      - .offset:         96
        .size:           8
        .value_kind:     hidden_global_offset_y
      - .offset:         104
        .size:           8
        .value_kind:     hidden_global_offset_z
      - .offset:         112
        .size:           2
        .value_kind:     hidden_grid_dims
    .group_segment_fixed_size: 0
    .kernarg_segment_align: 8
    .kernarg_segment_size: 304
    .language:       OpenCL C
    .language_version:
      - 2
      - 0
    .max_flat_workgroup_size: 1024
    .name:           _ZN4vllm32indexer_k_quant_and_cache_kernelIthLNS_18Fp8KVCacheDataTypeE1EEEvPKT_PT0_PKliiiib
    .private_segment_fixed_size: 0
    .sgpr_count:     27
    .sgpr_spill_count: 0
    .symbol:         _ZN4vllm32indexer_k_quant_and_cache_kernelIthLNS_18Fp8KVCacheDataTypeE1EEEvPKT_PT0_PKliiiib.kd
    .uniform_work_group_size: 1
    .uses_dynamic_stack: false
    .vgpr_count:     18
    .vgpr_spill_count: 0
    .wavefront_size: 32
    .workgroup_processor_mode: 1
  - .args:
      - .actual_access:  read_only
        .address_space:  global
        .offset:         0
        .size:           8
        .value_kind:     global_buffer
      - .actual_access:  write_only
        .address_space:  global
        .offset:         8
        .size:           8
        .value_kind:     global_buffer
      - .actual_access:  read_only
        .address_space:  global
        .offset:         16
        .size:           8
        .value_kind:     global_buffer
      - .offset:         24
        .size:           4
        .value_kind:     by_value
      - .offset:         28
        .size:           4
        .value_kind:     by_value
      - .offset:         32
        .size:           4
        .value_kind:     by_value
      - .offset:         36
        .size:           4
        .value_kind:     by_value
      - .offset:         40
        .size:           1
        .value_kind:     by_value
      - .offset:         48
        .size:           4
        .value_kind:     hidden_block_count_x
      - .offset:         52
        .size:           4
        .value_kind:     hidden_block_count_y
      - .offset:         56
        .size:           4
        .value_kind:     hidden_block_count_z
      - .offset:         60
        .size:           2
        .value_kind:     hidden_group_size_x
      - .offset:         62
        .size:           2
        .value_kind:     hidden_group_size_y
      - .offset:         64
        .size:           2
        .value_kind:     hidden_group_size_z
      - .offset:         66
        .size:           2
        .value_kind:     hidden_remainder_x
      - .offset:         68
        .size:           2
        .value_kind:     hidden_remainder_y
      - .offset:         70
        .size:           2
        .value_kind:     hidden_remainder_z
      - .offset:         88
        .size:           8
        .value_kind:     hidden_global_offset_x
      - .offset:         96
        .size:           8
        .value_kind:     hidden_global_offset_y
      - .offset:         104
        .size:           8
        .value_kind:     hidden_global_offset_z
      - .offset:         112
        .size:           2
        .value_kind:     hidden_grid_dims
    .group_segment_fixed_size: 0
    .kernarg_segment_align: 8
    .kernarg_segment_size: 304
    .language:       OpenCL C
    .language_version:
      - 2
      - 0
    .max_flat_workgroup_size: 1024
    .name:           _ZN4vllm32indexer_k_quant_and_cache_kernelI14__hip_bfloat16hLNS_18Fp8KVCacheDataTypeE1EEEvPKT_PT0_PKliiiib
    .private_segment_fixed_size: 0
    .sgpr_count:     27
    .sgpr_spill_count: 0
    .symbol:         _ZN4vllm32indexer_k_quant_and_cache_kernelI14__hip_bfloat16hLNS_18Fp8KVCacheDataTypeE1EEEvPKT_PT0_PKliiiib.kd
    .uniform_work_group_size: 1
    .uses_dynamic_stack: false
    .vgpr_count:     18
    .vgpr_spill_count: 0
    .wavefront_size: 32
    .workgroup_processor_mode: 1
  - .args:
      - .actual_access:  read_only
        .address_space:  global
        .offset:         0
        .size:           8
        .value_kind:     global_buffer
      - .actual_access:  write_only
        .address_space:  global
        .offset:         8
        .size:           8
        .value_kind:     global_buffer
      - .actual_access:  write_only
        .address_space:  global
        .offset:         16
        .size:           8
        .value_kind:     global_buffer
      - .actual_access:  read_only
        .address_space:  global
        .offset:         24
        .size:           8
        .value_kind:     global_buffer
      - .actual_access:  read_only
        .address_space:  global
        .offset:         32
        .size:           8
        .value_kind:     global_buffer
      - .offset:         40
        .size:           4
        .value_kind:     by_value
      - .offset:         48
        .size:           8
        .value_kind:     by_value
      - .offset:         56
        .size:           8
        .value_kind:     by_value
      - .offset:         64
        .size:           8
        .value_kind:     by_value
      - .offset:         72
        .size:           8
        .value_kind:     by_value
      - .offset:         80
        .size:           8
        .value_kind:     by_value
      - .offset:         88
        .size:           4
        .value_kind:     by_value
      - .offset:         92
        .size:           4
        .value_kind:     by_value
      - .offset:         96
        .size:           4
        .value_kind:     by_value
      - .offset:         104
        .size:           4
        .value_kind:     hidden_block_count_x
      - .offset:         108
        .size:           4
        .value_kind:     hidden_block_count_y
      - .offset:         112
        .size:           4
        .value_kind:     hidden_block_count_z
      - .offset:         116
        .size:           2
        .value_kind:     hidden_group_size_x
      - .offset:         118
        .size:           2
        .value_kind:     hidden_group_size_y
      - .offset:         120
        .size:           2
        .value_kind:     hidden_group_size_z
      - .offset:         122
        .size:           2
        .value_kind:     hidden_remainder_x
      - .offset:         124
        .size:           2
        .value_kind:     hidden_remainder_y
      - .offset:         126
        .size:           2
        .value_kind:     hidden_remainder_z
      - .offset:         144
        .size:           8
        .value_kind:     hidden_global_offset_x
      - .offset:         152
        .size:           8
        .value_kind:     hidden_global_offset_y
      - .offset:         160
        .size:           8
        .value_kind:     hidden_global_offset_z
      - .offset:         168
        .size:           2
        .value_kind:     hidden_grid_dims
    .group_segment_fixed_size: 4
    .kernarg_segment_align: 8
    .kernarg_segment_size: 360
    .language:       OpenCL C
    .language_version:
      - 2
      - 0
    .max_flat_workgroup_size: 1024
    .name:           _ZN4vllm38cp_gather_indexer_k_quant_cache_kernelILi1EEEvPKcPcS3_PKiS5_illllliii
    .private_segment_fixed_size: 0
    .sgpr_count:     28
    .sgpr_spill_count: 0
    .symbol:         _ZN4vllm38cp_gather_indexer_k_quant_cache_kernelILi1EEEvPKcPcS3_PKiS5_illllliii.kd
    .uniform_work_group_size: 1
    .uses_dynamic_stack: false
    .vgpr_count:     19
    .vgpr_spill_count: 0
    .wavefront_size: 32
    .workgroup_processor_mode: 1
  - .args:
      - .actual_access:  read_only
        .address_space:  global
        .offset:         0
        .size:           8
        .value_kind:     global_buffer
      - .actual_access:  write_only
        .address_space:  global
        .offset:         8
        .size:           8
        .value_kind:     global_buffer
      - .actual_access:  write_only
        .address_space:  global
        .offset:         16
        .size:           8
        .value_kind:     global_buffer
      - .actual_access:  read_only
        .address_space:  global
        .offset:         24
        .size:           8
        .value_kind:     global_buffer
      - .actual_access:  read_only
        .address_space:  global
        .offset:         32
        .size:           8
        .value_kind:     global_buffer
      - .offset:         40
        .size:           4
        .value_kind:     by_value
      - .offset:         48
        .size:           8
        .value_kind:     by_value
      - .offset:         56
        .size:           8
        .value_kind:     by_value
      - .offset:         64
        .size:           8
        .value_kind:     by_value
      - .offset:         72
        .size:           8
        .value_kind:     by_value
      - .offset:         80
        .size:           8
        .value_kind:     by_value
      - .offset:         88
        .size:           4
        .value_kind:     by_value
      - .offset:         92
        .size:           4
        .value_kind:     by_value
      - .offset:         96
        .size:           4
        .value_kind:     by_value
      - .offset:         104
        .size:           4
        .value_kind:     hidden_block_count_x
      - .offset:         108
        .size:           4
        .value_kind:     hidden_block_count_y
      - .offset:         112
        .size:           4
        .value_kind:     hidden_block_count_z
      - .offset:         116
        .size:           2
        .value_kind:     hidden_group_size_x
      - .offset:         118
        .size:           2
        .value_kind:     hidden_group_size_y
      - .offset:         120
        .size:           2
        .value_kind:     hidden_group_size_z
      - .offset:         122
        .size:           2
        .value_kind:     hidden_remainder_x
      - .offset:         124
        .size:           2
        .value_kind:     hidden_remainder_y
      - .offset:         126
        .size:           2
        .value_kind:     hidden_remainder_z
      - .offset:         144
        .size:           8
        .value_kind:     hidden_global_offset_x
      - .offset:         152
        .size:           8
        .value_kind:     hidden_global_offset_y
      - .offset:         160
        .size:           8
        .value_kind:     hidden_global_offset_z
      - .offset:         168
        .size:           2
        .value_kind:     hidden_grid_dims
    .group_segment_fixed_size: 8
    .kernarg_segment_align: 8
    .kernarg_segment_size: 360
    .language:       OpenCL C
    .language_version:
      - 2
      - 0
    .max_flat_workgroup_size: 1024
    .name:           _ZN4vllm38cp_gather_indexer_k_quant_cache_kernelILi2EEEvPKcPcS3_PKiS5_illllliii
    .private_segment_fixed_size: 0
    .sgpr_count:     28
    .sgpr_spill_count: 0
    .symbol:         _ZN4vllm38cp_gather_indexer_k_quant_cache_kernelILi2EEEvPKcPcS3_PKiS5_illllliii.kd
    .uniform_work_group_size: 1
    .uses_dynamic_stack: false
    .vgpr_count:     19
    .vgpr_spill_count: 0
    .wavefront_size: 32
    .workgroup_processor_mode: 1
  - .args:
      - .actual_access:  read_only
        .address_space:  global
        .offset:         0
        .size:           8
        .value_kind:     global_buffer
      - .actual_access:  write_only
        .address_space:  global
        .offset:         8
        .size:           8
        .value_kind:     global_buffer
      - .actual_access:  write_only
        .address_space:  global
        .offset:         16
        .size:           8
        .value_kind:     global_buffer
      - .actual_access:  read_only
        .address_space:  global
        .offset:         24
        .size:           8
        .value_kind:     global_buffer
      - .actual_access:  read_only
        .address_space:  global
        .offset:         32
        .size:           8
        .value_kind:     global_buffer
      - .offset:         40
        .size:           4
        .value_kind:     by_value
      - .offset:         48
        .size:           8
        .value_kind:     by_value
      - .offset:         56
        .size:           8
        .value_kind:     by_value
      - .offset:         64
        .size:           8
        .value_kind:     by_value
      - .offset:         72
        .size:           8
        .value_kind:     by_value
      - .offset:         80
        .size:           8
        .value_kind:     by_value
      - .offset:         88
        .size:           4
        .value_kind:     by_value
      - .offset:         92
        .size:           4
        .value_kind:     by_value
      - .offset:         96
        .size:           4
        .value_kind:     by_value
      - .offset:         104
        .size:           4
        .value_kind:     hidden_block_count_x
      - .offset:         108
        .size:           4
        .value_kind:     hidden_block_count_y
      - .offset:         112
        .size:           4
        .value_kind:     hidden_block_count_z
      - .offset:         116
        .size:           2
        .value_kind:     hidden_group_size_x
      - .offset:         118
        .size:           2
        .value_kind:     hidden_group_size_y
      - .offset:         120
        .size:           2
        .value_kind:     hidden_group_size_z
      - .offset:         122
        .size:           2
        .value_kind:     hidden_remainder_x
      - .offset:         124
        .size:           2
        .value_kind:     hidden_remainder_y
      - .offset:         126
        .size:           2
        .value_kind:     hidden_remainder_z
      - .offset:         144
        .size:           8
        .value_kind:     hidden_global_offset_x
      - .offset:         152
        .size:           8
        .value_kind:     hidden_global_offset_y
      - .offset:         160
        .size:           8
        .value_kind:     hidden_global_offset_z
      - .offset:         168
        .size:           2
        .value_kind:     hidden_grid_dims
    .group_segment_fixed_size: 16
    .kernarg_segment_align: 8
    .kernarg_segment_size: 360
    .language:       OpenCL C
    .language_version:
      - 2
      - 0
    .max_flat_workgroup_size: 1024
    .name:           _ZN4vllm38cp_gather_indexer_k_quant_cache_kernelILi4EEEvPKcPcS3_PKiS5_illllliii
    .private_segment_fixed_size: 0
    .sgpr_count:     28
    .sgpr_spill_count: 0
    .symbol:         _ZN4vllm38cp_gather_indexer_k_quant_cache_kernelILi4EEEvPKcPcS3_PKiS5_illllliii.kd
    .uniform_work_group_size: 1
    .uses_dynamic_stack: false
    .vgpr_count:     19
    .vgpr_spill_count: 0
    .wavefront_size: 32
    .workgroup_processor_mode: 1
  - .args:
      - .actual_access:  read_only
        .address_space:  global
        .offset:         0
        .size:           8
        .value_kind:     global_buffer
      - .actual_access:  write_only
        .address_space:  global
        .offset:         8
        .size:           8
        .value_kind:     global_buffer
      - .actual_access:  write_only
        .address_space:  global
        .offset:         16
        .size:           8
        .value_kind:     global_buffer
      - .actual_access:  read_only
        .address_space:  global
        .offset:         24
        .size:           8
        .value_kind:     global_buffer
      - .actual_access:  read_only
        .address_space:  global
        .offset:         32
        .size:           8
        .value_kind:     global_buffer
      - .offset:         40
        .size:           4
        .value_kind:     by_value
      - .offset:         48
        .size:           8
        .value_kind:     by_value
      - .offset:         56
        .size:           8
        .value_kind:     by_value
      - .offset:         64
        .size:           8
        .value_kind:     by_value
      - .offset:         72
        .size:           8
        .value_kind:     by_value
      - .offset:         80
        .size:           8
        .value_kind:     by_value
      - .offset:         88
        .size:           4
        .value_kind:     by_value
      - .offset:         92
        .size:           4
        .value_kind:     by_value
      - .offset:         96
        .size:           4
        .value_kind:     by_value
      - .offset:         104
        .size:           4
        .value_kind:     hidden_block_count_x
      - .offset:         108
        .size:           4
        .value_kind:     hidden_block_count_y
      - .offset:         112
        .size:           4
        .value_kind:     hidden_block_count_z
      - .offset:         116
        .size:           2
        .value_kind:     hidden_group_size_x
      - .offset:         118
        .size:           2
        .value_kind:     hidden_group_size_y
      - .offset:         120
        .size:           2
        .value_kind:     hidden_group_size_z
      - .offset:         122
        .size:           2
        .value_kind:     hidden_remainder_x
      - .offset:         124
        .size:           2
        .value_kind:     hidden_remainder_y
      - .offset:         126
        .size:           2
        .value_kind:     hidden_remainder_z
      - .offset:         144
        .size:           8
        .value_kind:     hidden_global_offset_x
      - .offset:         152
        .size:           8
        .value_kind:     hidden_global_offset_y
      - .offset:         160
        .size:           8
        .value_kind:     hidden_global_offset_z
      - .offset:         168
        .size:           2
        .value_kind:     hidden_grid_dims
    .group_segment_fixed_size: 32
    .kernarg_segment_align: 8
    .kernarg_segment_size: 360
    .language:       OpenCL C
    .language_version:
      - 2
      - 0
    .max_flat_workgroup_size: 1024
    .name:           _ZN4vllm38cp_gather_indexer_k_quant_cache_kernelILi8EEEvPKcPcS3_PKiS5_illllliii
    .private_segment_fixed_size: 0
    .sgpr_count:     28
    .sgpr_spill_count: 0
    .symbol:         _ZN4vllm38cp_gather_indexer_k_quant_cache_kernelILi8EEEvPKcPcS3_PKiS5_illllliii.kd
    .uniform_work_group_size: 1
    .uses_dynamic_stack: false
    .vgpr_count:     19
    .vgpr_spill_count: 0
    .wavefront_size: 32
    .workgroup_processor_mode: 1
  - .args:
      - .actual_access:  read_only
        .address_space:  global
        .offset:         0
        .size:           8
        .value_kind:     global_buffer
      - .actual_access:  write_only
        .address_space:  global
        .offset:         8
        .size:           8
        .value_kind:     global_buffer
      - .actual_access:  write_only
        .address_space:  global
        .offset:         16
        .size:           8
        .value_kind:     global_buffer
      - .actual_access:  read_only
        .address_space:  global
        .offset:         24
        .size:           8
        .value_kind:     global_buffer
      - .actual_access:  read_only
        .address_space:  global
        .offset:         32
        .size:           8
        .value_kind:     global_buffer
      - .offset:         40
        .size:           4
        .value_kind:     by_value
      - .offset:         48
        .size:           8
        .value_kind:     by_value
      - .offset:         56
        .size:           8
        .value_kind:     by_value
      - .offset:         64
        .size:           8
        .value_kind:     by_value
      - .offset:         72
        .size:           8
        .value_kind:     by_value
      - .offset:         80
        .size:           8
        .value_kind:     by_value
      - .offset:         88
        .size:           4
        .value_kind:     by_value
      - .offset:         92
        .size:           4
        .value_kind:     by_value
      - .offset:         96
        .size:           4
        .value_kind:     by_value
      - .offset:         104
        .size:           4
        .value_kind:     hidden_block_count_x
      - .offset:         108
        .size:           4
        .value_kind:     hidden_block_count_y
      - .offset:         112
        .size:           4
        .value_kind:     hidden_block_count_z
      - .offset:         116
        .size:           2
        .value_kind:     hidden_group_size_x
      - .offset:         118
        .size:           2
        .value_kind:     hidden_group_size_y
      - .offset:         120
        .size:           2
        .value_kind:     hidden_group_size_z
      - .offset:         122
        .size:           2
        .value_kind:     hidden_remainder_x
      - .offset:         124
        .size:           2
        .value_kind:     hidden_remainder_y
      - .offset:         126
        .size:           2
        .value_kind:     hidden_remainder_z
      - .offset:         144
        .size:           8
        .value_kind:     hidden_global_offset_x
      - .offset:         152
        .size:           8
        .value_kind:     hidden_global_offset_y
      - .offset:         160
        .size:           8
        .value_kind:     hidden_global_offset_z
      - .offset:         168
        .size:           2
        .value_kind:     hidden_grid_dims
    .group_segment_fixed_size: 64
    .kernarg_segment_align: 8
    .kernarg_segment_size: 360
    .language:       OpenCL C
    .language_version:
      - 2
      - 0
    .max_flat_workgroup_size: 1024
    .name:           _ZN4vllm38cp_gather_indexer_k_quant_cache_kernelILi16EEEvPKcPcS3_PKiS5_illllliii
    .private_segment_fixed_size: 0
    .sgpr_count:     28
    .sgpr_spill_count: 0
    .symbol:         _ZN4vllm38cp_gather_indexer_k_quant_cache_kernelILi16EEEvPKcPcS3_PKiS5_illllliii.kd
    .uniform_work_group_size: 1
    .uses_dynamic_stack: false
    .vgpr_count:     19
    .vgpr_spill_count: 0
    .wavefront_size: 32
    .workgroup_processor_mode: 1
  - .args:
      - .actual_access:  read_only
        .address_space:  global
        .offset:         0
        .size:           8
        .value_kind:     global_buffer
      - .actual_access:  write_only
        .address_space:  global
        .offset:         8
        .size:           8
        .value_kind:     global_buffer
      - .actual_access:  write_only
        .address_space:  global
        .offset:         16
        .size:           8
        .value_kind:     global_buffer
      - .actual_access:  read_only
        .address_space:  global
        .offset:         24
        .size:           8
        .value_kind:     global_buffer
      - .actual_access:  read_only
        .address_space:  global
        .offset:         32
        .size:           8
        .value_kind:     global_buffer
      - .offset:         40
        .size:           4
        .value_kind:     by_value
      - .offset:         48
        .size:           8
        .value_kind:     by_value
      - .offset:         56
        .size:           8
        .value_kind:     by_value
      - .offset:         64
        .size:           8
        .value_kind:     by_value
      - .offset:         72
        .size:           8
        .value_kind:     by_value
      - .offset:         80
        .size:           8
        .value_kind:     by_value
      - .offset:         88
        .size:           4
        .value_kind:     by_value
      - .offset:         92
        .size:           4
        .value_kind:     by_value
      - .offset:         96
        .size:           4
        .value_kind:     by_value
      - .offset:         104
        .size:           4
        .value_kind:     hidden_block_count_x
      - .offset:         108
        .size:           4
        .value_kind:     hidden_block_count_y
      - .offset:         112
        .size:           4
        .value_kind:     hidden_block_count_z
      - .offset:         116
        .size:           2
        .value_kind:     hidden_group_size_x
      - .offset:         118
        .size:           2
        .value_kind:     hidden_group_size_y
      - .offset:         120
        .size:           2
        .value_kind:     hidden_group_size_z
      - .offset:         122
        .size:           2
        .value_kind:     hidden_remainder_x
      - .offset:         124
        .size:           2
        .value_kind:     hidden_remainder_y
      - .offset:         126
        .size:           2
        .value_kind:     hidden_remainder_z
      - .offset:         144
        .size:           8
        .value_kind:     hidden_global_offset_x
      - .offset:         152
        .size:           8
        .value_kind:     hidden_global_offset_y
      - .offset:         160
        .size:           8
        .value_kind:     hidden_global_offset_z
      - .offset:         168
        .size:           2
        .value_kind:     hidden_grid_dims
    .group_segment_fixed_size: 128
    .kernarg_segment_align: 8
    .kernarg_segment_size: 360
    .language:       OpenCL C
    .language_version:
      - 2
      - 0
    .max_flat_workgroup_size: 1024
    .name:           _ZN4vllm38cp_gather_indexer_k_quant_cache_kernelILi32EEEvPKcPcS3_PKiS5_illllliii
    .private_segment_fixed_size: 0
    .sgpr_count:     28
    .sgpr_spill_count: 0
    .symbol:         _ZN4vllm38cp_gather_indexer_k_quant_cache_kernelILi32EEEvPKcPcS3_PKiS5_illllliii.kd
    .uniform_work_group_size: 1
    .uses_dynamic_stack: false
    .vgpr_count:     19
    .vgpr_spill_count: 0
    .wavefront_size: 32
    .workgroup_processor_mode: 1
  - .args:
      - .actual_access:  write_only
        .address_space:  global
        .offset:         0
        .size:           8
        .value_kind:     global_buffer
      - .actual_access:  read_only
        .address_space:  global
        .offset:         8
        .size:           8
        .value_kind:     global_buffer
      - .actual_access:  read_only
        .address_space:  global
        .offset:         16
        .size:           8
        .value_kind:     global_buffer
      - .offset:         24
        .size:           4
        .value_kind:     by_value
      - .offset:         28
        .size:           4
        .value_kind:     by_value
      - .offset:         32
        .size:           8
        .value_kind:     by_value
      - .offset:         40
        .size:           8
        .value_kind:     by_value
      - .offset:         48
        .size:           8
        .value_kind:     by_value
      - .offset:         56
        .size:           8
        .value_kind:     by_value
      - .offset:         64
        .size:           8
        .value_kind:     by_value
      - .offset:         72
        .size:           8
        .value_kind:     by_value
      - .offset:         80
        .size:           4
        .value_kind:     hidden_block_count_x
      - .offset:         84
        .size:           4
        .value_kind:     hidden_block_count_y
      - .offset:         88
        .size:           4
        .value_kind:     hidden_block_count_z
      - .offset:         92
        .size:           2
        .value_kind:     hidden_group_size_x
      - .offset:         94
        .size:           2
        .value_kind:     hidden_group_size_y
      - .offset:         96
        .size:           2
        .value_kind:     hidden_group_size_z
      - .offset:         98
        .size:           2
        .value_kind:     hidden_remainder_x
      - .offset:         100
        .size:           2
        .value_kind:     hidden_remainder_y
      - .offset:         102
        .size:           2
        .value_kind:     hidden_remainder_z
      - .offset:         120
        .size:           8
        .value_kind:     hidden_global_offset_x
      - .offset:         128
        .size:           8
        .value_kind:     hidden_global_offset_y
      - .offset:         136
        .size:           8
        .value_kind:     hidden_global_offset_z
      - .offset:         144
        .size:           2
        .value_kind:     hidden_grid_dims
    .group_segment_fixed_size: 0
    .kernarg_segment_align: 8
    .kernarg_segment_size: 336
    .language:       OpenCL C
    .language_version:
      - 2
      - 0
    .max_flat_workgroup_size: 1024
    .name:           _ZN4vllm16ConcatMLAQKernelIN3c104HalfELi512EEEvPT_PKS3_S6_iillllll
    .private_segment_fixed_size: 0
    .sgpr_count:     22
    .sgpr_spill_count: 0
    .symbol:         _ZN4vllm16ConcatMLAQKernelIN3c104HalfELi512EEEvPT_PKS3_S6_iillllll.kd
    .uniform_work_group_size: 1
    .uses_dynamic_stack: false
    .vgpr_count:     20
    .vgpr_spill_count: 0
    .wavefront_size: 32
    .workgroup_processor_mode: 1
  - .args:
      - .actual_access:  write_only
        .address_space:  global
        .offset:         0
        .size:           8
        .value_kind:     global_buffer
      - .actual_access:  read_only
        .address_space:  global
        .offset:         8
        .size:           8
        .value_kind:     global_buffer
      - .actual_access:  read_only
        .address_space:  global
        .offset:         16
        .size:           8
        .value_kind:     global_buffer
      - .offset:         24
        .size:           4
        .value_kind:     by_value
      - .offset:         28
        .size:           4
        .value_kind:     by_value
      - .offset:         32
        .size:           8
        .value_kind:     by_value
      - .offset:         40
        .size:           8
        .value_kind:     by_value
      - .offset:         48
        .size:           8
        .value_kind:     by_value
      - .offset:         56
        .size:           8
        .value_kind:     by_value
      - .offset:         64
        .size:           8
        .value_kind:     by_value
      - .offset:         72
        .size:           8
        .value_kind:     by_value
      - .offset:         80
        .size:           4
        .value_kind:     hidden_block_count_x
      - .offset:         84
        .size:           4
        .value_kind:     hidden_block_count_y
      - .offset:         88
        .size:           4
        .value_kind:     hidden_block_count_z
      - .offset:         92
        .size:           2
        .value_kind:     hidden_group_size_x
      - .offset:         94
        .size:           2
        .value_kind:     hidden_group_size_y
      - .offset:         96
        .size:           2
        .value_kind:     hidden_group_size_z
      - .offset:         98
        .size:           2
        .value_kind:     hidden_remainder_x
      - .offset:         100
        .size:           2
        .value_kind:     hidden_remainder_y
      - .offset:         102
        .size:           2
        .value_kind:     hidden_remainder_z
      - .offset:         120
        .size:           8
        .value_kind:     hidden_global_offset_x
      - .offset:         128
        .size:           8
        .value_kind:     hidden_global_offset_y
      - .offset:         136
        .size:           8
        .value_kind:     hidden_global_offset_z
      - .offset:         144
        .size:           2
        .value_kind:     hidden_grid_dims
    .group_segment_fixed_size: 0
    .kernarg_segment_align: 8
    .kernarg_segment_size: 336
    .language:       OpenCL C
    .language_version:
      - 2
      - 0
    .max_flat_workgroup_size: 1024
    .name:           _ZN4vllm16ConcatMLAQKernelIN3c108BFloat16ELi512EEEvPT_PKS3_S6_iillllll
    .private_segment_fixed_size: 0
    .sgpr_count:     22
    .sgpr_spill_count: 0
    .symbol:         _ZN4vllm16ConcatMLAQKernelIN3c108BFloat16ELi512EEEvPT_PKS3_S6_iillllll.kd
    .uniform_work_group_size: 1
    .uses_dynamic_stack: false
    .vgpr_count:     20
    .vgpr_spill_count: 0
    .wavefront_size: 32
    .workgroup_processor_mode: 1
amdhsa.target:   amdgcn-amd-amdhsa--gfx1100
amdhsa.version:
  - 1
  - 2
...

	.end_amdgpu_metadata
